;; amdgpu-corpus repo=pytorch/pytorch kind=compiled arch=gfx1030 opt=O3
	.amdgcn_target "amdgcn-amd-amdhsa--gfx1030"
	.amdhsa_code_object_version 6
	.text
	.p2align	2                               ; -- Begin function _ZN2at6native25elementwise_kernel_helperILb0EZZZNS0_12_GLOBAL__N_119airy_ai_kernel_cudaERNS_18TensorIteratorBaseEENKUlvE_clEvENKUlvE_clEvEUldE_NS0_6memory8policies11unroll_baseILi256ESt5arrayIPcLm2EE23TrivialOffsetCalculatorILi1EjESF_NS8_15LoadWithoutCastENS8_16StoreWithoutCastELi4ELi1EEEEEvT0_T1_
	.type	_ZN2at6native25elementwise_kernel_helperILb0EZZZNS0_12_GLOBAL__N_119airy_ai_kernel_cudaERNS_18TensorIteratorBaseEENKUlvE_clEvENKUlvE_clEvEUldE_NS0_6memory8policies11unroll_baseILi256ESt5arrayIPcLm2EE23TrivialOffsetCalculatorILi1EjESF_NS8_15LoadWithoutCastENS8_16StoreWithoutCastELi4ELi1EEEEEvT0_T1_,@function
_ZN2at6native25elementwise_kernel_helperILb0EZZZNS0_12_GLOBAL__N_119airy_ai_kernel_cudaERNS_18TensorIteratorBaseEENKUlvE_clEvENKUlvE_clEvEUldE_NS0_6memory8policies11unroll_baseILi256ESt5arrayIPcLm2EE23TrivialOffsetCalculatorILi1EjESF_NS8_15LoadWithoutCastENS8_16StoreWithoutCastELi4ELi1EEEEEvT0_T1_: ; @_ZN2at6native25elementwise_kernel_helperILb0EZZZNS0_12_GLOBAL__N_119airy_ai_kernel_cudaERNS_18TensorIteratorBaseEENKUlvE_clEvENKUlvE_clEvEUldE_NS0_6memory8policies11unroll_baseILi256ESt5arrayIPcLm2EE23TrivialOffsetCalculatorILi1EjESF_NS8_15LoadWithoutCastENS8_16StoreWithoutCastELi4ELi1EEEEEvT0_T1_
; %bb.0:
	s_waitcnt vmcnt(0) expcnt(0) lgkmcnt(0)
	v_and_b32_e32 v36, 0x3ff, v31
	s_lshl_b32 s42, s12, 10
	v_mov_b32_e32 v16, 0
	v_mov_b32_e32 v18, 0
	;; [unrolled: 1-line block ×3, first 2 shown]
	v_cmp_lt_i32_e64 s4, v36, v4
	v_or_b32_e32 v5, s42, v36
	v_add_nc_u32_e32 v37, 0x100, v36
	v_mov_b32_e32 v19, 0
	v_mov_b32_e32 v10, v36
	s_and_saveexec_b32 s5, s4
	s_cbranch_execz .LBB0_2
; %bb.1:
	v_mov_b32_e32 v6, 0
	v_add_nc_u32_e32 v10, 0x100, v36
	v_lshlrev_b64 v[6:7], 3, v[5:6]
	v_add_co_u32 v6, vcc_lo, v2, v6
	v_add_co_ci_u32_e64 v7, null, v3, v7, vcc_lo
	flat_load_dwordx2 v[18:19], v[6:7]
.LBB0_2:
	s_or_b32 exec_lo, exec_lo, s5
	s_mov_b32 s5, exec_lo
	v_cmpx_lt_i32_e64 v10, v4
	s_cbranch_execz .LBB0_4
; %bb.3:
	v_add_nc_u32_e32 v6, s42, v10
	v_mov_b32_e32 v7, 0
	v_add_nc_u32_e32 v10, 0x100, v10
	v_lshlrev_b64 v[6:7], 3, v[6:7]
	v_add_co_u32 v6, vcc_lo, v2, v6
	v_add_co_ci_u32_e64 v7, null, v3, v7, vcc_lo
	flat_load_dwordx2 v[16:17], v[6:7]
.LBB0_4:
	s_or_b32 exec_lo, exec_lo, s5
	v_mov_b32_e32 v6, 0
	v_mov_b32_e32 v8, 0
	;; [unrolled: 1-line block ×4, first 2 shown]
	s_mov_b32 s5, exec_lo
	v_cmpx_lt_i32_e64 v10, v4
	s_cbranch_execz .LBB0_6
; %bb.5:
	v_add_nc_u32_e32 v8, s42, v10
	v_mov_b32_e32 v9, 0
	v_add_nc_u32_e32 v10, 0x100, v10
	v_lshlrev_b64 v[8:9], 3, v[8:9]
	v_add_co_u32 v8, vcc_lo, v2, v8
	v_add_co_ci_u32_e64 v9, null, v3, v9, vcc_lo
	flat_load_dwordx2 v[8:9], v[8:9]
.LBB0_6:
	s_or_b32 exec_lo, exec_lo, s5
	s_mov_b32 s5, exec_lo
	v_cmpx_lt_i32_e64 v10, v4
	s_cbranch_execz .LBB0_8
; %bb.7:
	v_add_nc_u32_e32 v6, s42, v10
	v_mov_b32_e32 v7, 0
	v_lshlrev_b64 v[6:7], 3, v[6:7]
	v_add_co_u32 v2, vcc_lo, v2, v6
	v_add_co_ci_u32_e64 v3, null, v3, v7, vcc_lo
	flat_load_dwordx2 v[6:7], v[2:3]
.LBB0_8:
	s_or_b32 exec_lo, exec_lo, s5
	v_mov_b32_e32 v2, 0
	v_mov_b32_e32 v3, v2
	;; [unrolled: 1-line block ×8, first 2 shown]
	s_and_saveexec_b32 s43, s4
	s_cbranch_execz .LBB0_32
; %bb.9:
	v_mov_b32_e32 v2, 0
	v_mov_b32_e32 v3, 0x7ff80000
	s_mov_b32 s44, exec_lo
	s_waitcnt vmcnt(0) lgkmcnt(0)
	v_cmpx_neq_f64_e64 0x7ff00000, |v[18:19]|
	s_cbranch_execz .LBB0_31
; %bb.10:
	v_mov_b32_e32 v2, 0
	v_mov_b32_e32 v3, 0
	s_mov_b32 s6, 0x872b020c
	s_mov_b32 s7, 0x4059f916
	s_mov_b32 s45, exec_lo
	v_cmpx_nlt_f64_e32 s[6:7], v[18:19]
	s_cbranch_execz .LBB0_30
; %bb.11:
	s_mov_b32 s7, 0xc000b851
	s_mov_b32 s6, 0xeb851eb8
                                        ; implicit-def: $vgpr2_vgpr3
	s_mov_b32 s5, exec_lo
	v_cmpx_ngt_f64_e32 s[6:7], v[18:19]
	s_xor_b32 s8, exec_lo, s5
	s_cbranch_execz .LBB0_19
; %bb.12:
	s_mov_b32 s7, 0x4000b851
	v_mov_b32_e32 v2, 0
	v_cmp_nle_f64_e64 s9, s[6:7], v[18:19]
	v_cmp_le_f64_e32 vcc_lo, s[6:7], v[18:19]
	v_mov_b32_e32 v3, 0
	s_mov_b32 s5, s9
	s_and_saveexec_b32 s7, vcc_lo
	s_cbranch_execz .LBB0_14
; %bb.13:
	v_cmp_gt_f64_e32 vcc_lo, 0x10000000, v[18:19]
	s_mov_b32 s10, 0x2537b658
	s_mov_b32 s12, 0x2624d31
	s_mov_b32 s11, 0x3fd62dae
	s_mov_b32 s13, 0x3fe229bc
	v_cndmask_b32_e64 v2, 0, 0x100, vcc_lo
	v_ldexp_f64 v[2:3], v[18:19], v2
	v_rsq_f64_e32 v[10:11], v[2:3]
	v_mul_f64 v[12:13], v[2:3], v[10:11]
	v_mul_f64 v[10:11], v[10:11], 0.5
	v_fma_f64 v[14:15], -v[10:11], v[12:13], 0.5
	v_fma_f64 v[12:13], v[12:13], v[14:15], v[12:13]
	v_fma_f64 v[10:11], v[10:11], v[14:15], v[10:11]
	v_fma_f64 v[14:15], -v[12:13], v[12:13], v[2:3]
	v_fma_f64 v[12:13], v[14:15], v[10:11], v[12:13]
	v_fma_f64 v[14:15], -v[12:13], v[12:13], v[2:3]
	v_fma_f64 v[10:11], v[14:15], v[10:11], v[12:13]
	v_cndmask_b32_e64 v12, 0, 0xffffff80, vcc_lo
	v_cmp_class_f64_e64 vcc_lo, v[2:3], 0x260
	v_ldexp_f64 v[10:11], v[10:11], v12
	v_add_f64 v[12:13], v[18:19], v[18:19]
	v_cndmask_b32_e32 v3, v11, v3, vcc_lo
	v_cndmask_b32_e32 v2, v10, v2, vcc_lo
	v_mul_f64 v[10:11], v[12:13], v[2:3]
	v_div_scale_f64 v[12:13], null, 0x40080000, 0x40080000, v[10:11]
	v_div_scale_f64 v[22:23], vcc_lo, v[10:11], 0x40080000, v[10:11]
	v_rcp_f64_e32 v[14:15], v[12:13]
	v_fma_f64 v[20:21], -v[12:13], v[14:15], 1.0
	v_fma_f64 v[14:15], v[14:15], v[20:21], v[14:15]
	v_fma_f64 v[20:21], -v[12:13], v[14:15], 1.0
	v_fma_f64 v[14:15], v[14:15], v[20:21], v[14:15]
	v_mul_f64 v[20:21], v[22:23], v[14:15]
	v_fma_f64 v[12:13], -v[12:13], v[20:21], v[22:23]
	v_div_fmas_f64 v[12:13], v[12:13], v[14:15], v[20:21]
	v_div_fixup_f64 v[10:11], v[12:13], 0x40080000, v[10:11]
	v_div_scale_f64 v[12:13], null, v[10:11], v[10:11], 1.0
	v_div_scale_f64 v[22:23], vcc_lo, 1.0, v[10:11], 1.0
	v_rcp_f64_e32 v[14:15], v[12:13]
	v_fma_f64 v[20:21], -v[12:13], v[14:15], 1.0
	v_fma_f64 v[14:15], v[14:15], v[20:21], v[14:15]
	v_fma_f64 v[20:21], -v[12:13], v[14:15], 1.0
	v_fma_f64 v[14:15], v[14:15], v[20:21], v[14:15]
	v_mul_f64 v[20:21], v[22:23], v[14:15]
	v_fma_f64 v[12:13], -v[12:13], v[20:21], v[22:23]
	v_div_fmas_f64 v[12:13], v[12:13], v[14:15], v[20:21]
	v_cmp_gt_f64_e32 vcc_lo, 0x10000000, v[2:3]
	v_div_fixup_f64 v[12:13], v[12:13], v[10:11], 1.0
	v_cndmask_b32_e64 v28, 0, 0x100, vcc_lo
	v_ldexp_f64 v[2:3], v[2:3], v28
	v_fma_f64 v[14:15], v[12:13], 0, s[12:13]
	v_fma_f64 v[20:21], v[12:13], 0, s[10:11]
	s_mov_b32 s10, 0x652b82fe
	s_mov_b32 s11, 0x3ff71547
	s_mov_b32 s12, 0x5332ca5
	v_mul_f64 v[22:23], v[10:11], s[10:11]
	s_mov_b32 s10, 0x871a9067
	s_mov_b32 s11, 0x402803e3
	;; [unrolled: 1-line block ×3, first 2 shown]
	v_cmp_class_f64_e64 s6, v[2:3], 0x260
	v_fma_f64 v[14:15], v[12:13], v[14:15], s[12:13]
	v_fma_f64 v[20:21], v[12:13], v[20:21], s[10:11]
	s_mov_b32 s10, 0xde2e1e3
	s_mov_b32 s12, 0xb04d51a0
	;; [unrolled: 1-line block ×3, first 2 shown]
	v_rndne_f64_e32 v[22:23], v[22:23]
	s_mov_b32 s13, 0x405520e3
	v_fma_f64 v[14:15], v[12:13], v[14:15], s[12:13]
	v_fma_f64 v[20:21], v[12:13], v[20:21], s[10:11]
	s_mov_b32 s10, 0xfefa39ef
	s_mov_b32 s11, 0xbfe62e42
	;; [unrolled: 1-line block ×3, first 2 shown]
	v_fma_f64 v[24:25], v[22:23], s[10:11], v[10:11]
	s_mov_b32 s10, 0xee40073c
	s_mov_b32 s11, 0x406502da
	;; [unrolled: 1-line block ×3, first 2 shown]
	v_fma_f64 v[14:15], v[12:13], v[14:15], s[12:13]
	v_fma_f64 v[20:21], v[12:13], v[20:21], s[10:11]
	s_mov_b32 s10, 0x3b39803f
	s_mov_b32 s11, 0xbc7abc9e
	;; [unrolled: 1-line block ×3, first 2 shown]
	v_fma_f64 v[24:25], v[22:23], s[10:11], v[24:25]
	s_mov_b32 s10, 0x5ba1fddf
	s_mov_b32 s11, 0x4063f834
	;; [unrolled: 1-line block ×3, first 2 shown]
	v_fma_f64 v[14:15], v[12:13], v[14:15], s[12:13]
	v_fma_f64 v[20:21], v[12:13], v[20:21], s[10:11]
	s_mov_b32 s10, 0xfca7ab0c
	s_mov_b32 s12, 0x6a5dcb37
	;; [unrolled: 1-line block ×4, first 2 shown]
	v_fma_f64 v[26:27], v[24:25], s[12:13], s[10:11]
	s_mov_b32 s10, 0x4f4cea4f
	s_mov_b32 s12, 0xee91d35f
	;; [unrolled: 1-line block ×4, first 2 shown]
	v_fma_f64 v[14:15], v[12:13], v[14:15], s[12:13]
	v_fma_f64 v[20:21], v[12:13], v[20:21], s[10:11]
	s_mov_b32 s10, 0x623fde64
	s_mov_b32 s11, 0x3ec71dee
	;; [unrolled: 1-line block ×4, first 2 shown]
	v_fma_f64 v[26:27], v[24:25], v[26:27], s[10:11]
	s_mov_b32 s10, 0x5c2a0f4d
	s_mov_b32 s11, 0x402c0d8d
	v_fma_f64 v[14:15], v[12:13], v[14:15], s[12:13]
	v_fma_f64 v[20:21], v[12:13], v[20:21], s[10:11]
	s_mov_b32 s10, 0x7c89e6b0
	s_mov_b32 s11, 0x3efa0199
	v_fma_f64 v[26:27], v[24:25], v[26:27], s[10:11]
	s_mov_b32 s10, 0x14761f6e
	s_mov_b32 s11, 0x3f2a01a0
	v_fma_f64 v[14:15], v[12:13], v[14:15], 1.0
	v_fma_f64 v[12:13], v[12:13], v[20:21], 1.0
	v_rsq_f64_e32 v[20:21], v[2:3]
	v_fma_f64 v[26:27], v[24:25], v[26:27], s[10:11]
	s_mov_b32 s10, 0x1852b7b0
	s_mov_b32 s11, 0x3f56c16c
	v_div_scale_f64 v[28:29], null, v[14:15], v[14:15], v[12:13]
	v_mul_f64 v[30:31], v[2:3], v[20:21]
	v_mul_f64 v[20:21], v[20:21], 0.5
	v_fma_f64 v[26:27], v[24:25], v[26:27], s[10:11]
	s_mov_b32 s10, 0x11122322
	s_mov_b32 s11, 0x3f811111
	v_rcp_f64_e32 v[32:33], v[28:29]
	v_fma_f64 v[34:35], -v[20:21], v[30:31], 0.5
	v_fma_f64 v[26:27], v[24:25], v[26:27], s[10:11]
	s_mov_b32 s10, 0x555502a1
	s_mov_b32 s11, 0x3fa55555
	v_fma_f64 v[38:39], -v[28:29], v[32:33], 1.0
	v_fma_f64 v[30:31], v[30:31], v[34:35], v[30:31]
	v_fma_f64 v[20:21], v[20:21], v[34:35], v[20:21]
	;; [unrolled: 1-line block ×3, first 2 shown]
	s_mov_b32 s10, 0x55555511
	s_mov_b32 s11, 0x3fc55555
	v_fma_f64 v[32:33], v[32:33], v[38:39], v[32:33]
	v_fma_f64 v[34:35], -v[30:31], v[30:31], v[2:3]
	v_fma_f64 v[26:27], v[24:25], v[26:27], s[10:11]
	s_mov_b32 s10, 11
	s_mov_b32 s11, 0x3fe00000
	v_fma_f64 v[38:39], -v[28:29], v[32:33], 1.0
	v_fma_f64 v[30:31], v[34:35], v[20:21], v[30:31]
	v_div_scale_f64 v[34:35], s5, v[12:13], v[14:15], v[12:13]
	v_fma_f64 v[26:27], v[24:25], v[26:27], s[10:11]
	s_mov_b32 s10, 0x50429b6d
	s_mov_b32 s11, 0x3fe20dd7
	v_fma_f64 v[32:33], v[32:33], v[38:39], v[32:33]
	v_fma_f64 v[38:39], -v[30:31], v[30:31], v[2:3]
	v_fma_f64 v[26:27], v[24:25], v[26:27], 1.0
	v_mul_f64 v[48:49], v[34:35], v[32:33]
	v_fma_f64 v[20:21], v[38:39], v[20:21], v[30:31]
	v_cvt_i32_f64_e32 v30, v[22:23]
	v_fma_f64 v[22:23], v[24:25], v[26:27], 1.0
	v_cndmask_b32_e64 v26, 0, 0xffffff80, vcc_lo
	s_mov_b32 vcc_lo, s5
	v_cmp_ngt_f64_e64 s5, 0xc090cc00, v[10:11]
	v_fma_f64 v[24:25], -v[28:29], v[48:49], v[34:35]
	v_ldexp_f64 v[20:21], v[20:21], v26
	v_ldexp_f64 v[22:23], v[22:23], v30
	v_div_fmas_f64 v[24:25], v[24:25], v[32:33], v[48:49]
	v_cmp_nlt_f64_e32 vcc_lo, 0x40900000, v[10:11]
	v_cndmask_b32_e64 v3, v21, v3, s6
	v_cndmask_b32_e64 v2, v20, v2, s6
	v_add_f64 v[2:3], v[2:3], v[2:3]
	v_div_fixup_f64 v[10:11], v[24:25], v[14:15], v[12:13]
	v_cndmask_b32_e32 v21, 0x7ff00000, v23, vcc_lo
	s_and_b32 vcc_lo, s5, vcc_lo
	v_cndmask_b32_e32 v12, 0, v22, vcc_lo
	v_cndmask_b32_e64 v13, 0, v21, s5
	s_andn2_b32 s5, s9, exec_lo
	v_mul_f64 v[2:3], v[2:3], v[12:13]
	v_mul_f64 v[10:11], v[10:11], s[10:11]
	s_mov_b32 s10, 0xfd0a823a
	s_mov_b32 s11, 0x4020a402
	v_div_scale_f64 v[12:13], null, v[2:3], v[2:3], v[10:11]
	v_rcp_f64_e32 v[14:15], v[12:13]
	v_fma_f64 v[20:21], -v[12:13], v[14:15], 1.0
	v_fma_f64 v[14:15], v[14:15], v[20:21], v[14:15]
	v_fma_f64 v[20:21], -v[12:13], v[14:15], 1.0
	v_fma_f64 v[14:15], v[14:15], v[20:21], v[14:15]
	v_div_scale_f64 v[20:21], vcc_lo, v[10:11], v[2:3], v[10:11]
	v_mul_f64 v[22:23], v[20:21], v[14:15]
	v_fma_f64 v[12:13], -v[12:13], v[22:23], v[20:21]
	v_div_fmas_f64 v[12:13], v[12:13], v[14:15], v[22:23]
	v_cmp_nlt_f64_e32 vcc_lo, s[10:11], v[18:19]
	v_div_fixup_f64 v[2:3], v[12:13], v[2:3], v[10:11]
	s_and_b32 s6, vcc_lo, exec_lo
	s_or_b32 s5, s5, s6
.LBB0_14:
	s_or_b32 exec_lo, exec_lo, s7
	s_and_saveexec_b32 s6, s5
	s_cbranch_execz .LBB0_18
; %bb.15:
	v_mul_f64 v[10:11], v[18:19], v[18:19]
	v_mov_b32_e32 v20, 0
	v_mov_b32_e32 v22, 0
	;; [unrolled: 1-line block ×6, first 2 shown]
	s_mov_b32 s7, 0
	v_mul_f64 v[12:13], v[18:19], v[10:11]
	v_mov_b32_e32 v10, 0
	v_mov_b32_e32 v11, 0x3ff00000
.LBB0_16:                               ; =>This Inner Loop Header: Depth=1
	v_mul_f64 v[20:21], v[12:13], v[20:21]
	v_add_f64 v[22:23], v[22:23], 1.0
	v_mul_f64 v[18:19], v[12:13], v[18:19]
	v_div_scale_f64 v[24:25], null, v[22:23], v[22:23], v[20:21]
	v_div_scale_f64 v[30:31], vcc_lo, v[20:21], v[22:23], v[20:21]
	v_rcp_f64_e32 v[26:27], v[24:25]
	v_fma_f64 v[28:29], -v[24:25], v[26:27], 1.0
	v_fma_f64 v[26:27], v[26:27], v[28:29], v[26:27]
	v_fma_f64 v[28:29], -v[24:25], v[26:27], 1.0
	v_fma_f64 v[26:27], v[26:27], v[28:29], v[26:27]
	v_mul_f64 v[28:29], v[30:31], v[26:27]
	v_fma_f64 v[24:25], -v[24:25], v[28:29], v[30:31]
	v_div_fmas_f64 v[24:25], v[24:25], v[26:27], v[28:29]
	v_add_f64 v[26:27], v[22:23], 1.0
	v_div_fixup_f64 v[20:21], v[24:25], v[22:23], v[20:21]
	v_div_scale_f64 v[22:23], null, v[26:27], v[26:27], v[18:19]
	v_div_scale_f64 v[38:39], vcc_lo, v[18:19], v[26:27], v[18:19]
	v_div_scale_f64 v[24:25], null, v[26:27], v[26:27], v[20:21]
	v_rcp_f64_e32 v[28:29], v[22:23]
	v_rcp_f64_e32 v[30:31], v[24:25]
	v_fma_f64 v[32:33], -v[22:23], v[28:29], 1.0
	v_fma_f64 v[34:35], -v[24:25], v[30:31], 1.0
	v_fma_f64 v[28:29], v[28:29], v[32:33], v[28:29]
	v_fma_f64 v[30:31], v[30:31], v[34:35], v[30:31]
	v_fma_f64 v[32:33], -v[22:23], v[28:29], 1.0
	v_fma_f64 v[34:35], -v[24:25], v[30:31], 1.0
	v_fma_f64 v[28:29], v[28:29], v[32:33], v[28:29]
	v_div_scale_f64 v[32:33], s5, v[20:21], v[26:27], v[20:21]
	v_fma_f64 v[30:31], v[30:31], v[34:35], v[30:31]
	v_mul_f64 v[34:35], v[38:39], v[28:29]
	v_mul_f64 v[48:49], v[32:33], v[30:31]
	v_fma_f64 v[22:23], -v[22:23], v[34:35], v[38:39]
	v_fma_f64 v[24:25], -v[24:25], v[48:49], v[32:33]
	v_div_fmas_f64 v[28:29], v[22:23], v[28:29], v[34:35]
	s_mov_b32 vcc_lo, s5
	v_div_fmas_f64 v[22:23], v[24:25], v[30:31], v[48:49]
	v_div_fixup_f64 v[18:19], v[28:29], v[26:27], v[18:19]
	v_div_fixup_f64 v[20:21], v[22:23], v[26:27], v[20:21]
	v_add_f64 v[22:23], v[26:27], 1.0
	v_add_f64 v[10:11], v[10:11], v[20:21]
	v_div_scale_f64 v[24:25], null, v[22:23], v[22:23], v[18:19]
	v_div_scale_f64 v[38:39], vcc_lo, v[18:19], v[22:23], v[18:19]
	v_div_scale_f64 v[26:27], null, v[10:11], v[10:11], v[20:21]
	v_rcp_f64_e32 v[28:29], v[24:25]
	v_rcp_f64_e32 v[30:31], v[26:27]
	v_fma_f64 v[32:33], -v[24:25], v[28:29], 1.0
	v_fma_f64 v[34:35], -v[26:27], v[30:31], 1.0
	v_fma_f64 v[28:29], v[28:29], v[32:33], v[28:29]
	v_fma_f64 v[30:31], v[30:31], v[34:35], v[30:31]
	v_fma_f64 v[32:33], -v[24:25], v[28:29], 1.0
	v_fma_f64 v[34:35], -v[26:27], v[30:31], 1.0
	v_fma_f64 v[28:29], v[28:29], v[32:33], v[28:29]
	v_div_scale_f64 v[32:33], s5, v[20:21], v[10:11], v[20:21]
	v_fma_f64 v[30:31], v[30:31], v[34:35], v[30:31]
	v_mul_f64 v[34:35], v[38:39], v[28:29]
	v_mul_f64 v[48:49], v[32:33], v[30:31]
	v_fma_f64 v[24:25], -v[24:25], v[34:35], v[38:39]
	v_fma_f64 v[26:27], -v[26:27], v[48:49], v[32:33]
	v_div_fmas_f64 v[24:25], v[24:25], v[28:29], v[34:35]
	s_mov_b32 vcc_lo, s5
	v_div_fmas_f64 v[26:27], v[26:27], v[30:31], v[48:49]
	v_div_fixup_f64 v[18:19], v[24:25], v[22:23], v[18:19]
	v_div_fixup_f64 v[26:27], v[26:27], v[10:11], v[20:21]
	v_add_f64 v[14:15], v[14:15], v[18:19]
	v_cmp_nlt_f64_e64 s5, 0x3cb00000, |v[26:27]|
	s_or_b32 s7, s5, s7
	s_andn2_b32 exec_lo, exec_lo, s7
	s_cbranch_execnz .LBB0_16
; %bb.17:
	s_or_b32 exec_lo, exec_lo, s7
	s_mov_b32 s10, 0x42b70f8b
	s_mov_b32 s11, 0xbfd0907f
	v_mul_f64 v[12:13], v[14:15], s[10:11]
	s_mov_b32 s10, 0x962715b8
	s_mov_b32 s11, 0x3fd6b8c7
	v_fma_f64 v[10:11], v[10:11], s[10:11], v[12:13]
	v_cndmask_b32_e64 v3, v3, v11, s9
	v_cndmask_b32_e64 v2, v2, v10, s9
.LBB0_18:
	s_or_b32 exec_lo, exec_lo, s6
                                        ; implicit-def: $vgpr18_vgpr19
.LBB0_19:
	s_andn2_saveexec_b32 s46, s8
	s_cbranch_execz .LBB0_29
; %bb.20:
	v_cmp_lt_f64_e32 vcc_lo, 0x90000000, v[18:19]
	s_mov_b32 s7, 0x3fe921fb
	s_mov_b32 s6, 0x54442d18
                                        ; implicit-def: $vgpr33
                                        ; implicit-def: $vgpr22_vgpr23
	v_cndmask_b32_e64 v2, 0, 0x100, vcc_lo
	v_ldexp_f64 v[2:3], -v[18:19], v2
	v_rsq_f64_e32 v[10:11], v[2:3]
	v_mul_f64 v[12:13], v[2:3], v[10:11]
	v_mul_f64 v[10:11], v[10:11], 0.5
	v_fma_f64 v[14:15], -v[10:11], v[12:13], 0.5
	v_fma_f64 v[12:13], v[12:13], v[14:15], v[12:13]
	v_fma_f64 v[10:11], v[10:11], v[14:15], v[10:11]
	v_fma_f64 v[14:15], -v[12:13], v[12:13], v[2:3]
	v_fma_f64 v[12:13], v[14:15], v[10:11], v[12:13]
	v_fma_f64 v[14:15], -v[12:13], v[12:13], v[2:3]
	v_fma_f64 v[10:11], v[14:15], v[10:11], v[12:13]
	v_cndmask_b32_e64 v12, 0, 0xffffff80, vcc_lo
	v_cmp_class_f64_e64 vcc_lo, v[2:3], 0x260
	v_ldexp_f64 v[10:11], v[10:11], v12
	v_mul_f64 v[12:13], v[18:19], -2.0
	v_cndmask_b32_e32 v3, v11, v3, vcc_lo
	v_cndmask_b32_e32 v2, v10, v2, vcc_lo
	v_mul_f64 v[10:11], v[12:13], v[2:3]
	v_div_scale_f64 v[12:13], null, 0x40080000, 0x40080000, v[10:11]
	v_div_scale_f64 v[20:21], vcc_lo, v[10:11], 0x40080000, v[10:11]
	v_rcp_f64_e32 v[14:15], v[12:13]
	v_fma_f64 v[18:19], -v[12:13], v[14:15], 1.0
	v_fma_f64 v[14:15], v[14:15], v[18:19], v[14:15]
	v_fma_f64 v[18:19], -v[12:13], v[14:15], 1.0
	v_fma_f64 v[14:15], v[14:15], v[18:19], v[14:15]
	v_mul_f64 v[18:19], v[20:21], v[14:15]
	v_fma_f64 v[12:13], -v[12:13], v[18:19], v[20:21]
	v_div_fmas_f64 v[12:13], v[12:13], v[14:15], v[18:19]
                                        ; implicit-def: $vgpr18_vgpr19
	v_div_fixup_f64 v[10:11], v[12:13], 0x40080000, v[10:11]
	v_add_f64 v[12:13], v[10:11], s[6:7]
	v_cmp_ngt_f64_e64 s5, 0x41d00000, |v[12:13]|
	v_trig_preop_f64 v[28:29], |v[12:13]|, 0
	v_trig_preop_f64 v[26:27], |v[12:13]|, 1
	v_ldexp_f64 v[30:31], |v[12:13]|, 0xffffff80
	v_trig_preop_f64 v[24:25], |v[12:13]|, 2
	v_and_b32_e32 v34, 0x7fffffff, v13
	s_and_saveexec_b32 s7, s5
	s_xor_b32 s8, exec_lo, s7
	s_cbranch_execz .LBB0_22
; %bb.21:
	v_cmp_le_f64_e64 vcc_lo, 0x7b000000, |v[12:13]|
	v_mov_b32_e32 v64, 0
	s_mov_b32 s7, 0x3ff921fb
	s_mov_b32 s10, 0x33145c07
	;; [unrolled: 1-line block ×3, first 2 shown]
	v_cndmask_b32_e32 v15, v34, v31, vcc_lo
	v_cndmask_b32_e32 v14, v12, v30, vcc_lo
	v_mul_f64 v[18:19], v[28:29], v[14:15]
	v_mul_f64 v[20:21], v[26:27], v[14:15]
	;; [unrolled: 1-line block ×3, first 2 shown]
	v_fma_f64 v[22:23], v[28:29], v[14:15], -v[18:19]
	v_fma_f64 v[54:55], v[26:27], v[14:15], -v[20:21]
	;; [unrolled: 1-line block ×3, first 2 shown]
	v_add_f64 v[32:33], v[20:21], v[22:23]
	v_add_f64 v[38:39], v[32:33], -v[20:21]
	v_add_f64 v[50:51], v[18:19], v[32:33]
	v_add_f64 v[48:49], v[32:33], -v[38:39]
	v_add_f64 v[22:23], v[22:23], -v[38:39]
	v_ldexp_f64 v[38:39], v[50:51], -2
	v_add_f64 v[18:19], v[50:51], -v[18:19]
	v_add_f64 v[20:21], v[20:21], -v[48:49]
	v_add_f64 v[48:49], v[52:53], v[54:55]
	v_cmp_neq_f64_e64 vcc_lo, 0x7ff00000, |v[38:39]|
	v_add_f64 v[18:19], v[32:33], -v[18:19]
	v_add_f64 v[20:21], v[22:23], v[20:21]
	v_fract_f64_e32 v[22:23], v[38:39]
	v_add_f64 v[32:33], v[48:49], v[20:21]
	v_ldexp_f64 v[22:23], v[22:23], 2
	v_add_f64 v[38:39], v[18:19], v[32:33]
	v_cndmask_b32_e32 v23, 0, v23, vcc_lo
	v_cndmask_b32_e32 v22, 0, v22, vcc_lo
	v_add_f64 v[50:51], v[38:39], v[22:23]
	v_add_f64 v[18:19], v[38:39], -v[18:19]
	v_cmp_gt_f64_e32 vcc_lo, 0, v[50:51]
	v_add_f64 v[50:51], v[48:49], -v[52:53]
	v_add_f64 v[18:19], v[32:33], -v[18:19]
	v_cndmask_b32_e64 v65, 0, 0x40100000, vcc_lo
	v_add_f64 v[69:70], v[48:49], -v[50:51]
	v_add_f64 v[50:51], v[54:55], -v[50:51]
	v_add_f64 v[22:23], v[22:23], v[64:65]
	v_add_f64 v[65:66], v[32:33], -v[48:49]
	v_add_f64 v[54:55], v[52:53], -v[69:70]
	v_add_f64 v[67:68], v[38:39], v[22:23]
	;; [unrolled: 3-line block ×3, first 2 shown]
	v_cvt_i32_f64_e32 v35, v[67:68]
	v_add_f64 v[48:49], v[48:49], -v[80:81]
	v_cvt_f64_i32_e32 v[65:66], v35
	v_add_f64 v[20:21], v[20:21], v[48:49]
	v_add_f64 v[22:23], v[22:23], -v[65:66]
	v_add_f64 v[20:21], v[50:51], v[20:21]
	v_add_f64 v[48:49], v[38:39], v[22:23]
	;; [unrolled: 1-line block ×3, first 2 shown]
	v_add_f64 v[20:21], v[48:49], -v[22:23]
	v_cmp_le_f64_e32 vcc_lo, 0.5, v[48:49]
	v_add_f64 v[14:15], v[18:19], v[14:15]
	v_add_f64 v[18:19], v[38:39], -v[20:21]
	v_cndmask_b32_e64 v65, 0, 0x3ff00000, vcc_lo
	v_add_co_ci_u32_e64 v33, null, 0, v35, vcc_lo
	v_add_f64 v[14:15], v[14:15], v[18:19]
	v_add_f64 v[18:19], v[48:49], -v[64:65]
	v_add_f64 v[20:21], v[18:19], v[14:15]
	v_mul_f64 v[22:23], v[20:21], s[6:7]
	v_add_f64 v[18:19], v[20:21], -v[18:19]
	v_fma_f64 v[38:39], v[20:21], s[6:7], -v[22:23]
	v_add_f64 v[14:15], v[14:15], -v[18:19]
	v_fma_f64 v[18:19], v[20:21], s[10:11], v[38:39]
	v_fma_f64 v[14:15], v[14:15], s[6:7], v[18:19]
	v_add_f64 v[18:19], v[22:23], v[14:15]
	v_add_f64 v[20:21], v[18:19], -v[22:23]
	v_add_f64 v[22:23], v[14:15], -v[20:21]
	s_andn2_saveexec_b32 s6, s8
	s_cbranch_execz .LBB0_24
	s_branch .LBB0_23
.LBB0_22:
	s_andn2_saveexec_b32 s6, s8
	s_cbranch_execz .LBB0_24
.LBB0_23:
	s_mov_b32 s8, 0x6dc9c883
	s_mov_b32 s9, 0x3fe45f30
	;; [unrolled: 1-line block ×3, first 2 shown]
	v_mul_f64 v[14:15], |v[12:13]|, s[8:9]
	s_mov_b32 s8, 0x54442d18
	s_mov_b32 s9, 0xbff921fb
	;; [unrolled: 1-line block ×3, first 2 shown]
	v_rndne_f64_e32 v[14:15], v[14:15]
	v_fma_f64 v[18:19], v[14:15], s[8:9], |v[12:13]|
	v_mul_f64 v[20:21], v[14:15], s[10:11]
	s_mov_b32 s8, 0x252049c0
	s_mov_b32 s9, 0xb97b839a
	v_fma_f64 v[32:33], v[14:15], s[10:11], v[18:19]
	v_add_f64 v[22:23], v[18:19], v[20:21]
	s_mov_b32 s11, 0x3c91a626
	v_add_f64 v[18:19], v[18:19], -v[22:23]
	v_add_f64 v[22:23], v[22:23], -v[32:33]
	v_add_f64 v[18:19], v[18:19], v[20:21]
	v_fma_f64 v[20:21], v[14:15], s[10:11], v[20:21]
	v_add_f64 v[18:19], v[22:23], v[18:19]
	v_add_f64 v[18:19], v[18:19], -v[20:21]
	v_fma_f64 v[20:21], v[14:15], s[8:9], v[18:19]
	v_add_f64 v[18:19], v[32:33], v[20:21]
	v_add_f64 v[22:23], v[18:19], -v[32:33]
	v_cvt_i32_f64_e32 v33, v[14:15]
	v_add_f64 v[22:23], v[20:21], -v[22:23]
.LBB0_24:
	s_or_b32 exec_lo, exec_lo, s6
                                        ; implicit-def: $vgpr32
                                        ; implicit-def: $vgpr14_vgpr15
                                        ; implicit-def: $vgpr20_vgpr21
	s_and_saveexec_b32 s6, s5
	s_xor_b32 s5, exec_lo, s6
	s_cbranch_execz .LBB0_26
; %bb.25:
	v_cmp_le_f64_e64 vcc_lo, 0x7b000000, |v[12:13]|
	v_mov_b32_e32 v54, 0
	s_mov_b32 s6, 0x54442d18
	s_mov_b32 s7, 0x3ff921fb
	;; [unrolled: 1-line block ×4, first 2 shown]
	v_cndmask_b32_e32 v15, v34, v31, vcc_lo
	v_cndmask_b32_e32 v14, v12, v30, vcc_lo
	v_mul_f64 v[20:21], v[28:29], v[14:15]
	v_mul_f64 v[30:31], v[26:27], v[14:15]
	;; [unrolled: 1-line block ×3, first 2 shown]
	v_fma_f64 v[28:29], v[28:29], v[14:15], -v[20:21]
	v_fma_f64 v[26:27], v[26:27], v[14:15], -v[30:31]
	;; [unrolled: 1-line block ×3, first 2 shown]
	v_add_f64 v[34:35], v[30:31], v[28:29]
	v_add_f64 v[38:39], v[34:35], -v[30:31]
	v_add_f64 v[50:51], v[20:21], v[34:35]
	v_add_f64 v[48:49], v[34:35], -v[38:39]
	v_add_f64 v[28:29], v[28:29], -v[38:39]
	v_ldexp_f64 v[38:39], v[50:51], -2
	v_add_f64 v[20:21], v[50:51], -v[20:21]
	v_add_f64 v[30:31], v[30:31], -v[48:49]
	v_add_f64 v[48:49], v[52:53], v[26:27]
	v_cmp_neq_f64_e64 vcc_lo, 0x7ff00000, |v[38:39]|
	v_add_f64 v[20:21], v[34:35], -v[20:21]
	v_add_f64 v[28:29], v[28:29], v[30:31]
	v_fract_f64_e32 v[30:31], v[38:39]
	v_add_f64 v[34:35], v[48:49], v[28:29]
	v_ldexp_f64 v[30:31], v[30:31], 2
	v_add_f64 v[38:39], v[20:21], v[34:35]
	v_cndmask_b32_e32 v31, 0, v31, vcc_lo
	v_cndmask_b32_e32 v30, 0, v30, vcc_lo
	v_add_f64 v[64:65], v[34:35], -v[48:49]
	v_add_f64 v[50:51], v[38:39], v[30:31]
	v_add_f64 v[20:21], v[38:39], -v[20:21]
	v_add_f64 v[70:71], v[34:35], -v[64:65]
	;; [unrolled: 1-line block ×3, first 2 shown]
	v_cmp_gt_f64_e32 vcc_lo, 0, v[50:51]
	v_add_f64 v[50:51], v[48:49], -v[52:53]
	v_add_f64 v[20:21], v[34:35], -v[20:21]
	v_cndmask_b32_e64 v55, 0, 0x40100000, vcc_lo
	v_add_f64 v[68:69], v[48:49], -v[50:51]
	v_add_f64 v[26:27], v[26:27], -v[50:51]
	;; [unrolled: 1-line block ×3, first 2 shown]
	v_add_f64 v[30:31], v[30:31], v[54:55]
	v_add_f64 v[50:51], v[52:53], -v[68:69]
	v_add_f64 v[28:29], v[28:29], v[48:49]
	v_add_f64 v[66:67], v[38:39], v[30:31]
	;; [unrolled: 1-line block ×3, first 2 shown]
	v_cvt_i32_f64_e32 v32, v[66:67]
	v_add_f64 v[24:25], v[26:27], v[28:29]
	v_cvt_f64_i32_e32 v[64:65], v32
	v_add_f64 v[14:15], v[14:15], v[24:25]
	v_add_f64 v[30:31], v[30:31], -v[64:65]
	v_add_f64 v[14:15], v[20:21], v[14:15]
	v_add_f64 v[26:27], v[38:39], v[30:31]
	v_add_f64 v[24:25], v[26:27], -v[30:31]
	v_cmp_le_f64_e32 vcc_lo, 0.5, v[26:27]
	v_add_f64 v[20:21], v[38:39], -v[24:25]
	v_cndmask_b32_e64 v55, 0, 0x3ff00000, vcc_lo
	v_add_co_ci_u32_e64 v32, null, 0, v32, vcc_lo
	v_add_f64 v[14:15], v[14:15], v[20:21]
	v_add_f64 v[20:21], v[26:27], -v[54:55]
	v_add_f64 v[24:25], v[20:21], v[14:15]
	v_mul_f64 v[26:27], v[24:25], s[6:7]
	v_add_f64 v[20:21], v[24:25], -v[20:21]
	v_fma_f64 v[28:29], v[24:25], s[6:7], -v[26:27]
	v_add_f64 v[14:15], v[14:15], -v[20:21]
	v_fma_f64 v[20:21], v[24:25], s[8:9], v[28:29]
	v_fma_f64 v[20:21], v[14:15], s[6:7], v[20:21]
	v_add_f64 v[14:15], v[26:27], v[20:21]
	v_add_f64 v[24:25], v[14:15], -v[26:27]
	v_add_f64 v[20:21], v[20:21], -v[24:25]
	s_andn2_saveexec_b32 s5, s5
	s_cbranch_execnz .LBB0_27
	s_branch .LBB0_28
.LBB0_26:
	s_andn2_saveexec_b32 s5, s5
	s_cbranch_execz .LBB0_28
.LBB0_27:
	s_mov_b32 s6, 0x6dc9c883
	s_mov_b32 s7, 0x3fe45f30
	;; [unrolled: 1-line block ×3, first 2 shown]
	v_mul_f64 v[14:15], |v[12:13]|, s[6:7]
	s_mov_b32 s6, 0x54442d18
	s_mov_b32 s7, 0xbff921fb
	;; [unrolled: 1-line block ×3, first 2 shown]
	v_rndne_f64_e32 v[24:25], v[14:15]
	v_fma_f64 v[14:15], v[24:25], s[6:7], |v[12:13]|
	v_mul_f64 v[20:21], v[24:25], s[8:9]
	s_mov_b32 s6, 0x252049c0
	s_mov_b32 s7, 0xb97b839a
	v_cvt_i32_f64_e32 v32, v[24:25]
	v_fma_f64 v[28:29], v[24:25], s[8:9], v[14:15]
	v_add_f64 v[26:27], v[14:15], v[20:21]
	s_mov_b32 s9, 0x3c91a626
	v_add_f64 v[14:15], v[14:15], -v[26:27]
	v_add_f64 v[26:27], v[26:27], -v[28:29]
	v_add_f64 v[14:15], v[14:15], v[20:21]
	v_fma_f64 v[20:21], v[24:25], s[8:9], v[20:21]
	v_add_f64 v[14:15], v[26:27], v[14:15]
	v_add_f64 v[14:15], v[14:15], -v[20:21]
	v_fma_f64 v[20:21], v[24:25], s[6:7], v[14:15]
	v_add_f64 v[14:15], v[28:29], v[20:21]
	v_add_f64 v[26:27], v[14:15], -v[28:29]
	v_add_f64 v[20:21], v[20:21], -v[26:27]
.LBB0_28:
	s_or_b32 exec_lo, exec_lo, s5
	v_div_scale_f64 v[24:25], null, v[10:11], v[10:11], 1.0
	s_mov_b32 s6, 0xd50ae6fb
	s_mov_b32 s7, 0xbfc0db6c
	;; [unrolled: 1-line block ×20, first 2 shown]
	v_rcp_f64_e32 v[26:27], v[24:25]
	s_mov_b32 s26, 0x11110bb3
	s_mov_b32 s27, 0x3f811111
	;; [unrolled: 1-line block ×4, first 2 shown]
	v_cmp_class_f64_e64 s5, v[12:13], 0x1f8
	s_mov_b32 s40, 0xddcfbbde
	s_mov_b32 s41, 0x3f943525
	v_fma_f64 v[28:29], -v[24:25], v[26:27], 1.0
	v_fma_f64 v[26:27], v[26:27], v[28:29], v[26:27]
	v_fma_f64 v[28:29], -v[24:25], v[26:27], 1.0
	v_fma_f64 v[26:27], v[26:27], v[28:29], v[26:27]
	v_div_scale_f64 v[28:29], vcc_lo, 1.0, v[10:11], 1.0
	v_mul_f64 v[30:31], v[28:29], v[26:27]
	v_fma_f64 v[24:25], -v[24:25], v[30:31], v[28:29]
	v_div_fmas_f64 v[24:25], v[24:25], v[26:27], v[30:31]
	v_mul_f64 v[30:31], v[18:19], v[18:19]
	v_div_fixup_f64 v[10:11], v[24:25], v[10:11], 1.0
	v_mul_f64 v[34:35], v[30:31], 0.5
	v_mul_f64 v[24:25], v[10:11], v[10:11]
	v_add_f64 v[38:39], -v[34:35], 1.0
	v_fma_f64 v[26:27], v[24:25], 0, s[6:7]
	s_mov_b32 s6, 0x98566852
	s_mov_b32 s7, 0xbfe40bee
	v_add_f64 v[48:49], -v[38:39], 1.0
	v_fma_f64 v[26:27], v[24:25], v[26:27], s[6:7]
	s_mov_b32 s6, 0xc2f79f7d
	s_mov_b32 s7, 0xbfe62e59
	v_add_f64 v[34:35], v[48:49], -v[34:35]
	v_mul_f64 v[48:49], v[30:31], v[30:31]
	v_fma_f64 v[26:27], v[24:25], v[26:27], s[6:7]
	s_mov_b32 s6, 0x4bb3f40b
	s_mov_b32 s7, 0xbfd1e7ea
	v_fma_f64 v[34:35], v[18:19], -v[22:23], v[34:35]
	v_fma_f64 v[26:27], v[24:25], v[26:27], s[6:7]
	s_mov_b32 s6, 0xf47dbd8a
	s_mov_b32 s7, 0xbfa92f6e
	v_fma_f64 v[26:27], v[24:25], v[26:27], s[6:7]
	s_mov_b32 s6, 0xc8d9e090
	s_mov_b32 s7, 0xbf70a401
	;; [unrolled: 3-line block ×15, first 2 shown]
	v_fma_f64 v[50:51], v[30:31], s[8:9], s[6:7]
	v_fma_f64 v[50:51], v[30:31], v[50:51], s[10:11]
	;; [unrolled: 1-line block ×6, first 2 shown]
	v_mul_f64 v[48:49], v[18:19], -v[30:31]
	v_mul_f64 v[50:51], v[22:23], 0.5
	v_add_f64 v[34:35], v[38:39], v[34:35]
	v_fma_f64 v[38:39], v[30:31], s[20:21], s[18:19]
	v_fma_f64 v[38:39], v[30:31], v[38:39], s[22:23]
	;; [unrolled: 1-line block ×5, first 2 shown]
	v_fma_f64 v[22:23], v[30:31], v[38:39], -v[22:23]
	v_fma_f64 v[22:23], v[48:49], s[28:29], v[22:23]
	v_add_f64 v[18:19], v[18:19], -v[22:23]
	v_and_b32_e32 v22, 1, v33
	v_cmp_eq_u32_e32 vcc_lo, 0, v22
	v_lshlrev_b32_e32 v22, 30, v33
	v_xor_b32_e32 v22, v22, v13
	v_and_b32_e32 v22, 0x80000000, v22
	v_cndmask_b32_e32 v19, v35, v19, vcc_lo
	v_cndmask_b32_e32 v18, v34, v18, vcc_lo
	v_xor_b32_e32 v19, v19, v22
	v_cndmask_b32_e64 v12, 0, v18, s5
	v_cndmask_b32_e64 v13, 0x7ff80000, v19, s5
	v_mul_f64 v[18:19], v[24:25], v[26:27]
	v_div_scale_f64 v[22:23], null, v[28:29], v[28:29], v[18:19]
	v_rcp_f64_e32 v[26:27], v[22:23]
	v_fma_f64 v[30:31], -v[22:23], v[26:27], 1.0
	v_fma_f64 v[26:27], v[26:27], v[30:31], v[26:27]
	v_fma_f64 v[30:31], -v[22:23], v[26:27], 1.0
	v_fma_f64 v[26:27], v[26:27], v[30:31], v[26:27]
	v_div_scale_f64 v[30:31], vcc_lo, v[18:19], v[28:29], v[18:19]
	v_mul_f64 v[33:34], v[30:31], v[26:27]
	v_fma_f64 v[22:23], -v[22:23], v[33:34], v[30:31]
	v_div_fmas_f64 v[22:23], v[22:23], v[26:27], v[33:34]
	v_cmp_gt_f64_e32 vcc_lo, 0x10000000, v[2:3]
	v_div_fixup_f64 v[18:19], v[22:23], v[28:29], v[18:19]
	v_fma_f64 v[22:23], v[24:25], 0, s[40:41]
	s_mov_b32 s40, 0x6437b7
	s_mov_b32 s41, 0x3fd907d5
	v_add_f64 v[18:19], v[18:19], 1.0
	v_fma_f64 v[22:23], v[24:25], v[22:23], s[40:41]
	s_mov_b32 s40, 0x3a2034eb
	s_mov_b32 s41, 0x3ff10d83
	v_fma_f64 v[22:23], v[24:25], v[22:23], s[40:41]
	s_mov_b32 s40, 0xa0ef1acb
	s_mov_b32 s41, 0x3fee0dac
	;; [unrolled: 3-line block ×11, first 2 shown]
	v_mul_f64 v[10:11], v[10:11], v[22:23]
	v_fma_f64 v[26:27], v[24:25], v[26:27], s[40:41]
	s_mov_b32 s40, 0x7ea7dc35
	s_mov_b32 s41, 0x402f211b
	v_fma_f64 v[26:27], v[24:25], v[26:27], s[40:41]
	s_mov_b32 s40, 0x2b79dbce
	s_mov_b32 s41, 0x4015e84e
	;; [unrolled: 3-line block ×8, first 2 shown]
	v_fma_f64 v[24:25], v[24:25], v[26:27], s[40:41]
	v_cndmask_b32_e64 v26, 0, 0x100, vcc_lo
	s_mov_b32 s40, 0x50429b6d
	s_mov_b32 s41, 0x3fe20dd7
	v_ldexp_f64 v[2:3], v[2:3], v26
	v_rsq_f64_e32 v[26:27], v[2:3]
	v_mul_f64 v[28:29], v[2:3], v[26:27]
	v_mul_f64 v[26:27], v[26:27], 0.5
	v_fma_f64 v[30:31], -v[26:27], v[28:29], 0.5
	v_fma_f64 v[28:29], v[28:29], v[30:31], v[28:29]
	v_fma_f64 v[26:27], v[26:27], v[30:31], v[26:27]
	v_fma_f64 v[33:34], -v[28:29], v[28:29], v[2:3]
	v_fma_f64 v[28:29], v[33:34], v[26:27], v[28:29]
	v_fma_f64 v[30:31], -v[28:29], v[28:29], v[2:3]
	v_fma_f64 v[26:27], v[30:31], v[26:27], v[28:29]
	v_cndmask_b32_e64 v28, 0, 0xffffff80, vcc_lo
	v_cmp_class_f64_e64 vcc_lo, v[2:3], 0x260
	v_ldexp_f64 v[26:27], v[26:27], v28
	v_cndmask_b32_e32 v3, v27, v3, vcc_lo
	v_cndmask_b32_e32 v2, v26, v2, vcc_lo
	v_div_scale_f64 v[26:27], null, v[2:3], v[2:3], s[40:41]
	v_rcp_f64_e32 v[28:29], v[26:27]
	v_fma_f64 v[30:31], -v[26:27], v[28:29], 1.0
	v_fma_f64 v[28:29], v[28:29], v[30:31], v[28:29]
	v_fma_f64 v[30:31], -v[26:27], v[28:29], 1.0
	v_fma_f64 v[28:29], v[28:29], v[30:31], v[28:29]
	v_div_scale_f64 v[30:31], vcc_lo, s[40:41], v[2:3], s[40:41]
	v_mul_f64 v[33:34], v[30:31], v[28:29]
	v_fma_f64 v[26:27], -v[26:27], v[33:34], v[30:31]
	v_div_fmas_f64 v[26:27], v[26:27], v[28:29], v[33:34]
	v_div_fixup_f64 v[2:3], v[26:27], v[2:3], s[40:41]
	v_mul_f64 v[26:27], v[14:15], v[14:15]
	v_mul_f64 v[28:29], v[26:27], 0.5
	v_fma_f64 v[38:39], v[26:27], s[8:9], s[6:7]
	v_add_f64 v[30:31], -v[28:29], 1.0
	v_fma_f64 v[38:39], v[26:27], v[38:39], s[10:11]
	v_add_f64 v[33:34], -v[30:31], 1.0
	v_fma_f64 v[38:39], v[26:27], v[38:39], s[12:13]
	v_add_f64 v[28:29], v[33:34], -v[28:29]
	v_fma_f64 v[38:39], v[26:27], v[38:39], s[14:15]
	v_mul_f64 v[33:34], v[26:27], v[26:27]
	v_fma_f64 v[28:29], v[14:15], -v[20:21], v[28:29]
	v_fma_f64 v[38:39], v[26:27], v[38:39], s[16:17]
	v_fma_f64 v[28:29], v[33:34], v[38:39], v[28:29]
	v_mul_f64 v[33:34], v[14:15], -v[26:27]
	v_mul_f64 v[38:39], v[20:21], 0.5
	v_add_f64 v[28:29], v[30:31], v[28:29]
	v_fma_f64 v[30:31], v[26:27], s[20:21], s[18:19]
	v_fma_f64 v[30:31], v[26:27], v[30:31], s[22:23]
	;; [unrolled: 1-line block ×5, first 2 shown]
	v_fma_f64 v[20:21], v[26:27], v[30:31], -v[20:21]
	v_fma_f64 v[20:21], v[33:34], s[28:29], v[20:21]
	v_add_f64 v[14:15], v[14:15], -v[20:21]
	v_and_b32_e32 v20, 1, v32
	v_cmp_eq_u32_e32 vcc_lo, 0, v20
	v_lshlrev_b32_e32 v20, 30, v32
	v_and_b32_e32 v20, 0x80000000, v20
	v_xor_b32_e32 v15, 0x80000000, v15
	v_cndmask_b32_e32 v14, v14, v28, vcc_lo
	v_cndmask_b32_e32 v15, v15, v29, vcc_lo
	v_cndmask_b32_e64 v14, 0, v14, s5
	v_xor_b32_e32 v15, v15, v20
	v_div_scale_f64 v[20:21], null, v[24:25], v[24:25], v[10:11]
	v_cndmask_b32_e64 v15, 0x7ff80000, v15, s5
	v_rcp_f64_e32 v[22:23], v[20:21]
	v_fma_f64 v[26:27], -v[20:21], v[22:23], 1.0
	v_fma_f64 v[22:23], v[22:23], v[26:27], v[22:23]
	v_fma_f64 v[26:27], -v[20:21], v[22:23], 1.0
	v_fma_f64 v[22:23], v[22:23], v[26:27], v[22:23]
	v_div_scale_f64 v[26:27], vcc_lo, v[10:11], v[24:25], v[10:11]
	v_mul_f64 v[28:29], v[26:27], v[22:23]
	v_fma_f64 v[20:21], -v[20:21], v[28:29], v[26:27]
	v_div_fmas_f64 v[20:21], v[20:21], v[22:23], v[28:29]
	v_div_fixup_f64 v[10:11], v[20:21], v[24:25], v[10:11]
	v_mul_f64 v[10:11], v[10:11], v[14:15]
	v_fma_f64 v[10:11], v[18:19], v[12:13], -v[10:11]
	v_mul_f64 v[2:3], v[2:3], v[10:11]
.LBB0_29:
	s_or_b32 exec_lo, exec_lo, s46
.LBB0_30:
	s_or_b32 exec_lo, exec_lo, s45
.LBB0_31:
	s_or_b32 exec_lo, exec_lo, s44
	v_mov_b32_e32 v14, 0
	v_mov_b32_e32 v15, v14
	v_mov_b32_e32 v12, v14
	v_mov_b32_e32 v13, v14
	v_mov_b32_e32 v10, v14
	v_mov_b32_e32 v11, v14
.LBB0_32:
	s_or_b32 exec_lo, exec_lo, s43
	s_mov_b32 s43, exec_lo
	v_cmpx_lt_i32_e64 v37, v4
	s_cbranch_execz .LBB0_56
; %bb.33:
	v_mov_b32_e32 v14, 0
	v_mov_b32_e32 v15, 0x7ff80000
	s_mov_b32 s44, exec_lo
	s_waitcnt vmcnt(0) lgkmcnt(0)
	v_cmpx_neq_f64_e64 0x7ff00000, |v[16:17]|
	s_cbranch_execz .LBB0_55
; %bb.34:
	v_mov_b32_e32 v14, 0
	v_mov_b32_e32 v15, 0
	s_mov_b32 s6, 0x872b020c
	s_mov_b32 s7, 0x4059f916
	s_mov_b32 s45, exec_lo
	v_cmpx_nlt_f64_e32 s[6:7], v[16:17]
	s_cbranch_execz .LBB0_54
; %bb.35:
	s_mov_b32 s7, 0xc000b851
	s_mov_b32 s6, 0xeb851eb8
	s_mov_b32 s5, exec_lo
	v_cmpx_ngt_f64_e32 s[6:7], v[16:17]
	s_xor_b32 s8, exec_lo, s5
                                        ; implicit-def: $vgpr14_vgpr15
	s_cbranch_execz .LBB0_43
; %bb.36:
	s_mov_b32 s7, 0x4000b851
	v_mov_b32_e32 v14, 0
	v_cmp_nle_f64_e64 s9, s[6:7], v[16:17]
	v_cmp_le_f64_e32 vcc_lo, s[6:7], v[16:17]
	v_mov_b32_e32 v15, 0
	s_mov_b32 s5, s9
	s_and_saveexec_b32 s7, vcc_lo
	s_cbranch_execz .LBB0_38
; %bb.37:
	v_cmp_gt_f64_e32 vcc_lo, 0x10000000, v[16:17]
	s_mov_b32 s10, 0x2537b658
	s_mov_b32 s12, 0x2624d31
	;; [unrolled: 1-line block ×4, first 2 shown]
	v_cndmask_b32_e64 v14, 0, 0x100, vcc_lo
	v_ldexp_f64 v[14:15], v[16:17], v14
	v_rsq_f64_e32 v[18:19], v[14:15]
	v_mul_f64 v[20:21], v[14:15], v[18:19]
	v_mul_f64 v[18:19], v[18:19], 0.5
	v_fma_f64 v[22:23], -v[18:19], v[20:21], 0.5
	v_fma_f64 v[20:21], v[20:21], v[22:23], v[20:21]
	v_fma_f64 v[18:19], v[18:19], v[22:23], v[18:19]
	v_fma_f64 v[22:23], -v[20:21], v[20:21], v[14:15]
	v_fma_f64 v[20:21], v[22:23], v[18:19], v[20:21]
	v_fma_f64 v[22:23], -v[20:21], v[20:21], v[14:15]
	v_fma_f64 v[18:19], v[22:23], v[18:19], v[20:21]
	v_cndmask_b32_e64 v20, 0, 0xffffff80, vcc_lo
	v_cmp_class_f64_e64 vcc_lo, v[14:15], 0x260
	v_ldexp_f64 v[18:19], v[18:19], v20
	v_add_f64 v[20:21], v[16:17], v[16:17]
	v_cndmask_b32_e32 v15, v19, v15, vcc_lo
	v_cndmask_b32_e32 v14, v18, v14, vcc_lo
	v_mul_f64 v[18:19], v[20:21], v[14:15]
	v_div_scale_f64 v[20:21], null, 0x40080000, 0x40080000, v[18:19]
	v_div_scale_f64 v[26:27], vcc_lo, v[18:19], 0x40080000, v[18:19]
	v_rcp_f64_e32 v[22:23], v[20:21]
	v_fma_f64 v[24:25], -v[20:21], v[22:23], 1.0
	v_fma_f64 v[22:23], v[22:23], v[24:25], v[22:23]
	v_fma_f64 v[24:25], -v[20:21], v[22:23], 1.0
	v_fma_f64 v[22:23], v[22:23], v[24:25], v[22:23]
	v_mul_f64 v[24:25], v[26:27], v[22:23]
	v_fma_f64 v[20:21], -v[20:21], v[24:25], v[26:27]
	v_div_fmas_f64 v[20:21], v[20:21], v[22:23], v[24:25]
	v_div_fixup_f64 v[18:19], v[20:21], 0x40080000, v[18:19]
	v_div_scale_f64 v[20:21], null, v[18:19], v[18:19], 1.0
	v_div_scale_f64 v[26:27], vcc_lo, 1.0, v[18:19], 1.0
	v_rcp_f64_e32 v[22:23], v[20:21]
	v_fma_f64 v[24:25], -v[20:21], v[22:23], 1.0
	v_fma_f64 v[22:23], v[22:23], v[24:25], v[22:23]
	v_fma_f64 v[24:25], -v[20:21], v[22:23], 1.0
	v_fma_f64 v[22:23], v[22:23], v[24:25], v[22:23]
	v_mul_f64 v[24:25], v[26:27], v[22:23]
	v_fma_f64 v[20:21], -v[20:21], v[24:25], v[26:27]
	v_div_fmas_f64 v[20:21], v[20:21], v[22:23], v[24:25]
	v_cmp_gt_f64_e32 vcc_lo, 0x10000000, v[14:15]
	v_div_fixup_f64 v[20:21], v[20:21], v[18:19], 1.0
	v_cndmask_b32_e64 v32, 0, 0x100, vcc_lo
	v_ldexp_f64 v[14:15], v[14:15], v32
	v_fma_f64 v[22:23], v[20:21], 0, s[12:13]
	v_fma_f64 v[24:25], v[20:21], 0, s[10:11]
	s_mov_b32 s10, 0x652b82fe
	s_mov_b32 s11, 0x3ff71547
	;; [unrolled: 1-line block ×3, first 2 shown]
	v_mul_f64 v[26:27], v[18:19], s[10:11]
	s_mov_b32 s10, 0x871a9067
	s_mov_b32 s11, 0x402803e3
	;; [unrolled: 1-line block ×3, first 2 shown]
	v_cmp_class_f64_e64 s6, v[14:15], 0x260
	v_fma_f64 v[22:23], v[20:21], v[22:23], s[12:13]
	v_fma_f64 v[24:25], v[20:21], v[24:25], s[10:11]
	s_mov_b32 s10, 0xde2e1e3
	s_mov_b32 s12, 0xb04d51a0
	;; [unrolled: 1-line block ×3, first 2 shown]
	v_rndne_f64_e32 v[26:27], v[26:27]
	s_mov_b32 s13, 0x405520e3
	v_fma_f64 v[22:23], v[20:21], v[22:23], s[12:13]
	v_fma_f64 v[24:25], v[20:21], v[24:25], s[10:11]
	s_mov_b32 s10, 0xfefa39ef
	s_mov_b32 s11, 0xbfe62e42
	;; [unrolled: 1-line block ×3, first 2 shown]
	v_fma_f64 v[28:29], v[26:27], s[10:11], v[18:19]
	s_mov_b32 s10, 0xee40073c
	s_mov_b32 s11, 0x406502da
	;; [unrolled: 1-line block ×3, first 2 shown]
	v_fma_f64 v[22:23], v[20:21], v[22:23], s[12:13]
	v_fma_f64 v[24:25], v[20:21], v[24:25], s[10:11]
	s_mov_b32 s10, 0x3b39803f
	s_mov_b32 s11, 0xbc7abc9e
	;; [unrolled: 1-line block ×3, first 2 shown]
	v_fma_f64 v[28:29], v[26:27], s[10:11], v[28:29]
	s_mov_b32 s10, 0x5ba1fddf
	s_mov_b32 s11, 0x4063f834
	;; [unrolled: 1-line block ×3, first 2 shown]
	v_fma_f64 v[22:23], v[20:21], v[22:23], s[12:13]
	v_fma_f64 v[24:25], v[20:21], v[24:25], s[10:11]
	s_mov_b32 s10, 0xfca7ab0c
	s_mov_b32 s12, 0x6a5dcb37
	;; [unrolled: 1-line block ×4, first 2 shown]
	v_fma_f64 v[30:31], v[28:29], s[12:13], s[10:11]
	s_mov_b32 s10, 0x4f4cea4f
	s_mov_b32 s12, 0xee91d35f
	;; [unrolled: 1-line block ×4, first 2 shown]
	v_fma_f64 v[22:23], v[20:21], v[22:23], s[12:13]
	v_fma_f64 v[24:25], v[20:21], v[24:25], s[10:11]
	s_mov_b32 s10, 0x623fde64
	s_mov_b32 s11, 0x3ec71dee
	;; [unrolled: 1-line block ×4, first 2 shown]
	v_fma_f64 v[30:31], v[28:29], v[30:31], s[10:11]
	s_mov_b32 s10, 0x5c2a0f4d
	s_mov_b32 s11, 0x402c0d8d
	v_fma_f64 v[22:23], v[20:21], v[22:23], s[12:13]
	v_fma_f64 v[24:25], v[20:21], v[24:25], s[10:11]
	s_mov_b32 s10, 0x7c89e6b0
	s_mov_b32 s11, 0x3efa0199
	v_fma_f64 v[30:31], v[28:29], v[30:31], s[10:11]
	s_mov_b32 s10, 0x14761f6e
	s_mov_b32 s11, 0x3f2a01a0
	v_fma_f64 v[22:23], v[20:21], v[22:23], 1.0
	v_fma_f64 v[20:21], v[20:21], v[24:25], 1.0
	v_rsq_f64_e32 v[24:25], v[14:15]
	v_fma_f64 v[30:31], v[28:29], v[30:31], s[10:11]
	s_mov_b32 s10, 0x1852b7b0
	s_mov_b32 s11, 0x3f56c16c
	v_div_scale_f64 v[32:33], null, v[22:23], v[22:23], v[20:21]
	v_mul_f64 v[34:35], v[14:15], v[24:25]
	v_mul_f64 v[24:25], v[24:25], 0.5
	v_fma_f64 v[30:31], v[28:29], v[30:31], s[10:11]
	s_mov_b32 s10, 0x11122322
	s_mov_b32 s11, 0x3f811111
	v_rcp_f64_e32 v[38:39], v[32:33]
	v_fma_f64 v[48:49], -v[24:25], v[34:35], 0.5
	v_fma_f64 v[30:31], v[28:29], v[30:31], s[10:11]
	s_mov_b32 s10, 0x555502a1
	s_mov_b32 s11, 0x3fa55555
	v_fma_f64 v[50:51], -v[32:33], v[38:39], 1.0
	v_fma_f64 v[34:35], v[34:35], v[48:49], v[34:35]
	v_fma_f64 v[24:25], v[24:25], v[48:49], v[24:25]
	;; [unrolled: 1-line block ×3, first 2 shown]
	s_mov_b32 s10, 0x55555511
	s_mov_b32 s11, 0x3fc55555
	v_fma_f64 v[38:39], v[38:39], v[50:51], v[38:39]
	v_fma_f64 v[48:49], -v[34:35], v[34:35], v[14:15]
	v_fma_f64 v[30:31], v[28:29], v[30:31], s[10:11]
	s_mov_b32 s10, 11
	s_mov_b32 s11, 0x3fe00000
	v_fma_f64 v[50:51], -v[32:33], v[38:39], 1.0
	v_fma_f64 v[34:35], v[48:49], v[24:25], v[34:35]
	v_div_scale_f64 v[48:49], s5, v[20:21], v[22:23], v[20:21]
	v_fma_f64 v[30:31], v[28:29], v[30:31], s[10:11]
	s_mov_b32 s10, 0x50429b6d
	s_mov_b32 s11, 0x3fe20dd7
	v_fma_f64 v[38:39], v[38:39], v[50:51], v[38:39]
	v_fma_f64 v[50:51], -v[34:35], v[34:35], v[14:15]
	v_fma_f64 v[30:31], v[28:29], v[30:31], 1.0
	v_mul_f64 v[52:53], v[48:49], v[38:39]
	v_fma_f64 v[24:25], v[50:51], v[24:25], v[34:35]
	v_cvt_i32_f64_e32 v34, v[26:27]
	v_fma_f64 v[26:27], v[28:29], v[30:31], 1.0
	v_cndmask_b32_e64 v30, 0, 0xffffff80, vcc_lo
	s_mov_b32 vcc_lo, s5
	v_cmp_ngt_f64_e64 s5, 0xc090cc00, v[18:19]
	v_fma_f64 v[28:29], -v[32:33], v[52:53], v[48:49]
	v_ldexp_f64 v[24:25], v[24:25], v30
	v_ldexp_f64 v[26:27], v[26:27], v34
	v_div_fmas_f64 v[28:29], v[28:29], v[38:39], v[52:53]
	v_cmp_nlt_f64_e32 vcc_lo, 0x40900000, v[18:19]
	v_cndmask_b32_e64 v15, v25, v15, s6
	v_cndmask_b32_e64 v14, v24, v14, s6
	v_add_f64 v[14:15], v[14:15], v[14:15]
	v_div_fixup_f64 v[18:19], v[28:29], v[22:23], v[20:21]
	v_cndmask_b32_e32 v25, 0x7ff00000, v27, vcc_lo
	s_and_b32 vcc_lo, s5, vcc_lo
	v_cndmask_b32_e32 v20, 0, v26, vcc_lo
	v_cndmask_b32_e64 v21, 0, v25, s5
	s_andn2_b32 s5, s9, exec_lo
	v_mul_f64 v[14:15], v[14:15], v[20:21]
	v_mul_f64 v[18:19], v[18:19], s[10:11]
	s_mov_b32 s10, 0xfd0a823a
	s_mov_b32 s11, 0x4020a402
	v_div_scale_f64 v[20:21], null, v[14:15], v[14:15], v[18:19]
	v_rcp_f64_e32 v[22:23], v[20:21]
	v_fma_f64 v[24:25], -v[20:21], v[22:23], 1.0
	v_fma_f64 v[22:23], v[22:23], v[24:25], v[22:23]
	v_fma_f64 v[24:25], -v[20:21], v[22:23], 1.0
	v_fma_f64 v[22:23], v[22:23], v[24:25], v[22:23]
	v_div_scale_f64 v[24:25], vcc_lo, v[18:19], v[14:15], v[18:19]
	v_mul_f64 v[26:27], v[24:25], v[22:23]
	v_fma_f64 v[20:21], -v[20:21], v[26:27], v[24:25]
	v_div_fmas_f64 v[20:21], v[20:21], v[22:23], v[26:27]
	v_cmp_nlt_f64_e32 vcc_lo, s[10:11], v[16:17]
	v_div_fixup_f64 v[14:15], v[20:21], v[14:15], v[18:19]
	s_and_b32 s6, vcc_lo, exec_lo
	s_or_b32 s5, s5, s6
.LBB0_38:
	s_or_b32 exec_lo, exec_lo, s7
	s_and_saveexec_b32 s6, s5
	s_cbranch_execz .LBB0_42
; %bb.39:
	v_mul_f64 v[18:19], v[16:17], v[16:17]
	v_mov_b32_e32 v24, 0
	v_mov_b32_e32 v26, 0
	;; [unrolled: 1-line block ×6, first 2 shown]
	s_mov_b32 s7, 0
	v_mul_f64 v[20:21], v[16:17], v[18:19]
	v_mov_b32_e32 v18, 0
	v_mov_b32_e32 v19, 0x3ff00000
.LBB0_40:                               ; =>This Inner Loop Header: Depth=1
	v_mul_f64 v[24:25], v[20:21], v[24:25]
	v_add_f64 v[26:27], v[26:27], 1.0
	v_mul_f64 v[16:17], v[20:21], v[16:17]
	v_div_scale_f64 v[28:29], null, v[26:27], v[26:27], v[24:25]
	v_div_scale_f64 v[34:35], vcc_lo, v[24:25], v[26:27], v[24:25]
	v_rcp_f64_e32 v[30:31], v[28:29]
	v_fma_f64 v[32:33], -v[28:29], v[30:31], 1.0
	v_fma_f64 v[30:31], v[30:31], v[32:33], v[30:31]
	v_fma_f64 v[32:33], -v[28:29], v[30:31], 1.0
	v_fma_f64 v[30:31], v[30:31], v[32:33], v[30:31]
	v_mul_f64 v[32:33], v[34:35], v[30:31]
	v_fma_f64 v[28:29], -v[28:29], v[32:33], v[34:35]
	v_div_fmas_f64 v[28:29], v[28:29], v[30:31], v[32:33]
	v_add_f64 v[30:31], v[26:27], 1.0
	v_div_fixup_f64 v[24:25], v[28:29], v[26:27], v[24:25]
	v_div_scale_f64 v[26:27], null, v[30:31], v[30:31], v[16:17]
	v_div_scale_f64 v[50:51], vcc_lo, v[16:17], v[30:31], v[16:17]
	v_div_scale_f64 v[28:29], null, v[30:31], v[30:31], v[24:25]
	v_rcp_f64_e32 v[32:33], v[26:27]
	v_rcp_f64_e32 v[34:35], v[28:29]
	v_fma_f64 v[38:39], -v[26:27], v[32:33], 1.0
	v_fma_f64 v[48:49], -v[28:29], v[34:35], 1.0
	v_fma_f64 v[32:33], v[32:33], v[38:39], v[32:33]
	v_fma_f64 v[34:35], v[34:35], v[48:49], v[34:35]
	v_fma_f64 v[38:39], -v[26:27], v[32:33], 1.0
	v_fma_f64 v[48:49], -v[28:29], v[34:35], 1.0
	v_fma_f64 v[32:33], v[32:33], v[38:39], v[32:33]
	v_div_scale_f64 v[38:39], s5, v[24:25], v[30:31], v[24:25]
	v_fma_f64 v[34:35], v[34:35], v[48:49], v[34:35]
	v_mul_f64 v[48:49], v[50:51], v[32:33]
	v_mul_f64 v[52:53], v[38:39], v[34:35]
	v_fma_f64 v[26:27], -v[26:27], v[48:49], v[50:51]
	v_fma_f64 v[28:29], -v[28:29], v[52:53], v[38:39]
	v_div_fmas_f64 v[32:33], v[26:27], v[32:33], v[48:49]
	s_mov_b32 vcc_lo, s5
	v_div_fmas_f64 v[26:27], v[28:29], v[34:35], v[52:53]
	v_div_fixup_f64 v[16:17], v[32:33], v[30:31], v[16:17]
	v_div_fixup_f64 v[24:25], v[26:27], v[30:31], v[24:25]
	v_add_f64 v[26:27], v[30:31], 1.0
	v_add_f64 v[18:19], v[18:19], v[24:25]
	v_div_scale_f64 v[28:29], null, v[26:27], v[26:27], v[16:17]
	v_div_scale_f64 v[50:51], vcc_lo, v[16:17], v[26:27], v[16:17]
	v_div_scale_f64 v[30:31], null, v[18:19], v[18:19], v[24:25]
	v_rcp_f64_e32 v[32:33], v[28:29]
	v_rcp_f64_e32 v[34:35], v[30:31]
	v_fma_f64 v[38:39], -v[28:29], v[32:33], 1.0
	v_fma_f64 v[48:49], -v[30:31], v[34:35], 1.0
	v_fma_f64 v[32:33], v[32:33], v[38:39], v[32:33]
	v_fma_f64 v[34:35], v[34:35], v[48:49], v[34:35]
	v_fma_f64 v[38:39], -v[28:29], v[32:33], 1.0
	v_fma_f64 v[48:49], -v[30:31], v[34:35], 1.0
	v_fma_f64 v[32:33], v[32:33], v[38:39], v[32:33]
	v_div_scale_f64 v[38:39], s5, v[24:25], v[18:19], v[24:25]
	v_fma_f64 v[34:35], v[34:35], v[48:49], v[34:35]
	v_mul_f64 v[48:49], v[50:51], v[32:33]
	v_mul_f64 v[52:53], v[38:39], v[34:35]
	v_fma_f64 v[28:29], -v[28:29], v[48:49], v[50:51]
	v_fma_f64 v[30:31], -v[30:31], v[52:53], v[38:39]
	v_div_fmas_f64 v[28:29], v[28:29], v[32:33], v[48:49]
	s_mov_b32 vcc_lo, s5
	v_div_fmas_f64 v[30:31], v[30:31], v[34:35], v[52:53]
	v_div_fixup_f64 v[16:17], v[28:29], v[26:27], v[16:17]
	v_div_fixup_f64 v[30:31], v[30:31], v[18:19], v[24:25]
	v_add_f64 v[22:23], v[22:23], v[16:17]
	v_cmp_nlt_f64_e64 s5, 0x3cb00000, |v[30:31]|
	s_or_b32 s7, s5, s7
	s_andn2_b32 exec_lo, exec_lo, s7
	s_cbranch_execnz .LBB0_40
; %bb.41:
	s_or_b32 exec_lo, exec_lo, s7
	s_mov_b32 s10, 0x42b70f8b
	s_mov_b32 s11, 0xbfd0907f
	v_mul_f64 v[16:17], v[22:23], s[10:11]
	s_mov_b32 s10, 0x962715b8
	s_mov_b32 s11, 0x3fd6b8c7
	v_fma_f64 v[16:17], v[18:19], s[10:11], v[16:17]
	v_cndmask_b32_e64 v15, v15, v17, s9
	v_cndmask_b32_e64 v14, v14, v16, s9
.LBB0_42:
	s_or_b32 exec_lo, exec_lo, s6
                                        ; implicit-def: $vgpr16_vgpr17
.LBB0_43:
	s_andn2_saveexec_b32 s46, s8
	s_cbranch_execz .LBB0_53
; %bb.44:
	v_cmp_lt_f64_e32 vcc_lo, 0x90000000, v[16:17]
	s_mov_b32 s7, 0x3fe921fb
	s_mov_b32 s6, 0x54442d18
                                        ; implicit-def: $vgpr39
                                        ; implicit-def: $vgpr26_vgpr27
	v_cndmask_b32_e64 v14, 0, 0x100, vcc_lo
	v_ldexp_f64 v[14:15], -v[16:17], v14
	v_mul_f64 v[16:17], v[16:17], -2.0
	v_rsq_f64_e32 v[18:19], v[14:15]
	v_mul_f64 v[20:21], v[14:15], v[18:19]
	v_mul_f64 v[18:19], v[18:19], 0.5
	v_fma_f64 v[22:23], -v[18:19], v[20:21], 0.5
	v_fma_f64 v[20:21], v[20:21], v[22:23], v[20:21]
	v_fma_f64 v[18:19], v[18:19], v[22:23], v[18:19]
	v_fma_f64 v[22:23], -v[20:21], v[20:21], v[14:15]
	v_fma_f64 v[20:21], v[22:23], v[18:19], v[20:21]
	v_fma_f64 v[22:23], -v[20:21], v[20:21], v[14:15]
	v_fma_f64 v[18:19], v[22:23], v[18:19], v[20:21]
	v_cndmask_b32_e64 v20, 0, 0xffffff80, vcc_lo
	v_cmp_class_f64_e64 vcc_lo, v[14:15], 0x260
	v_ldexp_f64 v[18:19], v[18:19], v20
	v_cndmask_b32_e32 v15, v19, v15, vcc_lo
	v_cndmask_b32_e32 v14, v18, v14, vcc_lo
	v_mul_f64 v[16:17], v[16:17], v[14:15]
	v_div_scale_f64 v[18:19], null, 0x40080000, 0x40080000, v[16:17]
	v_div_scale_f64 v[24:25], vcc_lo, v[16:17], 0x40080000, v[16:17]
	v_rcp_f64_e32 v[20:21], v[18:19]
	v_fma_f64 v[22:23], -v[18:19], v[20:21], 1.0
	v_fma_f64 v[20:21], v[20:21], v[22:23], v[20:21]
	v_fma_f64 v[22:23], -v[18:19], v[20:21], 1.0
	v_fma_f64 v[20:21], v[20:21], v[22:23], v[20:21]
	v_mul_f64 v[22:23], v[24:25], v[20:21]
	v_fma_f64 v[18:19], -v[18:19], v[22:23], v[24:25]
	v_div_fmas_f64 v[18:19], v[18:19], v[20:21], v[22:23]
                                        ; implicit-def: $vgpr22_vgpr23
	v_div_fixup_f64 v[16:17], v[18:19], 0x40080000, v[16:17]
	v_add_f64 v[18:19], v[16:17], s[6:7]
	v_cmp_ngt_f64_e64 s5, 0x41d00000, |v[18:19]|
	v_trig_preop_f64 v[32:33], |v[18:19]|, 0
	v_trig_preop_f64 v[30:31], |v[18:19]|, 1
	v_ldexp_f64 v[34:35], |v[18:19]|, 0xffffff80
	v_trig_preop_f64 v[28:29], |v[18:19]|, 2
	v_and_b32_e32 v48, 0x7fffffff, v19
	s_and_saveexec_b32 s7, s5
	s_xor_b32 s8, exec_lo, s7
	s_cbranch_execz .LBB0_46
; %bb.45:
	v_cmp_le_f64_e64 vcc_lo, 0x7b000000, |v[18:19]|
	v_mov_b32_e32 v68, 0
	s_mov_b32 s7, 0x3ff921fb
	s_mov_b32 s10, 0x33145c07
	;; [unrolled: 1-line block ×3, first 2 shown]
	v_cndmask_b32_e32 v21, v48, v35, vcc_lo
	v_cndmask_b32_e32 v20, v18, v34, vcc_lo
	v_mul_f64 v[22:23], v[32:33], v[20:21]
	v_mul_f64 v[24:25], v[30:31], v[20:21]
	;; [unrolled: 1-line block ×3, first 2 shown]
	v_fma_f64 v[26:27], v[32:33], v[20:21], -v[22:23]
	v_fma_f64 v[66:67], v[30:31], v[20:21], -v[24:25]
	;; [unrolled: 1-line block ×3, first 2 shown]
	v_add_f64 v[38:39], v[24:25], v[26:27]
	v_add_f64 v[49:50], v[38:39], -v[24:25]
	v_add_f64 v[53:54], v[22:23], v[38:39]
	v_add_f64 v[51:52], v[38:39], -v[49:50]
	v_add_f64 v[26:27], v[26:27], -v[49:50]
	v_ldexp_f64 v[49:50], v[53:54], -2
	v_add_f64 v[22:23], v[53:54], -v[22:23]
	v_add_f64 v[24:25], v[24:25], -v[51:52]
	v_add_f64 v[51:52], v[64:65], v[66:67]
	v_cmp_neq_f64_e64 vcc_lo, 0x7ff00000, |v[49:50]|
	v_add_f64 v[22:23], v[38:39], -v[22:23]
	v_add_f64 v[24:25], v[26:27], v[24:25]
	v_fract_f64_e32 v[26:27], v[49:50]
	v_add_f64 v[38:39], v[51:52], v[24:25]
	v_ldexp_f64 v[26:27], v[26:27], 2
	v_add_f64 v[49:50], v[22:23], v[38:39]
	v_cndmask_b32_e32 v27, 0, v27, vcc_lo
	v_cndmask_b32_e32 v26, 0, v26, vcc_lo
	v_add_f64 v[53:54], v[49:50], v[26:27]
	v_add_f64 v[22:23], v[49:50], -v[22:23]
	v_cmp_gt_f64_e32 vcc_lo, 0, v[53:54]
	v_add_f64 v[53:54], v[51:52], -v[64:65]
	v_add_f64 v[22:23], v[38:39], -v[22:23]
	v_cndmask_b32_e64 v69, 0, 0x40100000, vcc_lo
	v_add_f64 v[82:83], v[51:52], -v[53:54]
	v_add_f64 v[53:54], v[66:67], -v[53:54]
	v_add_f64 v[26:27], v[26:27], v[68:69]
	v_add_f64 v[69:70], v[38:39], -v[51:52]
	v_add_f64 v[66:67], v[64:65], -v[82:83]
	v_add_f64 v[80:81], v[49:50], v[26:27]
	;; [unrolled: 3-line block ×3, first 2 shown]
	v_cvt_i32_f64_e32 v55, v[80:81]
	v_add_f64 v[51:52], v[51:52], -v[84:85]
	v_cvt_f64_i32_e32 v[69:70], v55
	v_add_f64 v[24:25], v[24:25], v[51:52]
	v_add_f64 v[26:27], v[26:27], -v[69:70]
	v_add_f64 v[24:25], v[53:54], v[24:25]
	v_add_f64 v[51:52], v[49:50], v[26:27]
	;; [unrolled: 1-line block ×3, first 2 shown]
	v_add_f64 v[24:25], v[51:52], -v[26:27]
	v_cmp_le_f64_e32 vcc_lo, 0.5, v[51:52]
	v_add_f64 v[20:21], v[22:23], v[20:21]
	v_add_f64 v[22:23], v[49:50], -v[24:25]
	v_cndmask_b32_e64 v69, 0, 0x3ff00000, vcc_lo
	v_add_co_ci_u32_e64 v39, null, 0, v55, vcc_lo
	v_add_f64 v[20:21], v[20:21], v[22:23]
	v_add_f64 v[22:23], v[51:52], -v[68:69]
	v_add_f64 v[24:25], v[22:23], v[20:21]
	v_mul_f64 v[26:27], v[24:25], s[6:7]
	v_add_f64 v[22:23], v[24:25], -v[22:23]
	v_fma_f64 v[49:50], v[24:25], s[6:7], -v[26:27]
	v_add_f64 v[20:21], v[20:21], -v[22:23]
	v_fma_f64 v[22:23], v[24:25], s[10:11], v[49:50]
	v_fma_f64 v[20:21], v[20:21], s[6:7], v[22:23]
	v_add_f64 v[22:23], v[26:27], v[20:21]
	v_add_f64 v[24:25], v[22:23], -v[26:27]
	v_add_f64 v[26:27], v[20:21], -v[24:25]
	s_andn2_saveexec_b32 s6, s8
	s_cbranch_execz .LBB0_48
	s_branch .LBB0_47
.LBB0_46:
	s_andn2_saveexec_b32 s6, s8
	s_cbranch_execz .LBB0_48
.LBB0_47:
	s_mov_b32 s8, 0x6dc9c883
	s_mov_b32 s9, 0x3fe45f30
	;; [unrolled: 1-line block ×3, first 2 shown]
	v_mul_f64 v[20:21], |v[18:19]|, s[8:9]
	s_mov_b32 s8, 0x54442d18
	s_mov_b32 s9, 0xbff921fb
	;; [unrolled: 1-line block ×3, first 2 shown]
	v_rndne_f64_e32 v[20:21], v[20:21]
	v_fma_f64 v[22:23], v[20:21], s[8:9], |v[18:19]|
	v_mul_f64 v[24:25], v[20:21], s[10:11]
	s_mov_b32 s8, 0x252049c0
	s_mov_b32 s9, 0xb97b839a
	v_fma_f64 v[38:39], v[20:21], s[10:11], v[22:23]
	v_add_f64 v[26:27], v[22:23], v[24:25]
	s_mov_b32 s11, 0x3c91a626
	v_add_f64 v[22:23], v[22:23], -v[26:27]
	v_add_f64 v[26:27], v[26:27], -v[38:39]
	v_add_f64 v[22:23], v[22:23], v[24:25]
	v_fma_f64 v[24:25], v[20:21], s[10:11], v[24:25]
	v_add_f64 v[22:23], v[26:27], v[22:23]
	v_add_f64 v[22:23], v[22:23], -v[24:25]
	v_fma_f64 v[24:25], v[20:21], s[8:9], v[22:23]
	v_add_f64 v[22:23], v[38:39], v[24:25]
	v_add_f64 v[26:27], v[22:23], -v[38:39]
	v_cvt_i32_f64_e32 v39, v[20:21]
	v_add_f64 v[26:27], v[24:25], -v[26:27]
.LBB0_48:
	s_or_b32 exec_lo, exec_lo, s6
                                        ; implicit-def: $vgpr38
                                        ; implicit-def: $vgpr20_vgpr21
                                        ; implicit-def: $vgpr24_vgpr25
	s_and_saveexec_b32 s6, s5
	s_xor_b32 s5, exec_lo, s6
	s_cbranch_execz .LBB0_50
; %bb.49:
	v_cmp_le_f64_e64 vcc_lo, 0x7b000000, |v[18:19]|
	v_mov_b32_e32 v66, 0
	s_mov_b32 s6, 0x54442d18
	s_mov_b32 s7, 0x3ff921fb
	;; [unrolled: 1-line block ×4, first 2 shown]
	v_cndmask_b32_e32 v21, v48, v35, vcc_lo
	v_cndmask_b32_e32 v20, v18, v34, vcc_lo
	v_mul_f64 v[24:25], v[32:33], v[20:21]
	v_mul_f64 v[34:35], v[30:31], v[20:21]
	;; [unrolled: 1-line block ×3, first 2 shown]
	v_fma_f64 v[32:33], v[32:33], v[20:21], -v[24:25]
	v_fma_f64 v[30:31], v[30:31], v[20:21], -v[34:35]
	;; [unrolled: 1-line block ×3, first 2 shown]
	v_add_f64 v[48:49], v[34:35], v[32:33]
	v_add_f64 v[50:51], v[48:49], -v[34:35]
	v_add_f64 v[54:55], v[24:25], v[48:49]
	v_add_f64 v[52:53], v[48:49], -v[50:51]
	v_add_f64 v[32:33], v[32:33], -v[50:51]
	v_ldexp_f64 v[50:51], v[54:55], -2
	v_add_f64 v[24:25], v[54:55], -v[24:25]
	v_add_f64 v[34:35], v[34:35], -v[52:53]
	v_add_f64 v[52:53], v[64:65], v[30:31]
	v_cmp_neq_f64_e64 vcc_lo, 0x7ff00000, |v[50:51]|
	v_add_f64 v[24:25], v[48:49], -v[24:25]
	v_add_f64 v[32:33], v[32:33], v[34:35]
	v_fract_f64_e32 v[34:35], v[50:51]
	v_add_f64 v[48:49], v[52:53], v[32:33]
	v_ldexp_f64 v[34:35], v[34:35], 2
	v_add_f64 v[50:51], v[24:25], v[48:49]
	v_cndmask_b32_e32 v35, 0, v35, vcc_lo
	v_cndmask_b32_e32 v34, 0, v34, vcc_lo
	v_add_f64 v[54:55], v[50:51], v[34:35]
	v_add_f64 v[24:25], v[50:51], -v[24:25]
	v_cmp_gt_f64_e32 vcc_lo, 0, v[54:55]
	v_add_f64 v[54:55], v[52:53], -v[64:65]
	v_add_f64 v[24:25], v[48:49], -v[24:25]
	v_cndmask_b32_e64 v67, 0, 0x40100000, vcc_lo
	v_add_f64 v[80:81], v[52:53], -v[54:55]
	v_add_f64 v[30:31], v[30:31], -v[54:55]
	v_add_f64 v[34:35], v[34:35], v[66:67]
	v_add_f64 v[67:68], v[48:49], -v[52:53]
	v_add_f64 v[54:55], v[64:65], -v[80:81]
	v_add_f64 v[69:70], v[50:51], v[34:35]
	v_add_f64 v[82:83], v[48:49], -v[67:68]
	v_add_f64 v[32:33], v[32:33], -v[67:68]
	v_add_f64 v[30:31], v[30:31], v[54:55]
	v_cvt_i32_f64_e32 v38, v[69:70]
	v_add_f64 v[52:53], v[52:53], -v[82:83]
	v_cvt_f64_i32_e32 v[67:68], v38
	v_add_f64 v[32:33], v[32:33], v[52:53]
	v_add_f64 v[34:35], v[34:35], -v[67:68]
	v_add_f64 v[28:29], v[30:31], v[32:33]
	v_add_f64 v[30:31], v[50:51], v[34:35]
	;; [unrolled: 1-line block ×3, first 2 shown]
	v_add_f64 v[28:29], v[30:31], -v[34:35]
	v_cmp_le_f64_e32 vcc_lo, 0.5, v[30:31]
	v_add_f64 v[20:21], v[24:25], v[20:21]
	v_add_f64 v[24:25], v[50:51], -v[28:29]
	v_cndmask_b32_e64 v67, 0, 0x3ff00000, vcc_lo
	v_add_co_ci_u32_e64 v38, null, 0, v38, vcc_lo
	v_add_f64 v[20:21], v[20:21], v[24:25]
	v_add_f64 v[24:25], v[30:31], -v[66:67]
	v_add_f64 v[28:29], v[24:25], v[20:21]
	v_mul_f64 v[30:31], v[28:29], s[6:7]
	v_add_f64 v[24:25], v[28:29], -v[24:25]
	v_fma_f64 v[32:33], v[28:29], s[6:7], -v[30:31]
	v_add_f64 v[20:21], v[20:21], -v[24:25]
	v_fma_f64 v[24:25], v[28:29], s[8:9], v[32:33]
	v_fma_f64 v[24:25], v[20:21], s[6:7], v[24:25]
	v_add_f64 v[20:21], v[30:31], v[24:25]
	v_add_f64 v[28:29], v[20:21], -v[30:31]
	v_add_f64 v[24:25], v[24:25], -v[28:29]
	s_andn2_saveexec_b32 s5, s5
	s_cbranch_execnz .LBB0_51
	s_branch .LBB0_52
.LBB0_50:
	s_andn2_saveexec_b32 s5, s5
	s_cbranch_execz .LBB0_52
.LBB0_51:
	s_mov_b32 s6, 0x6dc9c883
	s_mov_b32 s7, 0x3fe45f30
	;; [unrolled: 1-line block ×3, first 2 shown]
	v_mul_f64 v[20:21], |v[18:19]|, s[6:7]
	s_mov_b32 s6, 0x54442d18
	s_mov_b32 s7, 0xbff921fb
	;; [unrolled: 1-line block ×3, first 2 shown]
	v_rndne_f64_e32 v[28:29], v[20:21]
	v_fma_f64 v[20:21], v[28:29], s[6:7], |v[18:19]|
	v_mul_f64 v[24:25], v[28:29], s[8:9]
	s_mov_b32 s6, 0x252049c0
	s_mov_b32 s7, 0xb97b839a
	v_cvt_i32_f64_e32 v38, v[28:29]
	v_fma_f64 v[32:33], v[28:29], s[8:9], v[20:21]
	v_add_f64 v[30:31], v[20:21], v[24:25]
	s_mov_b32 s9, 0x3c91a626
	v_add_f64 v[20:21], v[20:21], -v[30:31]
	v_add_f64 v[30:31], v[30:31], -v[32:33]
	v_add_f64 v[20:21], v[20:21], v[24:25]
	v_fma_f64 v[24:25], v[28:29], s[8:9], v[24:25]
	v_add_f64 v[20:21], v[30:31], v[20:21]
	v_add_f64 v[20:21], v[20:21], -v[24:25]
	v_fma_f64 v[24:25], v[28:29], s[6:7], v[20:21]
	v_add_f64 v[20:21], v[32:33], v[24:25]
	v_add_f64 v[30:31], v[20:21], -v[32:33]
	v_add_f64 v[24:25], v[24:25], -v[30:31]
.LBB0_52:
	s_or_b32 exec_lo, exec_lo, s5
	v_div_scale_f64 v[28:29], null, v[16:17], v[16:17], 1.0
	s_mov_b32 s6, 0xd50ae6fb
	s_mov_b32 s7, 0xbfc0db6c
	;; [unrolled: 1-line block ×20, first 2 shown]
	v_rcp_f64_e32 v[30:31], v[28:29]
	s_mov_b32 s26, 0x11110bb3
	s_mov_b32 s27, 0x3f811111
	;; [unrolled: 1-line block ×4, first 2 shown]
	v_cmp_class_f64_e64 s5, v[18:19], 0x1f8
	s_mov_b32 s40, 0xddcfbbde
	s_mov_b32 s41, 0x3f943525
	v_fma_f64 v[32:33], -v[28:29], v[30:31], 1.0
	v_fma_f64 v[30:31], v[30:31], v[32:33], v[30:31]
	v_fma_f64 v[32:33], -v[28:29], v[30:31], 1.0
	v_fma_f64 v[30:31], v[30:31], v[32:33], v[30:31]
	v_div_scale_f64 v[32:33], vcc_lo, 1.0, v[16:17], 1.0
	v_mul_f64 v[34:35], v[32:33], v[30:31]
	v_fma_f64 v[28:29], -v[28:29], v[34:35], v[32:33]
	v_div_fmas_f64 v[28:29], v[28:29], v[30:31], v[34:35]
	v_mul_f64 v[34:35], v[22:23], v[22:23]
	v_div_fixup_f64 v[16:17], v[28:29], v[16:17], 1.0
	v_mul_f64 v[48:49], v[34:35], 0.5
	v_mul_f64 v[28:29], v[16:17], v[16:17]
	v_add_f64 v[50:51], -v[48:49], 1.0
	v_fma_f64 v[30:31], v[28:29], 0, s[6:7]
	s_mov_b32 s6, 0x98566852
	s_mov_b32 s7, 0xbfe40bee
	v_add_f64 v[52:53], -v[50:51], 1.0
	v_fma_f64 v[30:31], v[28:29], v[30:31], s[6:7]
	s_mov_b32 s6, 0xc2f79f7d
	s_mov_b32 s7, 0xbfe62e59
	v_add_f64 v[48:49], v[52:53], -v[48:49]
	v_mul_f64 v[52:53], v[34:35], v[34:35]
	v_fma_f64 v[30:31], v[28:29], v[30:31], s[6:7]
	s_mov_b32 s6, 0x4bb3f40b
	s_mov_b32 s7, 0xbfd1e7ea
	v_fma_f64 v[48:49], v[22:23], -v[26:27], v[48:49]
	v_fma_f64 v[30:31], v[28:29], v[30:31], s[6:7]
	s_mov_b32 s6, 0xf47dbd8a
	s_mov_b32 s7, 0xbfa92f6e
	v_fma_f64 v[30:31], v[28:29], v[30:31], s[6:7]
	s_mov_b32 s6, 0xc8d9e090
	s_mov_b32 s7, 0xbf70a401
	;; [unrolled: 3-line block ×15, first 2 shown]
	v_fma_f64 v[54:55], v[34:35], s[8:9], s[6:7]
	v_fma_f64 v[54:55], v[34:35], v[54:55], s[10:11]
	;; [unrolled: 1-line block ×6, first 2 shown]
	v_mul_f64 v[52:53], v[22:23], -v[34:35]
	v_mul_f64 v[54:55], v[26:27], 0.5
	v_add_f64 v[48:49], v[50:51], v[48:49]
	v_fma_f64 v[50:51], v[34:35], s[20:21], s[18:19]
	v_fma_f64 v[50:51], v[34:35], v[50:51], s[22:23]
	;; [unrolled: 1-line block ×5, first 2 shown]
	v_fma_f64 v[26:27], v[34:35], v[50:51], -v[26:27]
	v_fma_f64 v[26:27], v[52:53], s[28:29], v[26:27]
	v_add_f64 v[22:23], v[22:23], -v[26:27]
	v_and_b32_e32 v26, 1, v39
	v_cmp_eq_u32_e32 vcc_lo, 0, v26
	v_lshlrev_b32_e32 v26, 30, v39
	v_xor_b32_e32 v26, v26, v19
	v_and_b32_e32 v26, 0x80000000, v26
	v_cndmask_b32_e32 v23, v49, v23, vcc_lo
	v_cndmask_b32_e32 v22, v48, v22, vcc_lo
	v_xor_b32_e32 v23, v23, v26
	v_cndmask_b32_e64 v18, 0, v22, s5
	v_cndmask_b32_e64 v19, 0x7ff80000, v23, s5
	v_mul_f64 v[22:23], v[28:29], v[30:31]
	v_div_scale_f64 v[26:27], null, v[32:33], v[32:33], v[22:23]
	v_rcp_f64_e32 v[30:31], v[26:27]
	v_fma_f64 v[34:35], -v[26:27], v[30:31], 1.0
	v_fma_f64 v[30:31], v[30:31], v[34:35], v[30:31]
	v_fma_f64 v[34:35], -v[26:27], v[30:31], 1.0
	v_fma_f64 v[30:31], v[30:31], v[34:35], v[30:31]
	v_div_scale_f64 v[34:35], vcc_lo, v[22:23], v[32:33], v[22:23]
	v_mul_f64 v[48:49], v[34:35], v[30:31]
	v_fma_f64 v[26:27], -v[26:27], v[48:49], v[34:35]
	v_div_fmas_f64 v[26:27], v[26:27], v[30:31], v[48:49]
	v_cmp_gt_f64_e32 vcc_lo, 0x10000000, v[14:15]
	v_div_fixup_f64 v[22:23], v[26:27], v[32:33], v[22:23]
	v_fma_f64 v[26:27], v[28:29], 0, s[40:41]
	s_mov_b32 s40, 0x6437b7
	s_mov_b32 s41, 0x3fd907d5
	v_add_f64 v[22:23], v[22:23], 1.0
	v_fma_f64 v[26:27], v[28:29], v[26:27], s[40:41]
	s_mov_b32 s40, 0x3a2034eb
	s_mov_b32 s41, 0x3ff10d83
	v_fma_f64 v[26:27], v[28:29], v[26:27], s[40:41]
	s_mov_b32 s40, 0xa0ef1acb
	s_mov_b32 s41, 0x3fee0dac
	v_fma_f64 v[26:27], v[28:29], v[26:27], s[40:41]
	s_mov_b32 s40, 0xcea8fe1d
	s_mov_b32 s41, 0x3fd67e69
	v_fma_f64 v[26:27], v[28:29], v[26:27], s[40:41]
	s_mov_b32 s40, 0x21e90978
	s_mov_b32 s41, 0x3fb03a41
	v_fma_f64 v[26:27], v[28:29], v[26:27], s[40:41]
	s_mov_b32 s40, 0xf12f5043
	s_mov_b32 s41, 0x3f77fe99
	v_fma_f64 v[26:27], v[28:29], v[26:27], s[40:41]
	s_mov_b32 s40, 0x600e17a2
	s_mov_b32 s41, 0x3f328976
	v_fma_f64 v[26:27], v[28:29], v[26:27], s[40:41]
	s_mov_b32 s40, 0x69f8574e
	s_mov_b32 s41, 0x3edd4f3d
	v_fma_f64 v[26:27], v[28:29], v[26:27], s[40:41]
	s_mov_b32 s40, 0xbbad11c8
	s_mov_b32 s41, 0x3e75ca92
	v_fma_f64 v[26:27], v[28:29], v[26:27], s[40:41]
	s_mov_b32 s40, 0x7d97ee7a
	s_mov_b32 s41, 0x3df778a4
	v_fma_f64 v[26:27], v[28:29], v[26:27], s[40:41]
	s_mov_b32 s40, 0xf3d56b40
	s_mov_b32 s41, 0x40229e2b
	v_fma_f64 v[30:31], v[28:29], 0, s[40:41]
	s_mov_b32 s40, 0xc0ef18d4
	s_mov_b32 s41, 0x4033d5d5
	v_mul_f64 v[16:17], v[16:17], v[26:27]
	v_fma_f64 v[30:31], v[28:29], v[30:31], s[40:41]
	s_mov_b32 s40, 0x7ea7dc35
	s_mov_b32 s41, 0x402f211b
	v_fma_f64 v[30:31], v[28:29], v[30:31], s[40:41]
	s_mov_b32 s40, 0x2b79dbce
	s_mov_b32 s41, 0x4015e84e
	v_fma_f64 v[30:31], v[28:29], v[30:31], s[40:41]
	s_mov_b32 s40, 0xc195ece3
	s_mov_b32 s41, 0x3fee8992
	v_fma_f64 v[30:31], v[28:29], v[30:31], s[40:41]
	s_mov_b32 s40, 0xed64a9ee
	s_mov_b32 s41, 0x3fb6221d
	v_fma_f64 v[30:31], v[28:29], v[30:31], s[40:41]
	s_mov_b32 s40, 0x6be393bb
	s_mov_b32 s41, 0x3f70e704
	v_fma_f64 v[30:31], v[28:29], v[30:31], s[40:41]
	s_mov_b32 s40, 0xd603a5a0
	s_mov_b32 s41, 0x3f1a8b61
	v_fma_f64 v[30:31], v[28:29], v[30:31], s[40:41]
	s_mov_b32 s40, 0xdb0724e8
	s_mov_b32 s41, 0x3eb3a845
	v_fma_f64 v[30:31], v[28:29], v[30:31], s[40:41]
	s_mov_b32 s40, 0x3dd589d4
	s_mov_b32 s41, 0x3e351fc7
	v_fma_f64 v[28:29], v[28:29], v[30:31], s[40:41]
	v_cndmask_b32_e64 v30, 0, 0x100, vcc_lo
	s_mov_b32 s40, 0x50429b6d
	s_mov_b32 s41, 0x3fe20dd7
	v_ldexp_f64 v[14:15], v[14:15], v30
	v_rsq_f64_e32 v[30:31], v[14:15]
	v_mul_f64 v[32:33], v[14:15], v[30:31]
	v_mul_f64 v[30:31], v[30:31], 0.5
	v_fma_f64 v[34:35], -v[30:31], v[32:33], 0.5
	v_fma_f64 v[32:33], v[32:33], v[34:35], v[32:33]
	v_fma_f64 v[30:31], v[30:31], v[34:35], v[30:31]
	v_fma_f64 v[48:49], -v[32:33], v[32:33], v[14:15]
	v_fma_f64 v[32:33], v[48:49], v[30:31], v[32:33]
	v_fma_f64 v[34:35], -v[32:33], v[32:33], v[14:15]
	v_fma_f64 v[30:31], v[34:35], v[30:31], v[32:33]
	v_cndmask_b32_e64 v32, 0, 0xffffff80, vcc_lo
	v_cmp_class_f64_e64 vcc_lo, v[14:15], 0x260
	v_ldexp_f64 v[30:31], v[30:31], v32
	v_cndmask_b32_e32 v15, v31, v15, vcc_lo
	v_cndmask_b32_e32 v14, v30, v14, vcc_lo
	v_div_scale_f64 v[30:31], null, v[14:15], v[14:15], s[40:41]
	v_rcp_f64_e32 v[32:33], v[30:31]
	v_fma_f64 v[34:35], -v[30:31], v[32:33], 1.0
	v_fma_f64 v[32:33], v[32:33], v[34:35], v[32:33]
	v_fma_f64 v[34:35], -v[30:31], v[32:33], 1.0
	v_fma_f64 v[32:33], v[32:33], v[34:35], v[32:33]
	v_div_scale_f64 v[34:35], vcc_lo, s[40:41], v[14:15], s[40:41]
	v_mul_f64 v[48:49], v[34:35], v[32:33]
	v_fma_f64 v[30:31], -v[30:31], v[48:49], v[34:35]
	v_div_fmas_f64 v[30:31], v[30:31], v[32:33], v[48:49]
	v_div_fixup_f64 v[14:15], v[30:31], v[14:15], s[40:41]
	v_mul_f64 v[30:31], v[20:21], v[20:21]
	v_mul_f64 v[32:33], v[30:31], 0.5
	v_fma_f64 v[50:51], v[30:31], s[8:9], s[6:7]
	v_add_f64 v[34:35], -v[32:33], 1.0
	v_fma_f64 v[50:51], v[30:31], v[50:51], s[10:11]
	v_add_f64 v[48:49], -v[34:35], 1.0
	v_fma_f64 v[50:51], v[30:31], v[50:51], s[12:13]
	v_add_f64 v[32:33], v[48:49], -v[32:33]
	v_fma_f64 v[50:51], v[30:31], v[50:51], s[14:15]
	v_mul_f64 v[48:49], v[30:31], v[30:31]
	v_fma_f64 v[32:33], v[20:21], -v[24:25], v[32:33]
	v_fma_f64 v[50:51], v[30:31], v[50:51], s[16:17]
	v_fma_f64 v[32:33], v[48:49], v[50:51], v[32:33]
	v_mul_f64 v[48:49], v[20:21], -v[30:31]
	v_mul_f64 v[50:51], v[24:25], 0.5
	v_add_f64 v[32:33], v[34:35], v[32:33]
	v_fma_f64 v[34:35], v[30:31], s[20:21], s[18:19]
	v_fma_f64 v[34:35], v[30:31], v[34:35], s[22:23]
	;; [unrolled: 1-line block ×5, first 2 shown]
	v_fma_f64 v[24:25], v[30:31], v[34:35], -v[24:25]
	v_fma_f64 v[24:25], v[48:49], s[28:29], v[24:25]
	v_add_f64 v[20:21], v[20:21], -v[24:25]
	v_and_b32_e32 v24, 1, v38
	v_cmp_eq_u32_e32 vcc_lo, 0, v24
	v_lshlrev_b32_e32 v24, 30, v38
	v_and_b32_e32 v24, 0x80000000, v24
	v_xor_b32_e32 v21, 0x80000000, v21
	v_cndmask_b32_e32 v20, v20, v32, vcc_lo
	v_cndmask_b32_e32 v21, v21, v33, vcc_lo
	v_cndmask_b32_e64 v20, 0, v20, s5
	v_xor_b32_e32 v21, v21, v24
	v_div_scale_f64 v[24:25], null, v[28:29], v[28:29], v[16:17]
	v_cndmask_b32_e64 v21, 0x7ff80000, v21, s5
	v_rcp_f64_e32 v[26:27], v[24:25]
	v_fma_f64 v[30:31], -v[24:25], v[26:27], 1.0
	v_fma_f64 v[26:27], v[26:27], v[30:31], v[26:27]
	v_fma_f64 v[30:31], -v[24:25], v[26:27], 1.0
	v_fma_f64 v[26:27], v[26:27], v[30:31], v[26:27]
	v_div_scale_f64 v[30:31], vcc_lo, v[16:17], v[28:29], v[16:17]
	v_mul_f64 v[32:33], v[30:31], v[26:27]
	v_fma_f64 v[24:25], -v[24:25], v[32:33], v[30:31]
	v_div_fmas_f64 v[24:25], v[24:25], v[26:27], v[32:33]
	v_div_fixup_f64 v[16:17], v[24:25], v[28:29], v[16:17]
	v_mul_f64 v[16:17], v[16:17], v[20:21]
	v_fma_f64 v[16:17], v[22:23], v[18:19], -v[16:17]
	v_mul_f64 v[14:15], v[14:15], v[16:17]
.LBB0_53:
	s_or_b32 exec_lo, exec_lo, s46
.LBB0_54:
	s_or_b32 exec_lo, exec_lo, s45
.LBB0_55:
	s_or_b32 exec_lo, exec_lo, s44
.LBB0_56:
	s_or_b32 exec_lo, exec_lo, s43
	s_waitcnt vmcnt(0) lgkmcnt(0)
	v_add_nc_u32_e32 v16, 0x200, v36
	s_mov_b32 s43, exec_lo
	v_cmpx_lt_i32_e64 v16, v4
	s_cbranch_execz .LBB0_80
; %bb.57:
	v_mov_b32_e32 v12, 0
	v_mov_b32_e32 v13, 0x7ff80000
	s_mov_b32 s44, exec_lo
	v_cmpx_neq_f64_e64 0x7ff00000, |v[8:9]|
	s_cbranch_execz .LBB0_79
; %bb.58:
	v_mov_b32_e32 v12, 0
	v_mov_b32_e32 v13, 0
	s_mov_b32 s6, 0x872b020c
	s_mov_b32 s7, 0x4059f916
	s_mov_b32 s45, exec_lo
	v_cmpx_nlt_f64_e32 s[6:7], v[8:9]
	s_cbranch_execz .LBB0_78
; %bb.59:
	s_mov_b32 s7, 0xc000b851
	s_mov_b32 s6, 0xeb851eb8
	s_mov_b32 s5, exec_lo
	v_cmpx_ngt_f64_e32 s[6:7], v[8:9]
	s_xor_b32 s8, exec_lo, s5
                                        ; implicit-def: $vgpr12_vgpr13
	s_cbranch_execz .LBB0_67
; %bb.60:
	s_mov_b32 s7, 0x4000b851
	v_mov_b32_e32 v12, 0
	v_cmp_nle_f64_e64 s9, s[6:7], v[8:9]
	v_cmp_le_f64_e32 vcc_lo, s[6:7], v[8:9]
	v_mov_b32_e32 v13, 0
	s_mov_b32 s5, s9
	s_and_saveexec_b32 s7, vcc_lo
	s_cbranch_execz .LBB0_62
; %bb.61:
	v_cmp_gt_f64_e32 vcc_lo, 0x10000000, v[8:9]
	s_mov_b32 s10, 0x2537b658
	s_mov_b32 s12, 0x2624d31
	;; [unrolled: 1-line block ×4, first 2 shown]
	v_cndmask_b32_e64 v12, 0, 0x100, vcc_lo
	v_ldexp_f64 v[12:13], v[8:9], v12
	v_rsq_f64_e32 v[16:17], v[12:13]
	v_mul_f64 v[18:19], v[12:13], v[16:17]
	v_mul_f64 v[16:17], v[16:17], 0.5
	v_fma_f64 v[20:21], -v[16:17], v[18:19], 0.5
	v_fma_f64 v[18:19], v[18:19], v[20:21], v[18:19]
	v_fma_f64 v[16:17], v[16:17], v[20:21], v[16:17]
	v_fma_f64 v[20:21], -v[18:19], v[18:19], v[12:13]
	v_fma_f64 v[18:19], v[20:21], v[16:17], v[18:19]
	v_fma_f64 v[20:21], -v[18:19], v[18:19], v[12:13]
	v_fma_f64 v[16:17], v[20:21], v[16:17], v[18:19]
	v_cndmask_b32_e64 v18, 0, 0xffffff80, vcc_lo
	v_cmp_class_f64_e64 vcc_lo, v[12:13], 0x260
	v_ldexp_f64 v[16:17], v[16:17], v18
	v_add_f64 v[18:19], v[8:9], v[8:9]
	v_cndmask_b32_e32 v13, v17, v13, vcc_lo
	v_cndmask_b32_e32 v12, v16, v12, vcc_lo
	v_mul_f64 v[16:17], v[18:19], v[12:13]
	v_div_scale_f64 v[18:19], null, 0x40080000, 0x40080000, v[16:17]
	v_div_scale_f64 v[24:25], vcc_lo, v[16:17], 0x40080000, v[16:17]
	v_rcp_f64_e32 v[20:21], v[18:19]
	v_fma_f64 v[22:23], -v[18:19], v[20:21], 1.0
	v_fma_f64 v[20:21], v[20:21], v[22:23], v[20:21]
	v_fma_f64 v[22:23], -v[18:19], v[20:21], 1.0
	v_fma_f64 v[20:21], v[20:21], v[22:23], v[20:21]
	v_mul_f64 v[22:23], v[24:25], v[20:21]
	v_fma_f64 v[18:19], -v[18:19], v[22:23], v[24:25]
	v_div_fmas_f64 v[18:19], v[18:19], v[20:21], v[22:23]
	v_div_fixup_f64 v[16:17], v[18:19], 0x40080000, v[16:17]
	v_div_scale_f64 v[18:19], null, v[16:17], v[16:17], 1.0
	v_div_scale_f64 v[24:25], vcc_lo, 1.0, v[16:17], 1.0
	v_rcp_f64_e32 v[20:21], v[18:19]
	v_fma_f64 v[22:23], -v[18:19], v[20:21], 1.0
	v_fma_f64 v[20:21], v[20:21], v[22:23], v[20:21]
	v_fma_f64 v[22:23], -v[18:19], v[20:21], 1.0
	v_fma_f64 v[20:21], v[20:21], v[22:23], v[20:21]
	v_mul_f64 v[22:23], v[24:25], v[20:21]
	v_fma_f64 v[18:19], -v[18:19], v[22:23], v[24:25]
	v_div_fmas_f64 v[18:19], v[18:19], v[20:21], v[22:23]
	v_cmp_gt_f64_e32 vcc_lo, 0x10000000, v[12:13]
	v_div_fixup_f64 v[18:19], v[18:19], v[16:17], 1.0
	v_cndmask_b32_e64 v30, 0, 0x100, vcc_lo
	v_ldexp_f64 v[12:13], v[12:13], v30
	v_fma_f64 v[20:21], v[18:19], 0, s[12:13]
	v_fma_f64 v[22:23], v[18:19], 0, s[10:11]
	s_mov_b32 s10, 0x652b82fe
	s_mov_b32 s11, 0x3ff71547
	;; [unrolled: 1-line block ×3, first 2 shown]
	v_mul_f64 v[24:25], v[16:17], s[10:11]
	s_mov_b32 s10, 0x871a9067
	s_mov_b32 s11, 0x402803e3
	;; [unrolled: 1-line block ×3, first 2 shown]
	v_cmp_class_f64_e64 s6, v[12:13], 0x260
	v_fma_f64 v[20:21], v[18:19], v[20:21], s[12:13]
	v_fma_f64 v[22:23], v[18:19], v[22:23], s[10:11]
	s_mov_b32 s10, 0xde2e1e3
	s_mov_b32 s12, 0xb04d51a0
	;; [unrolled: 1-line block ×3, first 2 shown]
	v_rndne_f64_e32 v[24:25], v[24:25]
	s_mov_b32 s13, 0x405520e3
	v_fma_f64 v[20:21], v[18:19], v[20:21], s[12:13]
	v_fma_f64 v[22:23], v[18:19], v[22:23], s[10:11]
	s_mov_b32 s10, 0xfefa39ef
	s_mov_b32 s11, 0xbfe62e42
	;; [unrolled: 1-line block ×3, first 2 shown]
	v_fma_f64 v[26:27], v[24:25], s[10:11], v[16:17]
	s_mov_b32 s10, 0xee40073c
	s_mov_b32 s11, 0x406502da
	;; [unrolled: 1-line block ×3, first 2 shown]
	v_fma_f64 v[20:21], v[18:19], v[20:21], s[12:13]
	v_fma_f64 v[22:23], v[18:19], v[22:23], s[10:11]
	s_mov_b32 s10, 0x3b39803f
	s_mov_b32 s11, 0xbc7abc9e
	;; [unrolled: 1-line block ×3, first 2 shown]
	v_fma_f64 v[26:27], v[24:25], s[10:11], v[26:27]
	s_mov_b32 s10, 0x5ba1fddf
	s_mov_b32 s11, 0x4063f834
	;; [unrolled: 1-line block ×3, first 2 shown]
	v_fma_f64 v[20:21], v[18:19], v[20:21], s[12:13]
	v_fma_f64 v[22:23], v[18:19], v[22:23], s[10:11]
	s_mov_b32 s10, 0xfca7ab0c
	s_mov_b32 s12, 0x6a5dcb37
	;; [unrolled: 1-line block ×4, first 2 shown]
	v_fma_f64 v[28:29], v[26:27], s[12:13], s[10:11]
	s_mov_b32 s10, 0x4f4cea4f
	s_mov_b32 s12, 0xee91d35f
	s_mov_b32 s11, 0x4051a24f
	s_mov_b32 s13, 0x4051de94
	v_fma_f64 v[20:21], v[18:19], v[20:21], s[12:13]
	v_fma_f64 v[22:23], v[18:19], v[22:23], s[10:11]
	s_mov_b32 s10, 0x623fde64
	s_mov_b32 s11, 0x3ec71dee
	;; [unrolled: 1-line block ×4, first 2 shown]
	v_fma_f64 v[28:29], v[26:27], v[28:29], s[10:11]
	s_mov_b32 s10, 0x5c2a0f4d
	s_mov_b32 s11, 0x402c0d8d
	v_fma_f64 v[20:21], v[18:19], v[20:21], s[12:13]
	v_fma_f64 v[22:23], v[18:19], v[22:23], s[10:11]
	s_mov_b32 s10, 0x7c89e6b0
	s_mov_b32 s11, 0x3efa0199
	v_fma_f64 v[28:29], v[26:27], v[28:29], s[10:11]
	s_mov_b32 s10, 0x14761f6e
	s_mov_b32 s11, 0x3f2a01a0
	v_fma_f64 v[20:21], v[18:19], v[20:21], 1.0
	v_fma_f64 v[18:19], v[18:19], v[22:23], 1.0
	v_rsq_f64_e32 v[22:23], v[12:13]
	v_fma_f64 v[28:29], v[26:27], v[28:29], s[10:11]
	s_mov_b32 s10, 0x1852b7b0
	s_mov_b32 s11, 0x3f56c16c
	v_div_scale_f64 v[30:31], null, v[20:21], v[20:21], v[18:19]
	v_mul_f64 v[32:33], v[12:13], v[22:23]
	v_mul_f64 v[22:23], v[22:23], 0.5
	v_fma_f64 v[28:29], v[26:27], v[28:29], s[10:11]
	s_mov_b32 s10, 0x11122322
	s_mov_b32 s11, 0x3f811111
	v_rcp_f64_e32 v[34:35], v[30:31]
	v_fma_f64 v[38:39], -v[22:23], v[32:33], 0.5
	v_fma_f64 v[28:29], v[26:27], v[28:29], s[10:11]
	s_mov_b32 s10, 0x555502a1
	s_mov_b32 s11, 0x3fa55555
	v_fma_f64 v[48:49], -v[30:31], v[34:35], 1.0
	v_fma_f64 v[32:33], v[32:33], v[38:39], v[32:33]
	v_fma_f64 v[22:23], v[22:23], v[38:39], v[22:23]
	;; [unrolled: 1-line block ×3, first 2 shown]
	s_mov_b32 s10, 0x55555511
	s_mov_b32 s11, 0x3fc55555
	v_fma_f64 v[34:35], v[34:35], v[48:49], v[34:35]
	v_fma_f64 v[38:39], -v[32:33], v[32:33], v[12:13]
	v_fma_f64 v[28:29], v[26:27], v[28:29], s[10:11]
	s_mov_b32 s10, 11
	s_mov_b32 s11, 0x3fe00000
	v_fma_f64 v[48:49], -v[30:31], v[34:35], 1.0
	v_fma_f64 v[32:33], v[38:39], v[22:23], v[32:33]
	v_div_scale_f64 v[38:39], s5, v[18:19], v[20:21], v[18:19]
	v_fma_f64 v[28:29], v[26:27], v[28:29], s[10:11]
	s_mov_b32 s10, 0x50429b6d
	s_mov_b32 s11, 0x3fe20dd7
	v_fma_f64 v[34:35], v[34:35], v[48:49], v[34:35]
	v_fma_f64 v[48:49], -v[32:33], v[32:33], v[12:13]
	v_fma_f64 v[28:29], v[26:27], v[28:29], 1.0
	v_mul_f64 v[50:51], v[38:39], v[34:35]
	v_fma_f64 v[22:23], v[48:49], v[22:23], v[32:33]
	v_cvt_i32_f64_e32 v32, v[24:25]
	v_fma_f64 v[24:25], v[26:27], v[28:29], 1.0
	v_cndmask_b32_e64 v28, 0, 0xffffff80, vcc_lo
	s_mov_b32 vcc_lo, s5
	v_cmp_ngt_f64_e64 s5, 0xc090cc00, v[16:17]
	v_fma_f64 v[26:27], -v[30:31], v[50:51], v[38:39]
	v_ldexp_f64 v[22:23], v[22:23], v28
	v_ldexp_f64 v[24:25], v[24:25], v32
	v_div_fmas_f64 v[26:27], v[26:27], v[34:35], v[50:51]
	v_cmp_nlt_f64_e32 vcc_lo, 0x40900000, v[16:17]
	v_cndmask_b32_e64 v13, v23, v13, s6
	v_cndmask_b32_e64 v12, v22, v12, s6
	v_add_f64 v[12:13], v[12:13], v[12:13]
	v_div_fixup_f64 v[16:17], v[26:27], v[20:21], v[18:19]
	v_cndmask_b32_e32 v23, 0x7ff00000, v25, vcc_lo
	s_and_b32 vcc_lo, s5, vcc_lo
	v_cndmask_b32_e32 v18, 0, v24, vcc_lo
	v_cndmask_b32_e64 v19, 0, v23, s5
	s_andn2_b32 s5, s9, exec_lo
	v_mul_f64 v[12:13], v[12:13], v[18:19]
	v_mul_f64 v[16:17], v[16:17], s[10:11]
	s_mov_b32 s10, 0xfd0a823a
	s_mov_b32 s11, 0x4020a402
	v_div_scale_f64 v[18:19], null, v[12:13], v[12:13], v[16:17]
	v_rcp_f64_e32 v[20:21], v[18:19]
	v_fma_f64 v[22:23], -v[18:19], v[20:21], 1.0
	v_fma_f64 v[20:21], v[20:21], v[22:23], v[20:21]
	v_fma_f64 v[22:23], -v[18:19], v[20:21], 1.0
	v_fma_f64 v[20:21], v[20:21], v[22:23], v[20:21]
	v_div_scale_f64 v[22:23], vcc_lo, v[16:17], v[12:13], v[16:17]
	v_mul_f64 v[24:25], v[22:23], v[20:21]
	v_fma_f64 v[18:19], -v[18:19], v[24:25], v[22:23]
	v_div_fmas_f64 v[18:19], v[18:19], v[20:21], v[24:25]
	v_cmp_nlt_f64_e32 vcc_lo, s[10:11], v[8:9]
	v_div_fixup_f64 v[12:13], v[18:19], v[12:13], v[16:17]
	s_and_b32 s6, vcc_lo, exec_lo
	s_or_b32 s5, s5, s6
.LBB0_62:
	s_or_b32 exec_lo, exec_lo, s7
	s_and_saveexec_b32 s6, s5
	s_cbranch_execz .LBB0_66
; %bb.63:
	v_mul_f64 v[16:17], v[8:9], v[8:9]
	v_mov_b32_e32 v22, 0
	v_mov_b32_e32 v24, 0
	;; [unrolled: 1-line block ×6, first 2 shown]
	s_mov_b32 s7, 0
	v_mul_f64 v[18:19], v[8:9], v[16:17]
	v_mov_b32_e32 v16, 0
	v_mov_b32_e32 v17, 0x3ff00000
.LBB0_64:                               ; =>This Inner Loop Header: Depth=1
	v_mul_f64 v[22:23], v[18:19], v[22:23]
	v_add_f64 v[24:25], v[24:25], 1.0
	v_mul_f64 v[8:9], v[18:19], v[8:9]
	v_div_scale_f64 v[26:27], null, v[24:25], v[24:25], v[22:23]
	v_div_scale_f64 v[32:33], vcc_lo, v[22:23], v[24:25], v[22:23]
	v_rcp_f64_e32 v[28:29], v[26:27]
	v_fma_f64 v[30:31], -v[26:27], v[28:29], 1.0
	v_fma_f64 v[28:29], v[28:29], v[30:31], v[28:29]
	v_fma_f64 v[30:31], -v[26:27], v[28:29], 1.0
	v_fma_f64 v[28:29], v[28:29], v[30:31], v[28:29]
	v_mul_f64 v[30:31], v[32:33], v[28:29]
	v_fma_f64 v[26:27], -v[26:27], v[30:31], v[32:33]
	v_div_fmas_f64 v[26:27], v[26:27], v[28:29], v[30:31]
	v_add_f64 v[28:29], v[24:25], 1.0
	v_div_fixup_f64 v[22:23], v[26:27], v[24:25], v[22:23]
	v_div_scale_f64 v[24:25], null, v[28:29], v[28:29], v[8:9]
	v_div_scale_f64 v[48:49], vcc_lo, v[8:9], v[28:29], v[8:9]
	v_div_scale_f64 v[26:27], null, v[28:29], v[28:29], v[22:23]
	v_rcp_f64_e32 v[30:31], v[24:25]
	v_rcp_f64_e32 v[32:33], v[26:27]
	v_fma_f64 v[34:35], -v[24:25], v[30:31], 1.0
	v_fma_f64 v[38:39], -v[26:27], v[32:33], 1.0
	v_fma_f64 v[30:31], v[30:31], v[34:35], v[30:31]
	v_fma_f64 v[32:33], v[32:33], v[38:39], v[32:33]
	v_fma_f64 v[34:35], -v[24:25], v[30:31], 1.0
	v_fma_f64 v[38:39], -v[26:27], v[32:33], 1.0
	v_fma_f64 v[30:31], v[30:31], v[34:35], v[30:31]
	v_div_scale_f64 v[34:35], s5, v[22:23], v[28:29], v[22:23]
	v_fma_f64 v[32:33], v[32:33], v[38:39], v[32:33]
	v_mul_f64 v[38:39], v[48:49], v[30:31]
	v_mul_f64 v[50:51], v[34:35], v[32:33]
	v_fma_f64 v[24:25], -v[24:25], v[38:39], v[48:49]
	v_fma_f64 v[26:27], -v[26:27], v[50:51], v[34:35]
	v_div_fmas_f64 v[30:31], v[24:25], v[30:31], v[38:39]
	s_mov_b32 vcc_lo, s5
	v_div_fmas_f64 v[24:25], v[26:27], v[32:33], v[50:51]
	v_div_fixup_f64 v[8:9], v[30:31], v[28:29], v[8:9]
	v_div_fixup_f64 v[22:23], v[24:25], v[28:29], v[22:23]
	v_add_f64 v[24:25], v[28:29], 1.0
	v_add_f64 v[16:17], v[16:17], v[22:23]
	v_div_scale_f64 v[26:27], null, v[24:25], v[24:25], v[8:9]
	v_div_scale_f64 v[48:49], vcc_lo, v[8:9], v[24:25], v[8:9]
	v_div_scale_f64 v[28:29], null, v[16:17], v[16:17], v[22:23]
	v_rcp_f64_e32 v[30:31], v[26:27]
	v_rcp_f64_e32 v[32:33], v[28:29]
	v_fma_f64 v[34:35], -v[26:27], v[30:31], 1.0
	v_fma_f64 v[38:39], -v[28:29], v[32:33], 1.0
	v_fma_f64 v[30:31], v[30:31], v[34:35], v[30:31]
	v_fma_f64 v[32:33], v[32:33], v[38:39], v[32:33]
	v_fma_f64 v[34:35], -v[26:27], v[30:31], 1.0
	v_fma_f64 v[38:39], -v[28:29], v[32:33], 1.0
	v_fma_f64 v[30:31], v[30:31], v[34:35], v[30:31]
	v_div_scale_f64 v[34:35], s5, v[22:23], v[16:17], v[22:23]
	v_fma_f64 v[32:33], v[32:33], v[38:39], v[32:33]
	v_mul_f64 v[38:39], v[48:49], v[30:31]
	v_mul_f64 v[50:51], v[34:35], v[32:33]
	v_fma_f64 v[26:27], -v[26:27], v[38:39], v[48:49]
	v_fma_f64 v[28:29], -v[28:29], v[50:51], v[34:35]
	v_div_fmas_f64 v[26:27], v[26:27], v[30:31], v[38:39]
	s_mov_b32 vcc_lo, s5
	v_div_fmas_f64 v[28:29], v[28:29], v[32:33], v[50:51]
	v_div_fixup_f64 v[8:9], v[26:27], v[24:25], v[8:9]
	v_div_fixup_f64 v[28:29], v[28:29], v[16:17], v[22:23]
	v_add_f64 v[20:21], v[20:21], v[8:9]
	v_cmp_nlt_f64_e64 s5, 0x3cb00000, |v[28:29]|
	s_or_b32 s7, s5, s7
	s_andn2_b32 exec_lo, exec_lo, s7
	s_cbranch_execnz .LBB0_64
; %bb.65:
	s_or_b32 exec_lo, exec_lo, s7
	s_mov_b32 s10, 0x42b70f8b
	s_mov_b32 s11, 0xbfd0907f
	v_mul_f64 v[8:9], v[20:21], s[10:11]
	s_mov_b32 s10, 0x962715b8
	s_mov_b32 s11, 0x3fd6b8c7
	v_fma_f64 v[8:9], v[16:17], s[10:11], v[8:9]
	v_cndmask_b32_e64 v13, v13, v9, s9
	v_cndmask_b32_e64 v12, v12, v8, s9
.LBB0_66:
	s_or_b32 exec_lo, exec_lo, s6
                                        ; implicit-def: $vgpr8_vgpr9
.LBB0_67:
	s_andn2_saveexec_b32 s46, s8
	s_cbranch_execz .LBB0_77
; %bb.68:
	v_cmp_lt_f64_e32 vcc_lo, 0x90000000, v[8:9]
	s_mov_b32 s7, 0x3fe921fb
	s_mov_b32 s6, 0x54442d18
                                        ; implicit-def: $vgpr35
                                        ; implicit-def: $vgpr24_vgpr25
	v_cndmask_b32_e64 v12, 0, 0x100, vcc_lo
	v_ldexp_f64 v[12:13], -v[8:9], v12
	v_rsq_f64_e32 v[16:17], v[12:13]
	v_mul_f64 v[18:19], v[12:13], v[16:17]
	v_mul_f64 v[16:17], v[16:17], 0.5
	v_fma_f64 v[20:21], -v[16:17], v[18:19], 0.5
	v_fma_f64 v[18:19], v[18:19], v[20:21], v[18:19]
	v_fma_f64 v[16:17], v[16:17], v[20:21], v[16:17]
	v_fma_f64 v[20:21], -v[18:19], v[18:19], v[12:13]
	v_fma_f64 v[18:19], v[20:21], v[16:17], v[18:19]
	v_fma_f64 v[20:21], -v[18:19], v[18:19], v[12:13]
	v_fma_f64 v[16:17], v[20:21], v[16:17], v[18:19]
	v_cndmask_b32_e64 v18, 0, 0xffffff80, vcc_lo
	v_cmp_class_f64_e64 vcc_lo, v[12:13], 0x260
	v_ldexp_f64 v[16:17], v[16:17], v18
	v_mul_f64 v[18:19], v[8:9], -2.0
	v_cndmask_b32_e32 v9, v17, v13, vcc_lo
	v_cndmask_b32_e32 v8, v16, v12, vcc_lo
	v_mul_f64 v[12:13], v[18:19], v[8:9]
	v_div_scale_f64 v[16:17], null, 0x40080000, 0x40080000, v[12:13]
	v_div_scale_f64 v[22:23], vcc_lo, v[12:13], 0x40080000, v[12:13]
	v_rcp_f64_e32 v[18:19], v[16:17]
	v_fma_f64 v[20:21], -v[16:17], v[18:19], 1.0
	v_fma_f64 v[18:19], v[18:19], v[20:21], v[18:19]
	v_fma_f64 v[20:21], -v[16:17], v[18:19], 1.0
	v_fma_f64 v[18:19], v[18:19], v[20:21], v[18:19]
	v_mul_f64 v[20:21], v[22:23], v[18:19]
	v_fma_f64 v[16:17], -v[16:17], v[20:21], v[22:23]
	v_div_fmas_f64 v[16:17], v[16:17], v[18:19], v[20:21]
                                        ; implicit-def: $vgpr20_vgpr21
	v_div_fixup_f64 v[12:13], v[16:17], 0x40080000, v[12:13]
	v_add_f64 v[16:17], v[12:13], s[6:7]
	v_cmp_ngt_f64_e64 s5, 0x41d00000, |v[16:17]|
	v_trig_preop_f64 v[30:31], |v[16:17]|, 0
	v_trig_preop_f64 v[28:29], |v[16:17]|, 1
	v_ldexp_f64 v[32:33], |v[16:17]|, 0xffffff80
	v_trig_preop_f64 v[26:27], |v[16:17]|, 2
	v_and_b32_e32 v38, 0x7fffffff, v17
	s_and_saveexec_b32 s7, s5
	s_xor_b32 s8, exec_lo, s7
	s_cbranch_execz .LBB0_70
; %bb.69:
	v_cmp_le_f64_e64 vcc_lo, 0x7b000000, |v[16:17]|
	v_mov_b32_e32 v66, 0
	s_mov_b32 s7, 0x3ff921fb
	s_mov_b32 s10, 0x33145c07
	;; [unrolled: 1-line block ×3, first 2 shown]
	v_cndmask_b32_e32 v19, v38, v33, vcc_lo
	v_cndmask_b32_e32 v18, v16, v32, vcc_lo
	v_mul_f64 v[20:21], v[30:31], v[18:19]
	v_mul_f64 v[22:23], v[28:29], v[18:19]
	;; [unrolled: 1-line block ×3, first 2 shown]
	v_fma_f64 v[24:25], v[30:31], v[18:19], -v[20:21]
	v_fma_f64 v[64:65], v[28:29], v[18:19], -v[22:23]
	;; [unrolled: 1-line block ×3, first 2 shown]
	v_add_f64 v[34:35], v[22:23], v[24:25]
	v_add_f64 v[48:49], v[34:35], -v[22:23]
	v_add_f64 v[52:53], v[20:21], v[34:35]
	v_add_f64 v[50:51], v[34:35], -v[48:49]
	v_add_f64 v[24:25], v[24:25], -v[48:49]
	v_ldexp_f64 v[48:49], v[52:53], -2
	v_add_f64 v[20:21], v[52:53], -v[20:21]
	v_add_f64 v[22:23], v[22:23], -v[50:51]
	v_add_f64 v[50:51], v[54:55], v[64:65]
	v_cmp_neq_f64_e64 vcc_lo, 0x7ff00000, |v[48:49]|
	v_add_f64 v[20:21], v[34:35], -v[20:21]
	v_add_f64 v[22:23], v[24:25], v[22:23]
	v_fract_f64_e32 v[24:25], v[48:49]
	v_add_f64 v[34:35], v[50:51], v[22:23]
	v_ldexp_f64 v[24:25], v[24:25], 2
	v_add_f64 v[48:49], v[20:21], v[34:35]
	v_cndmask_b32_e32 v25, 0, v25, vcc_lo
	v_cndmask_b32_e32 v24, 0, v24, vcc_lo
	v_add_f64 v[52:53], v[48:49], v[24:25]
	v_add_f64 v[20:21], v[48:49], -v[20:21]
	v_cmp_gt_f64_e32 vcc_lo, 0, v[52:53]
	v_add_f64 v[52:53], v[50:51], -v[54:55]
	v_add_f64 v[20:21], v[34:35], -v[20:21]
	v_cndmask_b32_e64 v67, 0, 0x40100000, vcc_lo
	v_add_f64 v[80:81], v[50:51], -v[52:53]
	v_add_f64 v[52:53], v[64:65], -v[52:53]
	v_add_f64 v[24:25], v[24:25], v[66:67]
	v_add_f64 v[67:68], v[34:35], -v[50:51]
	v_add_f64 v[64:65], v[54:55], -v[80:81]
	v_add_f64 v[69:70], v[48:49], v[24:25]
	;; [unrolled: 3-line block ×3, first 2 shown]
	v_cvt_i32_f64_e32 v39, v[69:70]
	v_add_f64 v[50:51], v[50:51], -v[82:83]
	v_cvt_f64_i32_e32 v[67:68], v39
	v_add_f64 v[22:23], v[22:23], v[50:51]
	v_add_f64 v[24:25], v[24:25], -v[67:68]
	v_add_f64 v[22:23], v[52:53], v[22:23]
	v_add_f64 v[50:51], v[48:49], v[24:25]
	;; [unrolled: 1-line block ×3, first 2 shown]
	v_add_f64 v[22:23], v[50:51], -v[24:25]
	v_cmp_le_f64_e32 vcc_lo, 0.5, v[50:51]
	v_add_f64 v[18:19], v[20:21], v[18:19]
	v_add_f64 v[20:21], v[48:49], -v[22:23]
	v_cndmask_b32_e64 v67, 0, 0x3ff00000, vcc_lo
	v_add_co_ci_u32_e64 v35, null, 0, v39, vcc_lo
	v_add_f64 v[18:19], v[18:19], v[20:21]
	v_add_f64 v[20:21], v[50:51], -v[66:67]
	v_add_f64 v[22:23], v[20:21], v[18:19]
	v_mul_f64 v[24:25], v[22:23], s[6:7]
	v_add_f64 v[20:21], v[22:23], -v[20:21]
	v_fma_f64 v[48:49], v[22:23], s[6:7], -v[24:25]
	v_add_f64 v[18:19], v[18:19], -v[20:21]
	v_fma_f64 v[20:21], v[22:23], s[10:11], v[48:49]
	v_fma_f64 v[18:19], v[18:19], s[6:7], v[20:21]
	v_add_f64 v[20:21], v[24:25], v[18:19]
	v_add_f64 v[22:23], v[20:21], -v[24:25]
	v_add_f64 v[24:25], v[18:19], -v[22:23]
	s_andn2_saveexec_b32 s6, s8
	s_cbranch_execz .LBB0_72
	s_branch .LBB0_71
.LBB0_70:
	s_andn2_saveexec_b32 s6, s8
	s_cbranch_execz .LBB0_72
.LBB0_71:
	s_mov_b32 s8, 0x6dc9c883
	s_mov_b32 s9, 0x3fe45f30
	s_mov_b32 s11, 0xbc91a626
	v_mul_f64 v[18:19], |v[16:17]|, s[8:9]
	s_mov_b32 s8, 0x54442d18
	s_mov_b32 s9, 0xbff921fb
	;; [unrolled: 1-line block ×3, first 2 shown]
	v_rndne_f64_e32 v[18:19], v[18:19]
	v_fma_f64 v[20:21], v[18:19], s[8:9], |v[16:17]|
	v_mul_f64 v[22:23], v[18:19], s[10:11]
	s_mov_b32 s8, 0x252049c0
	s_mov_b32 s9, 0xb97b839a
	v_fma_f64 v[34:35], v[18:19], s[10:11], v[20:21]
	v_add_f64 v[24:25], v[20:21], v[22:23]
	s_mov_b32 s11, 0x3c91a626
	v_add_f64 v[20:21], v[20:21], -v[24:25]
	v_add_f64 v[24:25], v[24:25], -v[34:35]
	v_add_f64 v[20:21], v[20:21], v[22:23]
	v_fma_f64 v[22:23], v[18:19], s[10:11], v[22:23]
	v_add_f64 v[20:21], v[24:25], v[20:21]
	v_add_f64 v[20:21], v[20:21], -v[22:23]
	v_fma_f64 v[22:23], v[18:19], s[8:9], v[20:21]
	v_add_f64 v[20:21], v[34:35], v[22:23]
	v_add_f64 v[24:25], v[20:21], -v[34:35]
	v_cvt_i32_f64_e32 v35, v[18:19]
	v_add_f64 v[24:25], v[22:23], -v[24:25]
.LBB0_72:
	s_or_b32 exec_lo, exec_lo, s6
                                        ; implicit-def: $vgpr34
                                        ; implicit-def: $vgpr18_vgpr19
                                        ; implicit-def: $vgpr22_vgpr23
	s_and_saveexec_b32 s6, s5
	s_xor_b32 s5, exec_lo, s6
	s_cbranch_execz .LBB0_74
; %bb.73:
	v_cmp_le_f64_e64 vcc_lo, 0x7b000000, |v[16:17]|
	v_mov_b32_e32 v64, 0
	s_mov_b32 s6, 0x54442d18
	s_mov_b32 s7, 0x3ff921fb
	s_mov_b32 s8, 0x33145c07
	s_mov_b32 s9, 0x3c91a626
	v_cndmask_b32_e32 v19, v38, v33, vcc_lo
	v_cndmask_b32_e32 v18, v16, v32, vcc_lo
	v_mul_f64 v[22:23], v[30:31], v[18:19]
	v_mul_f64 v[32:33], v[28:29], v[18:19]
	v_mul_f64 v[54:55], v[26:27], v[18:19]
	v_fma_f64 v[30:31], v[30:31], v[18:19], -v[22:23]
	v_fma_f64 v[28:29], v[28:29], v[18:19], -v[32:33]
	v_fma_f64 v[18:19], v[26:27], v[18:19], -v[54:55]
	v_add_f64 v[38:39], v[32:33], v[30:31]
	v_add_f64 v[48:49], v[38:39], -v[32:33]
	v_add_f64 v[52:53], v[22:23], v[38:39]
	v_add_f64 v[50:51], v[38:39], -v[48:49]
	v_add_f64 v[30:31], v[30:31], -v[48:49]
	v_ldexp_f64 v[48:49], v[52:53], -2
	v_add_f64 v[22:23], v[52:53], -v[22:23]
	v_add_f64 v[32:33], v[32:33], -v[50:51]
	v_add_f64 v[50:51], v[54:55], v[28:29]
	v_cmp_neq_f64_e64 vcc_lo, 0x7ff00000, |v[48:49]|
	v_add_f64 v[22:23], v[38:39], -v[22:23]
	v_add_f64 v[30:31], v[30:31], v[32:33]
	v_fract_f64_e32 v[32:33], v[48:49]
	v_add_f64 v[38:39], v[50:51], v[30:31]
	v_ldexp_f64 v[32:33], v[32:33], 2
	v_add_f64 v[48:49], v[22:23], v[38:39]
	v_cndmask_b32_e32 v33, 0, v33, vcc_lo
	v_cndmask_b32_e32 v32, 0, v32, vcc_lo
	v_add_f64 v[52:53], v[48:49], v[32:33]
	v_add_f64 v[22:23], v[48:49], -v[22:23]
	v_cmp_gt_f64_e32 vcc_lo, 0, v[52:53]
	v_add_f64 v[52:53], v[50:51], -v[54:55]
	v_add_f64 v[22:23], v[38:39], -v[22:23]
	v_cndmask_b32_e64 v65, 0, 0x40100000, vcc_lo
	v_add_f64 v[69:70], v[50:51], -v[52:53]
	v_add_f64 v[28:29], v[28:29], -v[52:53]
	v_add_f64 v[32:33], v[32:33], v[64:65]
	v_add_f64 v[65:66], v[38:39], -v[50:51]
	v_add_f64 v[52:53], v[54:55], -v[69:70]
	v_add_f64 v[67:68], v[48:49], v[32:33]
	;; [unrolled: 3-line block ×3, first 2 shown]
	v_cvt_i32_f64_e32 v34, v[67:68]
	v_add_f64 v[50:51], v[50:51], -v[80:81]
	v_cvt_f64_i32_e32 v[65:66], v34
	v_add_f64 v[30:31], v[30:31], v[50:51]
	v_add_f64 v[32:33], v[32:33], -v[65:66]
	v_add_f64 v[26:27], v[28:29], v[30:31]
	v_add_f64 v[28:29], v[48:49], v[32:33]
	;; [unrolled: 1-line block ×3, first 2 shown]
	v_add_f64 v[26:27], v[28:29], -v[32:33]
	v_cmp_le_f64_e32 vcc_lo, 0.5, v[28:29]
	v_add_f64 v[18:19], v[22:23], v[18:19]
	v_add_f64 v[22:23], v[48:49], -v[26:27]
	v_cndmask_b32_e64 v65, 0, 0x3ff00000, vcc_lo
	v_add_co_ci_u32_e64 v34, null, 0, v34, vcc_lo
	v_add_f64 v[18:19], v[18:19], v[22:23]
	v_add_f64 v[22:23], v[28:29], -v[64:65]
	v_add_f64 v[26:27], v[22:23], v[18:19]
	v_mul_f64 v[28:29], v[26:27], s[6:7]
	v_add_f64 v[22:23], v[26:27], -v[22:23]
	v_fma_f64 v[30:31], v[26:27], s[6:7], -v[28:29]
	v_add_f64 v[18:19], v[18:19], -v[22:23]
	v_fma_f64 v[22:23], v[26:27], s[8:9], v[30:31]
	v_fma_f64 v[22:23], v[18:19], s[6:7], v[22:23]
	v_add_f64 v[18:19], v[28:29], v[22:23]
	v_add_f64 v[26:27], v[18:19], -v[28:29]
	v_add_f64 v[22:23], v[22:23], -v[26:27]
	s_andn2_saveexec_b32 s5, s5
	s_cbranch_execnz .LBB0_75
	s_branch .LBB0_76
.LBB0_74:
	s_andn2_saveexec_b32 s5, s5
	s_cbranch_execz .LBB0_76
.LBB0_75:
	s_mov_b32 s6, 0x6dc9c883
	s_mov_b32 s7, 0x3fe45f30
	;; [unrolled: 1-line block ×3, first 2 shown]
	v_mul_f64 v[18:19], |v[16:17]|, s[6:7]
	s_mov_b32 s6, 0x54442d18
	s_mov_b32 s7, 0xbff921fb
	;; [unrolled: 1-line block ×3, first 2 shown]
	v_rndne_f64_e32 v[26:27], v[18:19]
	v_fma_f64 v[18:19], v[26:27], s[6:7], |v[16:17]|
	v_mul_f64 v[22:23], v[26:27], s[8:9]
	s_mov_b32 s6, 0x252049c0
	s_mov_b32 s7, 0xb97b839a
	v_cvt_i32_f64_e32 v34, v[26:27]
	v_fma_f64 v[30:31], v[26:27], s[8:9], v[18:19]
	v_add_f64 v[28:29], v[18:19], v[22:23]
	s_mov_b32 s9, 0x3c91a626
	v_add_f64 v[18:19], v[18:19], -v[28:29]
	v_add_f64 v[28:29], v[28:29], -v[30:31]
	v_add_f64 v[18:19], v[18:19], v[22:23]
	v_fma_f64 v[22:23], v[26:27], s[8:9], v[22:23]
	v_add_f64 v[18:19], v[28:29], v[18:19]
	v_add_f64 v[18:19], v[18:19], -v[22:23]
	v_fma_f64 v[22:23], v[26:27], s[6:7], v[18:19]
	v_add_f64 v[18:19], v[30:31], v[22:23]
	v_add_f64 v[28:29], v[18:19], -v[30:31]
	v_add_f64 v[22:23], v[22:23], -v[28:29]
.LBB0_76:
	s_or_b32 exec_lo, exec_lo, s5
	v_div_scale_f64 v[26:27], null, v[12:13], v[12:13], 1.0
	s_mov_b32 s6, 0xd50ae6fb
	s_mov_b32 s7, 0xbfc0db6c
	s_mov_b32 s8, 0x46cc5e42
	s_mov_b32 s9, 0xbda907db
	s_mov_b32 s10, 0xa17f65f6
	s_mov_b32 s11, 0xbe927e4f
	s_mov_b32 s12, 0x19f4ec90
	s_mov_b32 s13, 0x3efa01a0
	s_mov_b32 s14, 0x16c16967
	s_mov_b32 s15, 0xbf56c16c
	s_mov_b32 s16, 0x55555555
	s_mov_b32 s17, 0x3fa55555
	s_mov_b32 s18, 0xb42fdfa7
	s_mov_b32 s20, 0xf9a43bb8
	s_mov_b32 s19, 0xbe5ae600
	s_mov_b32 s21, 0x3de5e0b2
	s_mov_b32 s22, 0x796cde01
	s_mov_b32 s23, 0x3ec71de3
	s_mov_b32 s24, 0x19e83e5c
	s_mov_b32 s25, 0xbf2a01a0
	v_rcp_f64_e32 v[28:29], v[26:27]
	s_mov_b32 s26, 0x11110bb3
	s_mov_b32 s27, 0x3f811111
	;; [unrolled: 1-line block ×4, first 2 shown]
	v_cmp_class_f64_e64 s5, v[16:17], 0x1f8
	s_mov_b32 s40, 0xddcfbbde
	s_mov_b32 s41, 0x3f943525
	v_fma_f64 v[30:31], -v[26:27], v[28:29], 1.0
	v_fma_f64 v[28:29], v[28:29], v[30:31], v[28:29]
	v_fma_f64 v[30:31], -v[26:27], v[28:29], 1.0
	v_fma_f64 v[28:29], v[28:29], v[30:31], v[28:29]
	v_div_scale_f64 v[30:31], vcc_lo, 1.0, v[12:13], 1.0
	v_mul_f64 v[32:33], v[30:31], v[28:29]
	v_fma_f64 v[26:27], -v[26:27], v[32:33], v[30:31]
	v_div_fmas_f64 v[26:27], v[26:27], v[28:29], v[32:33]
	v_mul_f64 v[32:33], v[20:21], v[20:21]
	v_div_fixup_f64 v[12:13], v[26:27], v[12:13], 1.0
	v_mul_f64 v[38:39], v[32:33], 0.5
	v_mul_f64 v[26:27], v[12:13], v[12:13]
	v_add_f64 v[48:49], -v[38:39], 1.0
	v_fma_f64 v[28:29], v[26:27], 0, s[6:7]
	s_mov_b32 s6, 0x98566852
	s_mov_b32 s7, 0xbfe40bee
	v_add_f64 v[50:51], -v[48:49], 1.0
	v_fma_f64 v[28:29], v[26:27], v[28:29], s[6:7]
	s_mov_b32 s6, 0xc2f79f7d
	s_mov_b32 s7, 0xbfe62e59
	v_add_f64 v[38:39], v[50:51], -v[38:39]
	v_mul_f64 v[50:51], v[32:33], v[32:33]
	v_fma_f64 v[28:29], v[26:27], v[28:29], s[6:7]
	s_mov_b32 s6, 0x4bb3f40b
	s_mov_b32 s7, 0xbfd1e7ea
	v_fma_f64 v[38:39], v[20:21], -v[24:25], v[38:39]
	v_fma_f64 v[28:29], v[26:27], v[28:29], s[6:7]
	s_mov_b32 s6, 0xf47dbd8a
	s_mov_b32 s7, 0xbfa92f6e
	v_fma_f64 v[28:29], v[26:27], v[28:29], s[6:7]
	s_mov_b32 s6, 0xc8d9e090
	s_mov_b32 s7, 0xbf70a401
	;; [unrolled: 3-line block ×15, first 2 shown]
	v_fma_f64 v[52:53], v[32:33], s[8:9], s[6:7]
	v_fma_f64 v[52:53], v[32:33], v[52:53], s[10:11]
	;; [unrolled: 1-line block ×6, first 2 shown]
	v_mul_f64 v[50:51], v[20:21], -v[32:33]
	v_mul_f64 v[52:53], v[24:25], 0.5
	v_add_f64 v[38:39], v[48:49], v[38:39]
	v_fma_f64 v[48:49], v[32:33], s[20:21], s[18:19]
	v_fma_f64 v[48:49], v[32:33], v[48:49], s[22:23]
	;; [unrolled: 1-line block ×5, first 2 shown]
	v_fma_f64 v[24:25], v[32:33], v[48:49], -v[24:25]
	v_fma_f64 v[24:25], v[50:51], s[28:29], v[24:25]
	v_add_f64 v[20:21], v[20:21], -v[24:25]
	v_and_b32_e32 v24, 1, v35
	v_cmp_eq_u32_e32 vcc_lo, 0, v24
	v_lshlrev_b32_e32 v24, 30, v35
	v_xor_b32_e32 v24, v24, v17
	v_and_b32_e32 v24, 0x80000000, v24
	v_cndmask_b32_e32 v21, v39, v21, vcc_lo
	v_cndmask_b32_e32 v20, v38, v20, vcc_lo
	v_xor_b32_e32 v21, v21, v24
	v_cndmask_b32_e64 v16, 0, v20, s5
	v_cndmask_b32_e64 v17, 0x7ff80000, v21, s5
	v_mul_f64 v[20:21], v[26:27], v[28:29]
	v_div_scale_f64 v[24:25], null, v[30:31], v[30:31], v[20:21]
	v_rcp_f64_e32 v[28:29], v[24:25]
	v_fma_f64 v[32:33], -v[24:25], v[28:29], 1.0
	v_fma_f64 v[28:29], v[28:29], v[32:33], v[28:29]
	v_fma_f64 v[32:33], -v[24:25], v[28:29], 1.0
	v_fma_f64 v[28:29], v[28:29], v[32:33], v[28:29]
	v_div_scale_f64 v[32:33], vcc_lo, v[20:21], v[30:31], v[20:21]
	v_mul_f64 v[38:39], v[32:33], v[28:29]
	v_fma_f64 v[24:25], -v[24:25], v[38:39], v[32:33]
	v_div_fmas_f64 v[24:25], v[24:25], v[28:29], v[38:39]
	v_cmp_gt_f64_e32 vcc_lo, 0x10000000, v[8:9]
	v_div_fixup_f64 v[20:21], v[24:25], v[30:31], v[20:21]
	v_fma_f64 v[24:25], v[26:27], 0, s[40:41]
	s_mov_b32 s40, 0x6437b7
	s_mov_b32 s41, 0x3fd907d5
	v_add_f64 v[20:21], v[20:21], 1.0
	v_fma_f64 v[24:25], v[26:27], v[24:25], s[40:41]
	s_mov_b32 s40, 0x3a2034eb
	s_mov_b32 s41, 0x3ff10d83
	v_fma_f64 v[24:25], v[26:27], v[24:25], s[40:41]
	s_mov_b32 s40, 0xa0ef1acb
	s_mov_b32 s41, 0x3fee0dac
	;; [unrolled: 3-line block ×11, first 2 shown]
	v_mul_f64 v[12:13], v[12:13], v[24:25]
	v_fma_f64 v[28:29], v[26:27], v[28:29], s[40:41]
	s_mov_b32 s40, 0x7ea7dc35
	s_mov_b32 s41, 0x402f211b
	v_fma_f64 v[28:29], v[26:27], v[28:29], s[40:41]
	s_mov_b32 s40, 0x2b79dbce
	s_mov_b32 s41, 0x4015e84e
	;; [unrolled: 3-line block ×8, first 2 shown]
	v_fma_f64 v[26:27], v[26:27], v[28:29], s[40:41]
	v_cndmask_b32_e64 v28, 0, 0x100, vcc_lo
	s_mov_b32 s40, 0x50429b6d
	s_mov_b32 s41, 0x3fe20dd7
	v_ldexp_f64 v[8:9], v[8:9], v28
	v_rsq_f64_e32 v[28:29], v[8:9]
	v_mul_f64 v[30:31], v[8:9], v[28:29]
	v_mul_f64 v[28:29], v[28:29], 0.5
	v_fma_f64 v[32:33], -v[28:29], v[30:31], 0.5
	v_fma_f64 v[30:31], v[30:31], v[32:33], v[30:31]
	v_fma_f64 v[28:29], v[28:29], v[32:33], v[28:29]
	v_fma_f64 v[38:39], -v[30:31], v[30:31], v[8:9]
	v_fma_f64 v[30:31], v[38:39], v[28:29], v[30:31]
	v_fma_f64 v[32:33], -v[30:31], v[30:31], v[8:9]
	v_fma_f64 v[28:29], v[32:33], v[28:29], v[30:31]
	v_cndmask_b32_e64 v30, 0, 0xffffff80, vcc_lo
	v_cmp_class_f64_e64 vcc_lo, v[8:9], 0x260
	v_ldexp_f64 v[28:29], v[28:29], v30
	v_cndmask_b32_e32 v9, v29, v9, vcc_lo
	v_cndmask_b32_e32 v8, v28, v8, vcc_lo
	v_div_scale_f64 v[28:29], null, v[8:9], v[8:9], s[40:41]
	v_rcp_f64_e32 v[30:31], v[28:29]
	v_fma_f64 v[32:33], -v[28:29], v[30:31], 1.0
	v_fma_f64 v[30:31], v[30:31], v[32:33], v[30:31]
	v_fma_f64 v[32:33], -v[28:29], v[30:31], 1.0
	v_fma_f64 v[30:31], v[30:31], v[32:33], v[30:31]
	v_div_scale_f64 v[32:33], vcc_lo, s[40:41], v[8:9], s[40:41]
	v_mul_f64 v[38:39], v[32:33], v[30:31]
	v_fma_f64 v[28:29], -v[28:29], v[38:39], v[32:33]
	v_div_fmas_f64 v[28:29], v[28:29], v[30:31], v[38:39]
	v_div_fixup_f64 v[8:9], v[28:29], v[8:9], s[40:41]
	v_mul_f64 v[28:29], v[18:19], v[18:19]
	v_mul_f64 v[30:31], v[28:29], 0.5
	v_fma_f64 v[48:49], v[28:29], s[8:9], s[6:7]
	v_add_f64 v[32:33], -v[30:31], 1.0
	v_fma_f64 v[48:49], v[28:29], v[48:49], s[10:11]
	v_add_f64 v[38:39], -v[32:33], 1.0
	v_fma_f64 v[48:49], v[28:29], v[48:49], s[12:13]
	v_add_f64 v[30:31], v[38:39], -v[30:31]
	v_fma_f64 v[48:49], v[28:29], v[48:49], s[14:15]
	v_mul_f64 v[38:39], v[28:29], v[28:29]
	v_fma_f64 v[30:31], v[18:19], -v[22:23], v[30:31]
	v_fma_f64 v[48:49], v[28:29], v[48:49], s[16:17]
	v_fma_f64 v[30:31], v[38:39], v[48:49], v[30:31]
	v_mul_f64 v[38:39], v[18:19], -v[28:29]
	v_mul_f64 v[48:49], v[22:23], 0.5
	v_add_f64 v[30:31], v[32:33], v[30:31]
	v_fma_f64 v[32:33], v[28:29], s[20:21], s[18:19]
	v_fma_f64 v[32:33], v[28:29], v[32:33], s[22:23]
	;; [unrolled: 1-line block ×5, first 2 shown]
	v_fma_f64 v[22:23], v[28:29], v[32:33], -v[22:23]
	v_fma_f64 v[22:23], v[38:39], s[28:29], v[22:23]
	v_add_f64 v[18:19], v[18:19], -v[22:23]
	v_and_b32_e32 v22, 1, v34
	v_cmp_eq_u32_e32 vcc_lo, 0, v22
	v_lshlrev_b32_e32 v22, 30, v34
	v_and_b32_e32 v22, 0x80000000, v22
	v_xor_b32_e32 v19, 0x80000000, v19
	v_cndmask_b32_e32 v18, v18, v30, vcc_lo
	v_cndmask_b32_e32 v19, v19, v31, vcc_lo
	v_cndmask_b32_e64 v18, 0, v18, s5
	v_xor_b32_e32 v19, v19, v22
	v_div_scale_f64 v[22:23], null, v[26:27], v[26:27], v[12:13]
	v_cndmask_b32_e64 v19, 0x7ff80000, v19, s5
	v_rcp_f64_e32 v[24:25], v[22:23]
	v_fma_f64 v[28:29], -v[22:23], v[24:25], 1.0
	v_fma_f64 v[24:25], v[24:25], v[28:29], v[24:25]
	v_fma_f64 v[28:29], -v[22:23], v[24:25], 1.0
	v_fma_f64 v[24:25], v[24:25], v[28:29], v[24:25]
	v_div_scale_f64 v[28:29], vcc_lo, v[12:13], v[26:27], v[12:13]
	v_mul_f64 v[30:31], v[28:29], v[24:25]
	v_fma_f64 v[22:23], -v[22:23], v[30:31], v[28:29]
	v_div_fmas_f64 v[22:23], v[22:23], v[24:25], v[30:31]
	v_div_fixup_f64 v[12:13], v[22:23], v[26:27], v[12:13]
	v_mul_f64 v[12:13], v[12:13], v[18:19]
	v_fma_f64 v[12:13], v[20:21], v[16:17], -v[12:13]
	v_mul_f64 v[12:13], v[8:9], v[12:13]
.LBB0_77:
	s_or_b32 exec_lo, exec_lo, s46
.LBB0_78:
	s_or_b32 exec_lo, exec_lo, s45
.LBB0_79:
	s_or_b32 exec_lo, exec_lo, s44
.LBB0_80:
	s_or_b32 exec_lo, exec_lo, s43
	v_add_nc_u32_e32 v8, 0x300, v36
	s_mov_b32 s43, exec_lo
	v_cmpx_lt_i32_e64 v8, v4
	s_cbranch_execz .LBB0_94
; %bb.81:
	v_mov_b32_e32 v10, 0
	v_mov_b32_e32 v11, 0x7ff80000
	s_mov_b32 s44, exec_lo
	v_cmpx_neq_f64_e64 0x7ff00000, |v[6:7]|
	s_cbranch_execz .LBB0_108
; %bb.82:
	v_mov_b32_e32 v10, 0
	v_mov_b32_e32 v11, 0
	s_mov_b32 s6, 0x872b020c
	s_mov_b32 s7, 0x4059f916
	s_mov_b32 s45, exec_lo
	v_cmpx_nlt_f64_e32 s[6:7], v[6:7]
	s_cbranch_execz .LBB0_107
; %bb.83:
	s_mov_b32 s7, 0xc000b851
	s_mov_b32 s6, 0xeb851eb8
	s_mov_b32 s5, exec_lo
	v_cmpx_ngt_f64_e32 s[6:7], v[6:7]
	s_xor_b32 s8, exec_lo, s5
                                        ; implicit-def: $vgpr10_vgpr11
	s_cbranch_execz .LBB0_91
; %bb.84:
	s_mov_b32 s7, 0x4000b851
	v_mov_b32_e32 v10, 0
	v_cmp_nle_f64_e64 s9, s[6:7], v[6:7]
	v_cmp_le_f64_e32 vcc_lo, s[6:7], v[6:7]
	v_mov_b32_e32 v11, 0
	s_mov_b32 s5, s9
	s_and_saveexec_b32 s7, vcc_lo
	s_cbranch_execz .LBB0_86
; %bb.85:
	v_cmp_gt_f64_e32 vcc_lo, 0x10000000, v[6:7]
	s_mov_b32 s10, 0x2537b658
	s_mov_b32 s12, 0x2624d31
	;; [unrolled: 1-line block ×4, first 2 shown]
	v_cndmask_b32_e64 v8, 0, 0x100, vcc_lo
	v_ldexp_f64 v[8:9], v[6:7], v8
	v_rsq_f64_e32 v[10:11], v[8:9]
	v_mul_f64 v[16:17], v[8:9], v[10:11]
	v_mul_f64 v[10:11], v[10:11], 0.5
	v_fma_f64 v[18:19], -v[10:11], v[16:17], 0.5
	v_fma_f64 v[16:17], v[16:17], v[18:19], v[16:17]
	v_fma_f64 v[10:11], v[10:11], v[18:19], v[10:11]
	v_fma_f64 v[18:19], -v[16:17], v[16:17], v[8:9]
	v_fma_f64 v[16:17], v[18:19], v[10:11], v[16:17]
	v_fma_f64 v[18:19], -v[16:17], v[16:17], v[8:9]
	v_fma_f64 v[10:11], v[18:19], v[10:11], v[16:17]
	v_cndmask_b32_e64 v16, 0, 0xffffff80, vcc_lo
	v_cmp_class_f64_e64 vcc_lo, v[8:9], 0x260
	v_ldexp_f64 v[10:11], v[10:11], v16
	v_add_f64 v[16:17], v[6:7], v[6:7]
	v_cndmask_b32_e32 v9, v11, v9, vcc_lo
	v_cndmask_b32_e32 v8, v10, v8, vcc_lo
	v_mul_f64 v[10:11], v[16:17], v[8:9]
	v_div_scale_f64 v[16:17], null, 0x40080000, 0x40080000, v[10:11]
	v_div_scale_f64 v[22:23], vcc_lo, v[10:11], 0x40080000, v[10:11]
	v_rcp_f64_e32 v[18:19], v[16:17]
	v_fma_f64 v[20:21], -v[16:17], v[18:19], 1.0
	v_fma_f64 v[18:19], v[18:19], v[20:21], v[18:19]
	v_fma_f64 v[20:21], -v[16:17], v[18:19], 1.0
	v_fma_f64 v[18:19], v[18:19], v[20:21], v[18:19]
	v_mul_f64 v[20:21], v[22:23], v[18:19]
	v_fma_f64 v[16:17], -v[16:17], v[20:21], v[22:23]
	v_div_fmas_f64 v[16:17], v[16:17], v[18:19], v[20:21]
	v_div_fixup_f64 v[10:11], v[16:17], 0x40080000, v[10:11]
	v_div_scale_f64 v[16:17], null, v[10:11], v[10:11], 1.0
	v_div_scale_f64 v[22:23], vcc_lo, 1.0, v[10:11], 1.0
	v_rcp_f64_e32 v[18:19], v[16:17]
	v_fma_f64 v[20:21], -v[16:17], v[18:19], 1.0
	v_fma_f64 v[18:19], v[18:19], v[20:21], v[18:19]
	v_fma_f64 v[20:21], -v[16:17], v[18:19], 1.0
	v_fma_f64 v[18:19], v[18:19], v[20:21], v[18:19]
	v_mul_f64 v[20:21], v[22:23], v[18:19]
	v_fma_f64 v[16:17], -v[16:17], v[20:21], v[22:23]
	v_div_fmas_f64 v[16:17], v[16:17], v[18:19], v[20:21]
	v_cmp_gt_f64_e32 vcc_lo, 0x10000000, v[8:9]
	v_div_fixup_f64 v[16:17], v[16:17], v[10:11], 1.0
	v_cndmask_b32_e64 v28, 0, 0x100, vcc_lo
	v_ldexp_f64 v[8:9], v[8:9], v28
	v_fma_f64 v[18:19], v[16:17], 0, s[12:13]
	v_fma_f64 v[20:21], v[16:17], 0, s[10:11]
	s_mov_b32 s10, 0x652b82fe
	s_mov_b32 s11, 0x3ff71547
	;; [unrolled: 1-line block ×3, first 2 shown]
	v_mul_f64 v[22:23], v[10:11], s[10:11]
	s_mov_b32 s10, 0x871a9067
	s_mov_b32 s11, 0x402803e3
	;; [unrolled: 1-line block ×3, first 2 shown]
	v_cmp_class_f64_e64 s6, v[8:9], 0x260
	v_fma_f64 v[18:19], v[16:17], v[18:19], s[12:13]
	v_fma_f64 v[20:21], v[16:17], v[20:21], s[10:11]
	s_mov_b32 s10, 0xde2e1e3
	s_mov_b32 s12, 0xb04d51a0
	;; [unrolled: 1-line block ×3, first 2 shown]
	v_rndne_f64_e32 v[22:23], v[22:23]
	s_mov_b32 s13, 0x405520e3
	v_fma_f64 v[18:19], v[16:17], v[18:19], s[12:13]
	v_fma_f64 v[20:21], v[16:17], v[20:21], s[10:11]
	s_mov_b32 s10, 0xfefa39ef
	s_mov_b32 s11, 0xbfe62e42
	;; [unrolled: 1-line block ×3, first 2 shown]
	v_fma_f64 v[24:25], v[22:23], s[10:11], v[10:11]
	s_mov_b32 s10, 0xee40073c
	s_mov_b32 s11, 0x406502da
	;; [unrolled: 1-line block ×3, first 2 shown]
	v_fma_f64 v[18:19], v[16:17], v[18:19], s[12:13]
	v_fma_f64 v[20:21], v[16:17], v[20:21], s[10:11]
	s_mov_b32 s10, 0x3b39803f
	s_mov_b32 s11, 0xbc7abc9e
	;; [unrolled: 1-line block ×3, first 2 shown]
	v_fma_f64 v[24:25], v[22:23], s[10:11], v[24:25]
	s_mov_b32 s10, 0x5ba1fddf
	s_mov_b32 s11, 0x4063f834
	;; [unrolled: 1-line block ×3, first 2 shown]
	v_fma_f64 v[18:19], v[16:17], v[18:19], s[12:13]
	v_fma_f64 v[20:21], v[16:17], v[20:21], s[10:11]
	s_mov_b32 s10, 0xfca7ab0c
	s_mov_b32 s12, 0x6a5dcb37
	;; [unrolled: 1-line block ×4, first 2 shown]
	v_fma_f64 v[26:27], v[24:25], s[12:13], s[10:11]
	s_mov_b32 s10, 0x4f4cea4f
	s_mov_b32 s12, 0xee91d35f
	;; [unrolled: 1-line block ×4, first 2 shown]
	v_fma_f64 v[18:19], v[16:17], v[18:19], s[12:13]
	v_fma_f64 v[20:21], v[16:17], v[20:21], s[10:11]
	s_mov_b32 s10, 0x623fde64
	s_mov_b32 s11, 0x3ec71dee
	;; [unrolled: 1-line block ×4, first 2 shown]
	v_fma_f64 v[26:27], v[24:25], v[26:27], s[10:11]
	s_mov_b32 s10, 0x5c2a0f4d
	s_mov_b32 s11, 0x402c0d8d
	v_fma_f64 v[18:19], v[16:17], v[18:19], s[12:13]
	v_fma_f64 v[20:21], v[16:17], v[20:21], s[10:11]
	s_mov_b32 s10, 0x7c89e6b0
	s_mov_b32 s11, 0x3efa0199
	v_fma_f64 v[26:27], v[24:25], v[26:27], s[10:11]
	s_mov_b32 s10, 0x14761f6e
	s_mov_b32 s11, 0x3f2a01a0
	v_fma_f64 v[18:19], v[16:17], v[18:19], 1.0
	v_fma_f64 v[16:17], v[16:17], v[20:21], 1.0
	v_rsq_f64_e32 v[20:21], v[8:9]
	v_fma_f64 v[26:27], v[24:25], v[26:27], s[10:11]
	s_mov_b32 s10, 0x1852b7b0
	s_mov_b32 s11, 0x3f56c16c
	v_div_scale_f64 v[28:29], null, v[18:19], v[18:19], v[16:17]
	v_mul_f64 v[30:31], v[8:9], v[20:21]
	v_mul_f64 v[20:21], v[20:21], 0.5
	v_fma_f64 v[26:27], v[24:25], v[26:27], s[10:11]
	s_mov_b32 s10, 0x11122322
	s_mov_b32 s11, 0x3f811111
	v_rcp_f64_e32 v[32:33], v[28:29]
	v_fma_f64 v[34:35], -v[20:21], v[30:31], 0.5
	v_fma_f64 v[26:27], v[24:25], v[26:27], s[10:11]
	s_mov_b32 s10, 0x555502a1
	s_mov_b32 s11, 0x3fa55555
	v_fma_f64 v[38:39], -v[28:29], v[32:33], 1.0
	v_fma_f64 v[30:31], v[30:31], v[34:35], v[30:31]
	v_fma_f64 v[20:21], v[20:21], v[34:35], v[20:21]
	;; [unrolled: 1-line block ×3, first 2 shown]
	s_mov_b32 s10, 0x55555511
	s_mov_b32 s11, 0x3fc55555
	v_fma_f64 v[32:33], v[32:33], v[38:39], v[32:33]
	v_fma_f64 v[34:35], -v[30:31], v[30:31], v[8:9]
	v_fma_f64 v[26:27], v[24:25], v[26:27], s[10:11]
	s_mov_b32 s10, 11
	s_mov_b32 s11, 0x3fe00000
	v_fma_f64 v[38:39], -v[28:29], v[32:33], 1.0
	v_fma_f64 v[30:31], v[34:35], v[20:21], v[30:31]
	v_div_scale_f64 v[34:35], s5, v[16:17], v[18:19], v[16:17]
	v_fma_f64 v[26:27], v[24:25], v[26:27], s[10:11]
	s_mov_b32 s10, 0x50429b6d
	s_mov_b32 s11, 0x3fe20dd7
	v_fma_f64 v[32:33], v[32:33], v[38:39], v[32:33]
	v_fma_f64 v[38:39], -v[30:31], v[30:31], v[8:9]
	v_fma_f64 v[26:27], v[24:25], v[26:27], 1.0
	v_mul_f64 v[48:49], v[34:35], v[32:33]
	v_fma_f64 v[20:21], v[38:39], v[20:21], v[30:31]
	v_cvt_i32_f64_e32 v30, v[22:23]
	v_fma_f64 v[22:23], v[24:25], v[26:27], 1.0
	v_cndmask_b32_e64 v26, 0, 0xffffff80, vcc_lo
	s_mov_b32 vcc_lo, s5
	v_cmp_ngt_f64_e64 s5, 0xc090cc00, v[10:11]
	v_fma_f64 v[24:25], -v[28:29], v[48:49], v[34:35]
	v_ldexp_f64 v[20:21], v[20:21], v26
	v_ldexp_f64 v[22:23], v[22:23], v30
	v_div_fmas_f64 v[24:25], v[24:25], v[32:33], v[48:49]
	v_cmp_nlt_f64_e32 vcc_lo, 0x40900000, v[10:11]
	v_cndmask_b32_e64 v9, v21, v9, s6
	v_cndmask_b32_e64 v8, v20, v8, s6
	v_add_f64 v[8:9], v[8:9], v[8:9]
	v_div_fixup_f64 v[10:11], v[24:25], v[18:19], v[16:17]
	v_cndmask_b32_e32 v21, 0x7ff00000, v23, vcc_lo
	s_and_b32 vcc_lo, s5, vcc_lo
	v_cndmask_b32_e32 v16, 0, v22, vcc_lo
	v_cndmask_b32_e64 v17, 0, v21, s5
	s_andn2_b32 s5, s9, exec_lo
	v_mul_f64 v[8:9], v[8:9], v[16:17]
	v_mul_f64 v[10:11], v[10:11], s[10:11]
	s_mov_b32 s10, 0xfd0a823a
	s_mov_b32 s11, 0x4020a402
	v_div_scale_f64 v[16:17], null, v[8:9], v[8:9], v[10:11]
	v_rcp_f64_e32 v[18:19], v[16:17]
	v_fma_f64 v[20:21], -v[16:17], v[18:19], 1.0
	v_fma_f64 v[18:19], v[18:19], v[20:21], v[18:19]
	v_fma_f64 v[20:21], -v[16:17], v[18:19], 1.0
	v_fma_f64 v[18:19], v[18:19], v[20:21], v[18:19]
	v_div_scale_f64 v[20:21], vcc_lo, v[10:11], v[8:9], v[10:11]
	v_mul_f64 v[22:23], v[20:21], v[18:19]
	v_fma_f64 v[16:17], -v[16:17], v[22:23], v[20:21]
	v_div_fmas_f64 v[16:17], v[16:17], v[18:19], v[22:23]
	v_cmp_nlt_f64_e32 vcc_lo, s[10:11], v[6:7]
	v_div_fixup_f64 v[10:11], v[16:17], v[8:9], v[10:11]
	s_and_b32 s6, vcc_lo, exec_lo
	s_or_b32 s5, s5, s6
.LBB0_86:
	s_or_b32 exec_lo, exec_lo, s7
	s_and_saveexec_b32 s6, s5
	s_cbranch_execz .LBB0_90
; %bb.87:
	v_mul_f64 v[8:9], v[6:7], v[6:7]
	v_mov_b32_e32 v20, 0
	v_mov_b32_e32 v22, 0
	;; [unrolled: 1-line block ×6, first 2 shown]
	s_mov_b32 s7, 0
	v_mul_f64 v[16:17], v[6:7], v[8:9]
	v_mov_b32_e32 v8, 0
	v_mov_b32_e32 v9, 0x3ff00000
.LBB0_88:                               ; =>This Inner Loop Header: Depth=1
	v_mul_f64 v[20:21], v[16:17], v[20:21]
	v_add_f64 v[22:23], v[22:23], 1.0
	v_mul_f64 v[6:7], v[16:17], v[6:7]
	v_div_scale_f64 v[24:25], null, v[22:23], v[22:23], v[20:21]
	v_div_scale_f64 v[30:31], vcc_lo, v[20:21], v[22:23], v[20:21]
	v_rcp_f64_e32 v[26:27], v[24:25]
	v_fma_f64 v[28:29], -v[24:25], v[26:27], 1.0
	v_fma_f64 v[26:27], v[26:27], v[28:29], v[26:27]
	v_fma_f64 v[28:29], -v[24:25], v[26:27], 1.0
	v_fma_f64 v[26:27], v[26:27], v[28:29], v[26:27]
	v_mul_f64 v[28:29], v[30:31], v[26:27]
	v_fma_f64 v[24:25], -v[24:25], v[28:29], v[30:31]
	v_div_fmas_f64 v[24:25], v[24:25], v[26:27], v[28:29]
	v_add_f64 v[26:27], v[22:23], 1.0
	v_div_fixup_f64 v[20:21], v[24:25], v[22:23], v[20:21]
	v_div_scale_f64 v[22:23], null, v[26:27], v[26:27], v[6:7]
	v_div_scale_f64 v[38:39], vcc_lo, v[6:7], v[26:27], v[6:7]
	v_div_scale_f64 v[24:25], null, v[26:27], v[26:27], v[20:21]
	v_rcp_f64_e32 v[28:29], v[22:23]
	v_rcp_f64_e32 v[30:31], v[24:25]
	v_fma_f64 v[32:33], -v[22:23], v[28:29], 1.0
	v_fma_f64 v[34:35], -v[24:25], v[30:31], 1.0
	v_fma_f64 v[28:29], v[28:29], v[32:33], v[28:29]
	v_fma_f64 v[30:31], v[30:31], v[34:35], v[30:31]
	v_fma_f64 v[32:33], -v[22:23], v[28:29], 1.0
	v_fma_f64 v[34:35], -v[24:25], v[30:31], 1.0
	v_fma_f64 v[28:29], v[28:29], v[32:33], v[28:29]
	v_div_scale_f64 v[32:33], s5, v[20:21], v[26:27], v[20:21]
	v_fma_f64 v[30:31], v[30:31], v[34:35], v[30:31]
	v_mul_f64 v[34:35], v[38:39], v[28:29]
	v_mul_f64 v[48:49], v[32:33], v[30:31]
	v_fma_f64 v[22:23], -v[22:23], v[34:35], v[38:39]
	v_fma_f64 v[24:25], -v[24:25], v[48:49], v[32:33]
	v_div_fmas_f64 v[28:29], v[22:23], v[28:29], v[34:35]
	s_mov_b32 vcc_lo, s5
	v_div_fmas_f64 v[22:23], v[24:25], v[30:31], v[48:49]
	v_div_fixup_f64 v[6:7], v[28:29], v[26:27], v[6:7]
	v_div_fixup_f64 v[20:21], v[22:23], v[26:27], v[20:21]
	v_add_f64 v[22:23], v[26:27], 1.0
	v_add_f64 v[8:9], v[8:9], v[20:21]
	v_div_scale_f64 v[24:25], null, v[22:23], v[22:23], v[6:7]
	v_div_scale_f64 v[38:39], vcc_lo, v[6:7], v[22:23], v[6:7]
	v_div_scale_f64 v[26:27], null, v[8:9], v[8:9], v[20:21]
	v_rcp_f64_e32 v[28:29], v[24:25]
	v_rcp_f64_e32 v[30:31], v[26:27]
	v_fma_f64 v[32:33], -v[24:25], v[28:29], 1.0
	v_fma_f64 v[34:35], -v[26:27], v[30:31], 1.0
	v_fma_f64 v[28:29], v[28:29], v[32:33], v[28:29]
	v_fma_f64 v[30:31], v[30:31], v[34:35], v[30:31]
	v_fma_f64 v[32:33], -v[24:25], v[28:29], 1.0
	v_fma_f64 v[34:35], -v[26:27], v[30:31], 1.0
	v_fma_f64 v[28:29], v[28:29], v[32:33], v[28:29]
	v_div_scale_f64 v[32:33], s5, v[20:21], v[8:9], v[20:21]
	v_fma_f64 v[30:31], v[30:31], v[34:35], v[30:31]
	v_mul_f64 v[34:35], v[38:39], v[28:29]
	v_mul_f64 v[48:49], v[32:33], v[30:31]
	v_fma_f64 v[24:25], -v[24:25], v[34:35], v[38:39]
	v_fma_f64 v[26:27], -v[26:27], v[48:49], v[32:33]
	v_div_fmas_f64 v[24:25], v[24:25], v[28:29], v[34:35]
	s_mov_b32 vcc_lo, s5
	v_div_fmas_f64 v[26:27], v[26:27], v[30:31], v[48:49]
	v_div_fixup_f64 v[6:7], v[24:25], v[22:23], v[6:7]
	v_div_fixup_f64 v[26:27], v[26:27], v[8:9], v[20:21]
	v_add_f64 v[18:19], v[18:19], v[6:7]
	v_cmp_nlt_f64_e64 s5, 0x3cb00000, |v[26:27]|
	s_or_b32 s7, s5, s7
	s_andn2_b32 exec_lo, exec_lo, s7
	s_cbranch_execnz .LBB0_88
; %bb.89:
	s_or_b32 exec_lo, exec_lo, s7
	s_mov_b32 s10, 0x42b70f8b
	s_mov_b32 s11, 0xbfd0907f
	v_mul_f64 v[6:7], v[18:19], s[10:11]
	s_mov_b32 s10, 0x962715b8
	s_mov_b32 s11, 0x3fd6b8c7
	v_fma_f64 v[6:7], v[8:9], s[10:11], v[6:7]
	v_cndmask_b32_e64 v11, v11, v7, s9
	v_cndmask_b32_e64 v10, v10, v6, s9
.LBB0_90:
	s_or_b32 exec_lo, exec_lo, s6
                                        ; implicit-def: $vgpr6_vgpr7
.LBB0_91:
	s_andn2_saveexec_b32 s46, s8
	s_cbranch_execz .LBB0_106
; %bb.92:
	v_cmp_lt_f64_e32 vcc_lo, 0x90000000, v[6:7]
	s_mov_b32 s7, 0x3fe921fb
	s_mov_b32 s6, 0x54442d18
                                        ; implicit-def: $vgpr33
                                        ; implicit-def: $vgpr22_vgpr23
	v_cndmask_b32_e64 v8, 0, 0x100, vcc_lo
	v_ldexp_f64 v[8:9], -v[6:7], v8
	v_rsq_f64_e32 v[10:11], v[8:9]
	v_mul_f64 v[16:17], v[8:9], v[10:11]
	v_mul_f64 v[10:11], v[10:11], 0.5
	v_fma_f64 v[18:19], -v[10:11], v[16:17], 0.5
	v_fma_f64 v[16:17], v[16:17], v[18:19], v[16:17]
	v_fma_f64 v[10:11], v[10:11], v[18:19], v[10:11]
	v_fma_f64 v[18:19], -v[16:17], v[16:17], v[8:9]
	v_fma_f64 v[16:17], v[18:19], v[10:11], v[16:17]
	v_fma_f64 v[18:19], -v[16:17], v[16:17], v[8:9]
	v_fma_f64 v[10:11], v[18:19], v[10:11], v[16:17]
	v_cndmask_b32_e64 v16, 0, 0xffffff80, vcc_lo
	v_cmp_class_f64_e64 vcc_lo, v[8:9], 0x260
	v_ldexp_f64 v[10:11], v[10:11], v16
	v_mul_f64 v[16:17], v[6:7], -2.0
	v_cndmask_b32_e32 v7, v11, v9, vcc_lo
	v_cndmask_b32_e32 v6, v10, v8, vcc_lo
	v_mul_f64 v[8:9], v[16:17], v[6:7]
	v_div_scale_f64 v[10:11], null, 0x40080000, 0x40080000, v[8:9]
	v_div_scale_f64 v[20:21], vcc_lo, v[8:9], 0x40080000, v[8:9]
	v_rcp_f64_e32 v[16:17], v[10:11]
	v_fma_f64 v[18:19], -v[10:11], v[16:17], 1.0
	v_fma_f64 v[16:17], v[16:17], v[18:19], v[16:17]
	v_fma_f64 v[18:19], -v[10:11], v[16:17], 1.0
	v_fma_f64 v[16:17], v[16:17], v[18:19], v[16:17]
	v_mul_f64 v[18:19], v[20:21], v[16:17]
	v_fma_f64 v[10:11], -v[10:11], v[18:19], v[20:21]
	v_div_fmas_f64 v[10:11], v[10:11], v[16:17], v[18:19]
                                        ; implicit-def: $vgpr18_vgpr19
	v_div_fixup_f64 v[8:9], v[10:11], 0x40080000, v[8:9]
	v_add_f64 v[10:11], v[8:9], s[6:7]
	v_cmp_ngt_f64_e64 s5, 0x41d00000, |v[10:11]|
	v_trig_preop_f64 v[28:29], |v[10:11]|, 0
	v_trig_preop_f64 v[26:27], |v[10:11]|, 1
	v_ldexp_f64 v[30:31], |v[10:11]|, 0xffffff80
	v_trig_preop_f64 v[24:25], |v[10:11]|, 2
	v_and_b32_e32 v34, 0x7fffffff, v11
	s_and_saveexec_b32 s7, s5
	s_xor_b32 s8, exec_lo, s7
	s_cbranch_execz .LBB0_99
; %bb.93:
	v_cmp_le_f64_e64 vcc_lo, 0x7b000000, |v[10:11]|
	v_mov_b32_e32 v64, 0
	s_mov_b32 s7, 0x3ff921fb
	s_mov_b32 s10, 0x33145c07
	;; [unrolled: 1-line block ×3, first 2 shown]
	v_cndmask_b32_e32 v17, v34, v31, vcc_lo
	v_cndmask_b32_e32 v16, v10, v30, vcc_lo
	v_mul_f64 v[18:19], v[28:29], v[16:17]
	v_mul_f64 v[20:21], v[26:27], v[16:17]
	;; [unrolled: 1-line block ×3, first 2 shown]
	v_fma_f64 v[22:23], v[28:29], v[16:17], -v[18:19]
	v_fma_f64 v[54:55], v[26:27], v[16:17], -v[20:21]
	;; [unrolled: 1-line block ×3, first 2 shown]
	v_add_f64 v[32:33], v[20:21], v[22:23]
	v_add_f64 v[38:39], v[32:33], -v[20:21]
	v_add_f64 v[50:51], v[18:19], v[32:33]
	v_add_f64 v[48:49], v[32:33], -v[38:39]
	v_add_f64 v[22:23], v[22:23], -v[38:39]
	v_ldexp_f64 v[38:39], v[50:51], -2
	v_add_f64 v[18:19], v[50:51], -v[18:19]
	v_add_f64 v[20:21], v[20:21], -v[48:49]
	v_add_f64 v[48:49], v[52:53], v[54:55]
	v_cmp_neq_f64_e64 vcc_lo, 0x7ff00000, |v[38:39]|
	v_add_f64 v[18:19], v[32:33], -v[18:19]
	v_add_f64 v[20:21], v[22:23], v[20:21]
	v_fract_f64_e32 v[22:23], v[38:39]
	v_add_f64 v[32:33], v[48:49], v[20:21]
	v_ldexp_f64 v[22:23], v[22:23], 2
	v_add_f64 v[38:39], v[18:19], v[32:33]
	v_cndmask_b32_e32 v23, 0, v23, vcc_lo
	v_cndmask_b32_e32 v22, 0, v22, vcc_lo
	v_add_f64 v[50:51], v[38:39], v[22:23]
	v_add_f64 v[18:19], v[38:39], -v[18:19]
	v_cmp_gt_f64_e32 vcc_lo, 0, v[50:51]
	v_add_f64 v[50:51], v[48:49], -v[52:53]
	v_add_f64 v[18:19], v[32:33], -v[18:19]
	v_cndmask_b32_e64 v65, 0, 0x40100000, vcc_lo
	v_add_f64 v[69:70], v[48:49], -v[50:51]
	v_add_f64 v[50:51], v[54:55], -v[50:51]
	v_add_f64 v[22:23], v[22:23], v[64:65]
	v_add_f64 v[65:66], v[32:33], -v[48:49]
	v_add_f64 v[54:55], v[52:53], -v[69:70]
	v_add_f64 v[67:68], v[38:39], v[22:23]
	;; [unrolled: 3-line block ×3, first 2 shown]
	v_cvt_i32_f64_e32 v35, v[67:68]
	v_add_f64 v[48:49], v[48:49], -v[80:81]
	v_cvt_f64_i32_e32 v[65:66], v35
	v_add_f64 v[20:21], v[20:21], v[48:49]
	v_add_f64 v[22:23], v[22:23], -v[65:66]
	v_add_f64 v[20:21], v[50:51], v[20:21]
	v_add_f64 v[48:49], v[38:39], v[22:23]
	;; [unrolled: 1-line block ×3, first 2 shown]
	v_add_f64 v[20:21], v[48:49], -v[22:23]
	v_cmp_le_f64_e32 vcc_lo, 0.5, v[48:49]
	v_add_f64 v[16:17], v[18:19], v[16:17]
	v_add_f64 v[18:19], v[38:39], -v[20:21]
	v_cndmask_b32_e64 v65, 0, 0x3ff00000, vcc_lo
	v_add_co_ci_u32_e64 v33, null, 0, v35, vcc_lo
	v_add_f64 v[16:17], v[16:17], v[18:19]
	v_add_f64 v[18:19], v[48:49], -v[64:65]
	v_add_f64 v[20:21], v[18:19], v[16:17]
	v_mul_f64 v[22:23], v[20:21], s[6:7]
	v_add_f64 v[18:19], v[20:21], -v[18:19]
	v_fma_f64 v[38:39], v[20:21], s[6:7], -v[22:23]
	v_add_f64 v[16:17], v[16:17], -v[18:19]
	v_fma_f64 v[18:19], v[20:21], s[10:11], v[38:39]
	v_fma_f64 v[16:17], v[16:17], s[6:7], v[18:19]
	v_add_f64 v[18:19], v[22:23], v[16:17]
	v_add_f64 v[20:21], v[18:19], -v[22:23]
	v_add_f64 v[22:23], v[16:17], -v[20:21]
	s_andn2_saveexec_b32 s6, s8
	s_cbranch_execz .LBB0_101
	s_branch .LBB0_100
.LBB0_94:
	s_or_b32 exec_lo, exec_lo, s43
	s_and_saveexec_b32 s5, s4
	s_xor_b32 s4, exec_lo, s5
	s_cbranch_execz .LBB0_109
.LBB0_95:
	v_mov_b32_e32 v6, 0
	v_mov_b32_e32 v36, v37
	v_lshlrev_b64 v[5:6], 3, v[5:6]
	v_add_co_u32 v5, vcc_lo, v0, v5
	v_add_co_ci_u32_e64 v6, null, v1, v6, vcc_lo
	flat_store_dwordx2 v[5:6], v[2:3]
	s_or_b32 exec_lo, exec_lo, s4
	s_mov_b32 s4, exec_lo
	v_cmpx_lt_i32_e64 v36, v4
	s_cbranch_execnz .LBB0_110
.LBB0_96:
	s_or_b32 exec_lo, exec_lo, s4
	s_mov_b32 s4, exec_lo
	v_cmpx_lt_i32_e64 v36, v4
	s_cbranch_execz .LBB0_111
.LBB0_97:
	v_add_nc_u32_e32 v2, s42, v36
	v_mov_b32_e32 v3, 0
	v_add_nc_u32_e32 v36, 0x100, v36
	v_lshlrev_b64 v[2:3], 3, v[2:3]
	v_add_co_u32 v2, vcc_lo, v0, v2
	v_add_co_ci_u32_e64 v3, null, v1, v3, vcc_lo
	flat_store_dwordx2 v[2:3], v[12:13]
	s_or_b32 exec_lo, exec_lo, s4
	s_mov_b32 s4, exec_lo
	v_cmpx_lt_i32_e64 v36, v4
	s_cbranch_execnz .LBB0_112
.LBB0_98:
	s_or_b32 exec_lo, exec_lo, s4
	s_waitcnt lgkmcnt(0)
	s_setpc_b64 s[30:31]
.LBB0_99:
	s_andn2_saveexec_b32 s6, s8
	s_cbranch_execz .LBB0_101
.LBB0_100:
	s_mov_b32 s8, 0x6dc9c883
	s_mov_b32 s9, 0x3fe45f30
	;; [unrolled: 1-line block ×3, first 2 shown]
	v_mul_f64 v[16:17], |v[10:11]|, s[8:9]
	s_mov_b32 s8, 0x54442d18
	s_mov_b32 s9, 0xbff921fb
	;; [unrolled: 1-line block ×3, first 2 shown]
	v_rndne_f64_e32 v[16:17], v[16:17]
	v_fma_f64 v[18:19], v[16:17], s[8:9], |v[10:11]|
	v_mul_f64 v[20:21], v[16:17], s[10:11]
	s_mov_b32 s8, 0x252049c0
	s_mov_b32 s9, 0xb97b839a
	v_fma_f64 v[32:33], v[16:17], s[10:11], v[18:19]
	v_add_f64 v[22:23], v[18:19], v[20:21]
	s_mov_b32 s11, 0x3c91a626
	v_add_f64 v[18:19], v[18:19], -v[22:23]
	v_add_f64 v[22:23], v[22:23], -v[32:33]
	v_add_f64 v[18:19], v[18:19], v[20:21]
	v_fma_f64 v[20:21], v[16:17], s[10:11], v[20:21]
	v_add_f64 v[18:19], v[22:23], v[18:19]
	v_add_f64 v[18:19], v[18:19], -v[20:21]
	v_fma_f64 v[20:21], v[16:17], s[8:9], v[18:19]
	v_add_f64 v[18:19], v[32:33], v[20:21]
	v_add_f64 v[22:23], v[18:19], -v[32:33]
	v_cvt_i32_f64_e32 v33, v[16:17]
	v_add_f64 v[22:23], v[20:21], -v[22:23]
.LBB0_101:
	s_or_b32 exec_lo, exec_lo, s6
                                        ; implicit-def: $vgpr32
                                        ; implicit-def: $vgpr16_vgpr17
                                        ; implicit-def: $vgpr20_vgpr21
	s_and_saveexec_b32 s6, s5
	s_xor_b32 s5, exec_lo, s6
	s_cbranch_execz .LBB0_103
; %bb.102:
	v_cmp_le_f64_e64 vcc_lo, 0x7b000000, |v[10:11]|
	v_mov_b32_e32 v54, 0
	s_mov_b32 s6, 0x54442d18
	s_mov_b32 s7, 0x3ff921fb
	;; [unrolled: 1-line block ×4, first 2 shown]
	v_cndmask_b32_e32 v17, v34, v31, vcc_lo
	v_cndmask_b32_e32 v16, v10, v30, vcc_lo
	v_mul_f64 v[20:21], v[28:29], v[16:17]
	v_mul_f64 v[30:31], v[26:27], v[16:17]
	;; [unrolled: 1-line block ×3, first 2 shown]
	v_fma_f64 v[28:29], v[28:29], v[16:17], -v[20:21]
	v_fma_f64 v[26:27], v[26:27], v[16:17], -v[30:31]
	;; [unrolled: 1-line block ×3, first 2 shown]
	v_add_f64 v[34:35], v[30:31], v[28:29]
	v_add_f64 v[38:39], v[34:35], -v[30:31]
	v_add_f64 v[50:51], v[20:21], v[34:35]
	v_add_f64 v[48:49], v[34:35], -v[38:39]
	v_add_f64 v[28:29], v[28:29], -v[38:39]
	v_ldexp_f64 v[38:39], v[50:51], -2
	v_add_f64 v[20:21], v[50:51], -v[20:21]
	v_add_f64 v[30:31], v[30:31], -v[48:49]
	v_add_f64 v[48:49], v[52:53], v[26:27]
	v_cmp_neq_f64_e64 vcc_lo, 0x7ff00000, |v[38:39]|
	v_add_f64 v[20:21], v[34:35], -v[20:21]
	v_add_f64 v[28:29], v[28:29], v[30:31]
	v_fract_f64_e32 v[30:31], v[38:39]
	v_add_f64 v[34:35], v[48:49], v[28:29]
	v_ldexp_f64 v[30:31], v[30:31], 2
	v_add_f64 v[38:39], v[20:21], v[34:35]
	v_cndmask_b32_e32 v31, 0, v31, vcc_lo
	v_cndmask_b32_e32 v30, 0, v30, vcc_lo
	v_add_f64 v[64:65], v[34:35], -v[48:49]
	v_add_f64 v[50:51], v[38:39], v[30:31]
	v_add_f64 v[20:21], v[38:39], -v[20:21]
	v_add_f64 v[70:71], v[34:35], -v[64:65]
	;; [unrolled: 1-line block ×3, first 2 shown]
	v_cmp_gt_f64_e32 vcc_lo, 0, v[50:51]
	v_add_f64 v[50:51], v[48:49], -v[52:53]
	v_add_f64 v[20:21], v[34:35], -v[20:21]
	v_cndmask_b32_e64 v55, 0, 0x40100000, vcc_lo
	v_add_f64 v[68:69], v[48:49], -v[50:51]
	v_add_f64 v[26:27], v[26:27], -v[50:51]
	;; [unrolled: 1-line block ×3, first 2 shown]
	v_add_f64 v[30:31], v[30:31], v[54:55]
	v_add_f64 v[50:51], v[52:53], -v[68:69]
	v_add_f64 v[28:29], v[28:29], v[48:49]
	v_add_f64 v[66:67], v[38:39], v[30:31]
	;; [unrolled: 1-line block ×3, first 2 shown]
	v_cvt_i32_f64_e32 v32, v[66:67]
	v_add_f64 v[24:25], v[26:27], v[28:29]
	v_cvt_f64_i32_e32 v[64:65], v32
	v_add_f64 v[16:17], v[16:17], v[24:25]
	v_add_f64 v[30:31], v[30:31], -v[64:65]
	v_add_f64 v[16:17], v[20:21], v[16:17]
	v_add_f64 v[26:27], v[38:39], v[30:31]
	v_add_f64 v[24:25], v[26:27], -v[30:31]
	v_cmp_le_f64_e32 vcc_lo, 0.5, v[26:27]
	v_add_f64 v[20:21], v[38:39], -v[24:25]
	v_cndmask_b32_e64 v55, 0, 0x3ff00000, vcc_lo
	v_add_co_ci_u32_e64 v32, null, 0, v32, vcc_lo
	v_add_f64 v[16:17], v[16:17], v[20:21]
	v_add_f64 v[20:21], v[26:27], -v[54:55]
	v_add_f64 v[24:25], v[20:21], v[16:17]
	v_mul_f64 v[26:27], v[24:25], s[6:7]
	v_add_f64 v[20:21], v[24:25], -v[20:21]
	v_fma_f64 v[28:29], v[24:25], s[6:7], -v[26:27]
	v_add_f64 v[16:17], v[16:17], -v[20:21]
	v_fma_f64 v[20:21], v[24:25], s[8:9], v[28:29]
	v_fma_f64 v[20:21], v[16:17], s[6:7], v[20:21]
	v_add_f64 v[16:17], v[26:27], v[20:21]
	v_add_f64 v[24:25], v[16:17], -v[26:27]
	v_add_f64 v[20:21], v[20:21], -v[24:25]
	s_andn2_saveexec_b32 s5, s5
	s_cbranch_execnz .LBB0_104
	s_branch .LBB0_105
.LBB0_103:
	s_andn2_saveexec_b32 s5, s5
	s_cbranch_execz .LBB0_105
.LBB0_104:
	s_mov_b32 s6, 0x6dc9c883
	s_mov_b32 s7, 0x3fe45f30
	;; [unrolled: 1-line block ×3, first 2 shown]
	v_mul_f64 v[16:17], |v[10:11]|, s[6:7]
	s_mov_b32 s6, 0x54442d18
	s_mov_b32 s7, 0xbff921fb
	;; [unrolled: 1-line block ×3, first 2 shown]
	v_rndne_f64_e32 v[24:25], v[16:17]
	v_fma_f64 v[16:17], v[24:25], s[6:7], |v[10:11]|
	v_mul_f64 v[20:21], v[24:25], s[8:9]
	s_mov_b32 s6, 0x252049c0
	s_mov_b32 s7, 0xb97b839a
	v_cvt_i32_f64_e32 v32, v[24:25]
	v_fma_f64 v[28:29], v[24:25], s[8:9], v[16:17]
	v_add_f64 v[26:27], v[16:17], v[20:21]
	s_mov_b32 s9, 0x3c91a626
	v_add_f64 v[16:17], v[16:17], -v[26:27]
	v_add_f64 v[26:27], v[26:27], -v[28:29]
	v_add_f64 v[16:17], v[16:17], v[20:21]
	v_fma_f64 v[20:21], v[24:25], s[8:9], v[20:21]
	v_add_f64 v[16:17], v[26:27], v[16:17]
	v_add_f64 v[16:17], v[16:17], -v[20:21]
	v_fma_f64 v[20:21], v[24:25], s[6:7], v[16:17]
	v_add_f64 v[16:17], v[28:29], v[20:21]
	v_add_f64 v[26:27], v[16:17], -v[28:29]
	v_add_f64 v[20:21], v[20:21], -v[26:27]
.LBB0_105:
	s_or_b32 exec_lo, exec_lo, s5
	v_div_scale_f64 v[24:25], null, v[8:9], v[8:9], 1.0
	s_mov_b32 s6, 0xd50ae6fb
	s_mov_b32 s7, 0xbfc0db6c
	;; [unrolled: 1-line block ×20, first 2 shown]
	v_rcp_f64_e32 v[26:27], v[24:25]
	s_mov_b32 s26, 0x11110bb3
	s_mov_b32 s27, 0x3f811111
	;; [unrolled: 1-line block ×4, first 2 shown]
	v_cmp_class_f64_e64 s5, v[10:11], 0x1f8
	s_mov_b32 s40, 0xddcfbbde
	s_mov_b32 s41, 0x3f943525
	v_fma_f64 v[28:29], -v[24:25], v[26:27], 1.0
	v_fma_f64 v[26:27], v[26:27], v[28:29], v[26:27]
	v_fma_f64 v[28:29], -v[24:25], v[26:27], 1.0
	v_fma_f64 v[26:27], v[26:27], v[28:29], v[26:27]
	v_div_scale_f64 v[28:29], vcc_lo, 1.0, v[8:9], 1.0
	v_mul_f64 v[30:31], v[28:29], v[26:27]
	v_fma_f64 v[24:25], -v[24:25], v[30:31], v[28:29]
	v_div_fmas_f64 v[24:25], v[24:25], v[26:27], v[30:31]
	v_mul_f64 v[30:31], v[18:19], v[18:19]
	v_div_fixup_f64 v[8:9], v[24:25], v[8:9], 1.0
	v_mul_f64 v[34:35], v[30:31], 0.5
	v_mul_f64 v[24:25], v[8:9], v[8:9]
	v_add_f64 v[38:39], -v[34:35], 1.0
	v_fma_f64 v[26:27], v[24:25], 0, s[6:7]
	s_mov_b32 s6, 0x98566852
	s_mov_b32 s7, 0xbfe40bee
	v_add_f64 v[48:49], -v[38:39], 1.0
	v_fma_f64 v[26:27], v[24:25], v[26:27], s[6:7]
	s_mov_b32 s6, 0xc2f79f7d
	s_mov_b32 s7, 0xbfe62e59
	v_add_f64 v[34:35], v[48:49], -v[34:35]
	v_mul_f64 v[48:49], v[30:31], v[30:31]
	v_fma_f64 v[26:27], v[24:25], v[26:27], s[6:7]
	s_mov_b32 s6, 0x4bb3f40b
	s_mov_b32 s7, 0xbfd1e7ea
	v_fma_f64 v[34:35], v[18:19], -v[22:23], v[34:35]
	v_fma_f64 v[26:27], v[24:25], v[26:27], s[6:7]
	s_mov_b32 s6, 0xf47dbd8a
	s_mov_b32 s7, 0xbfa92f6e
	v_fma_f64 v[26:27], v[24:25], v[26:27], s[6:7]
	s_mov_b32 s6, 0xc8d9e090
	s_mov_b32 s7, 0xbf70a401
	;; [unrolled: 3-line block ×15, first 2 shown]
	v_fma_f64 v[50:51], v[30:31], s[8:9], s[6:7]
	v_fma_f64 v[50:51], v[30:31], v[50:51], s[10:11]
	;; [unrolled: 1-line block ×6, first 2 shown]
	v_mul_f64 v[48:49], v[18:19], -v[30:31]
	v_mul_f64 v[50:51], v[22:23], 0.5
	v_add_f64 v[34:35], v[38:39], v[34:35]
	v_fma_f64 v[38:39], v[30:31], s[20:21], s[18:19]
	v_fma_f64 v[38:39], v[30:31], v[38:39], s[22:23]
	;; [unrolled: 1-line block ×5, first 2 shown]
	v_fma_f64 v[22:23], v[30:31], v[38:39], -v[22:23]
	v_fma_f64 v[22:23], v[48:49], s[28:29], v[22:23]
	v_add_f64 v[18:19], v[18:19], -v[22:23]
	v_and_b32_e32 v22, 1, v33
	v_cmp_eq_u32_e32 vcc_lo, 0, v22
	v_lshlrev_b32_e32 v22, 30, v33
	v_xor_b32_e32 v22, v22, v11
	v_and_b32_e32 v22, 0x80000000, v22
	v_cndmask_b32_e32 v19, v35, v19, vcc_lo
	v_cndmask_b32_e32 v18, v34, v18, vcc_lo
	v_xor_b32_e32 v19, v19, v22
	v_cndmask_b32_e64 v10, 0, v18, s5
	v_cndmask_b32_e64 v11, 0x7ff80000, v19, s5
	v_mul_f64 v[18:19], v[24:25], v[26:27]
	v_div_scale_f64 v[22:23], null, v[28:29], v[28:29], v[18:19]
	v_rcp_f64_e32 v[26:27], v[22:23]
	v_fma_f64 v[30:31], -v[22:23], v[26:27], 1.0
	v_fma_f64 v[26:27], v[26:27], v[30:31], v[26:27]
	v_fma_f64 v[30:31], -v[22:23], v[26:27], 1.0
	v_fma_f64 v[26:27], v[26:27], v[30:31], v[26:27]
	v_div_scale_f64 v[30:31], vcc_lo, v[18:19], v[28:29], v[18:19]
	v_mul_f64 v[33:34], v[30:31], v[26:27]
	v_fma_f64 v[22:23], -v[22:23], v[33:34], v[30:31]
	v_div_fmas_f64 v[22:23], v[22:23], v[26:27], v[33:34]
	v_cmp_gt_f64_e32 vcc_lo, 0x10000000, v[6:7]
	v_div_fixup_f64 v[18:19], v[22:23], v[28:29], v[18:19]
	v_fma_f64 v[22:23], v[24:25], 0, s[40:41]
	s_mov_b32 s40, 0x6437b7
	s_mov_b32 s41, 0x3fd907d5
	v_add_f64 v[18:19], v[18:19], 1.0
	v_fma_f64 v[22:23], v[24:25], v[22:23], s[40:41]
	s_mov_b32 s40, 0x3a2034eb
	s_mov_b32 s41, 0x3ff10d83
	v_fma_f64 v[22:23], v[24:25], v[22:23], s[40:41]
	s_mov_b32 s40, 0xa0ef1acb
	s_mov_b32 s41, 0x3fee0dac
	;; [unrolled: 3-line block ×11, first 2 shown]
	v_mul_f64 v[8:9], v[8:9], v[22:23]
	v_fma_f64 v[26:27], v[24:25], v[26:27], s[40:41]
	s_mov_b32 s40, 0x7ea7dc35
	s_mov_b32 s41, 0x402f211b
	v_fma_f64 v[26:27], v[24:25], v[26:27], s[40:41]
	s_mov_b32 s40, 0x2b79dbce
	s_mov_b32 s41, 0x4015e84e
	;; [unrolled: 3-line block ×8, first 2 shown]
	v_fma_f64 v[24:25], v[24:25], v[26:27], s[40:41]
	v_cndmask_b32_e64 v26, 0, 0x100, vcc_lo
	s_mov_b32 s40, 0x50429b6d
	s_mov_b32 s41, 0x3fe20dd7
	v_ldexp_f64 v[6:7], v[6:7], v26
	v_rsq_f64_e32 v[26:27], v[6:7]
	v_mul_f64 v[28:29], v[6:7], v[26:27]
	v_mul_f64 v[26:27], v[26:27], 0.5
	v_fma_f64 v[30:31], -v[26:27], v[28:29], 0.5
	v_fma_f64 v[28:29], v[28:29], v[30:31], v[28:29]
	v_fma_f64 v[26:27], v[26:27], v[30:31], v[26:27]
	v_fma_f64 v[33:34], -v[28:29], v[28:29], v[6:7]
	v_fma_f64 v[28:29], v[33:34], v[26:27], v[28:29]
	v_fma_f64 v[30:31], -v[28:29], v[28:29], v[6:7]
	v_fma_f64 v[26:27], v[30:31], v[26:27], v[28:29]
	v_cndmask_b32_e64 v28, 0, 0xffffff80, vcc_lo
	v_cmp_class_f64_e64 vcc_lo, v[6:7], 0x260
	v_ldexp_f64 v[26:27], v[26:27], v28
	v_cndmask_b32_e32 v7, v27, v7, vcc_lo
	v_cndmask_b32_e32 v6, v26, v6, vcc_lo
	v_div_scale_f64 v[26:27], null, v[6:7], v[6:7], s[40:41]
	v_rcp_f64_e32 v[28:29], v[26:27]
	v_fma_f64 v[30:31], -v[26:27], v[28:29], 1.0
	v_fma_f64 v[28:29], v[28:29], v[30:31], v[28:29]
	v_fma_f64 v[30:31], -v[26:27], v[28:29], 1.0
	v_fma_f64 v[28:29], v[28:29], v[30:31], v[28:29]
	v_div_scale_f64 v[30:31], vcc_lo, s[40:41], v[6:7], s[40:41]
	v_mul_f64 v[33:34], v[30:31], v[28:29]
	v_fma_f64 v[26:27], -v[26:27], v[33:34], v[30:31]
	v_div_fmas_f64 v[26:27], v[26:27], v[28:29], v[33:34]
	v_div_fixup_f64 v[6:7], v[26:27], v[6:7], s[40:41]
	v_mul_f64 v[26:27], v[16:17], v[16:17]
	v_mul_f64 v[28:29], v[26:27], 0.5
	v_fma_f64 v[38:39], v[26:27], s[8:9], s[6:7]
	v_add_f64 v[30:31], -v[28:29], 1.0
	v_fma_f64 v[38:39], v[26:27], v[38:39], s[10:11]
	v_add_f64 v[33:34], -v[30:31], 1.0
	v_fma_f64 v[38:39], v[26:27], v[38:39], s[12:13]
	v_add_f64 v[28:29], v[33:34], -v[28:29]
	v_fma_f64 v[38:39], v[26:27], v[38:39], s[14:15]
	v_mul_f64 v[33:34], v[26:27], v[26:27]
	v_fma_f64 v[28:29], v[16:17], -v[20:21], v[28:29]
	v_fma_f64 v[38:39], v[26:27], v[38:39], s[16:17]
	v_fma_f64 v[28:29], v[33:34], v[38:39], v[28:29]
	v_mul_f64 v[33:34], v[16:17], -v[26:27]
	v_mul_f64 v[38:39], v[20:21], 0.5
	v_add_f64 v[28:29], v[30:31], v[28:29]
	v_fma_f64 v[30:31], v[26:27], s[20:21], s[18:19]
	v_fma_f64 v[30:31], v[26:27], v[30:31], s[22:23]
	v_fma_f64 v[30:31], v[26:27], v[30:31], s[24:25]
	v_fma_f64 v[30:31], v[26:27], v[30:31], s[26:27]
	v_fma_f64 v[30:31], v[33:34], v[30:31], v[38:39]
	v_fma_f64 v[20:21], v[26:27], v[30:31], -v[20:21]
	v_fma_f64 v[20:21], v[33:34], s[28:29], v[20:21]
	v_add_f64 v[16:17], v[16:17], -v[20:21]
	v_and_b32_e32 v20, 1, v32
	v_cmp_eq_u32_e32 vcc_lo, 0, v20
	v_lshlrev_b32_e32 v20, 30, v32
	v_and_b32_e32 v20, 0x80000000, v20
	v_xor_b32_e32 v17, 0x80000000, v17
	v_cndmask_b32_e32 v16, v16, v28, vcc_lo
	v_cndmask_b32_e32 v17, v17, v29, vcc_lo
	v_cndmask_b32_e64 v16, 0, v16, s5
	v_xor_b32_e32 v17, v17, v20
	v_div_scale_f64 v[20:21], null, v[24:25], v[24:25], v[8:9]
	v_cndmask_b32_e64 v17, 0x7ff80000, v17, s5
	v_rcp_f64_e32 v[22:23], v[20:21]
	v_fma_f64 v[26:27], -v[20:21], v[22:23], 1.0
	v_fma_f64 v[22:23], v[22:23], v[26:27], v[22:23]
	v_fma_f64 v[26:27], -v[20:21], v[22:23], 1.0
	v_fma_f64 v[22:23], v[22:23], v[26:27], v[22:23]
	v_div_scale_f64 v[26:27], vcc_lo, v[8:9], v[24:25], v[8:9]
	v_mul_f64 v[28:29], v[26:27], v[22:23]
	v_fma_f64 v[20:21], -v[20:21], v[28:29], v[26:27]
	v_div_fmas_f64 v[20:21], v[20:21], v[22:23], v[28:29]
	v_div_fixup_f64 v[8:9], v[20:21], v[24:25], v[8:9]
	v_mul_f64 v[8:9], v[8:9], v[16:17]
	v_fma_f64 v[8:9], v[18:19], v[10:11], -v[8:9]
	v_mul_f64 v[10:11], v[6:7], v[8:9]
.LBB0_106:
	s_or_b32 exec_lo, exec_lo, s46
.LBB0_107:
	s_or_b32 exec_lo, exec_lo, s45
.LBB0_108:
	s_or_b32 exec_lo, exec_lo, s44
	s_or_b32 exec_lo, exec_lo, s43
	s_and_saveexec_b32 s5, s4
	s_xor_b32 s4, exec_lo, s5
	s_cbranch_execnz .LBB0_95
.LBB0_109:
	s_or_b32 exec_lo, exec_lo, s4
	s_mov_b32 s4, exec_lo
	v_cmpx_lt_i32_e64 v36, v4
	s_cbranch_execz .LBB0_96
.LBB0_110:
	v_add_nc_u32_e32 v2, s42, v36
	v_mov_b32_e32 v3, 0
	v_add_nc_u32_e32 v36, 0x100, v36
	v_lshlrev_b64 v[2:3], 3, v[2:3]
	v_add_co_u32 v2, vcc_lo, v0, v2
	v_add_co_ci_u32_e64 v3, null, v1, v3, vcc_lo
	flat_store_dwordx2 v[2:3], v[14:15]
	s_or_b32 exec_lo, exec_lo, s4
	s_mov_b32 s4, exec_lo
	v_cmpx_lt_i32_e64 v36, v4
	s_cbranch_execnz .LBB0_97
.LBB0_111:
	s_or_b32 exec_lo, exec_lo, s4
	s_mov_b32 s4, exec_lo
	v_cmpx_lt_i32_e64 v36, v4
	s_cbranch_execz .LBB0_98
.LBB0_112:
	v_add_nc_u32_e32 v2, s42, v36
	v_mov_b32_e32 v3, 0
	v_lshlrev_b64 v[2:3], 3, v[2:3]
	v_add_co_u32 v0, vcc_lo, v0, v2
	v_add_co_ci_u32_e64 v1, null, v1, v3, vcc_lo
	flat_store_dwordx2 v[0:1], v[10:11]
	s_or_b32 exec_lo, exec_lo, s4
	s_waitcnt lgkmcnt(0)
	s_setpc_b64 s[30:31]
.Lfunc_end0:
	.size	_ZN2at6native25elementwise_kernel_helperILb0EZZZNS0_12_GLOBAL__N_119airy_ai_kernel_cudaERNS_18TensorIteratorBaseEENKUlvE_clEvENKUlvE_clEvEUldE_NS0_6memory8policies11unroll_baseILi256ESt5arrayIPcLm2EE23TrivialOffsetCalculatorILi1EjESF_NS8_15LoadWithoutCastENS8_16StoreWithoutCastELi4ELi1EEEEEvT0_T1_, .Lfunc_end0-_ZN2at6native25elementwise_kernel_helperILb0EZZZNS0_12_GLOBAL__N_119airy_ai_kernel_cudaERNS_18TensorIteratorBaseEENKUlvE_clEvENKUlvE_clEvEUldE_NS0_6memory8policies11unroll_baseILi256ESt5arrayIPcLm2EE23TrivialOffsetCalculatorILi1EjESF_NS8_15LoadWithoutCastENS8_16StoreWithoutCastELi4ELi1EEEEEvT0_T1_
                                        ; -- End function
	.set .L_ZN2at6native25elementwise_kernel_helperILb0EZZZNS0_12_GLOBAL__N_119airy_ai_kernel_cudaERNS_18TensorIteratorBaseEENKUlvE_clEvENKUlvE_clEvEUldE_NS0_6memory8policies11unroll_baseILi256ESt5arrayIPcLm2EE23TrivialOffsetCalculatorILi1EjESF_NS8_15LoadWithoutCastENS8_16StoreWithoutCastELi4ELi1EEEEEvT0_T1_.num_vgpr, 86
	.set .L_ZN2at6native25elementwise_kernel_helperILb0EZZZNS0_12_GLOBAL__N_119airy_ai_kernel_cudaERNS_18TensorIteratorBaseEENKUlvE_clEvENKUlvE_clEvEUldE_NS0_6memory8policies11unroll_baseILi256ESt5arrayIPcLm2EE23TrivialOffsetCalculatorILi1EjESF_NS8_15LoadWithoutCastENS8_16StoreWithoutCastELi4ELi1EEEEEvT0_T1_.num_agpr, 0
	.set .L_ZN2at6native25elementwise_kernel_helperILb0EZZZNS0_12_GLOBAL__N_119airy_ai_kernel_cudaERNS_18TensorIteratorBaseEENKUlvE_clEvENKUlvE_clEvEUldE_NS0_6memory8policies11unroll_baseILi256ESt5arrayIPcLm2EE23TrivialOffsetCalculatorILi1EjESF_NS8_15LoadWithoutCastENS8_16StoreWithoutCastELi4ELi1EEEEEvT0_T1_.numbered_sgpr, 47
	.set .L_ZN2at6native25elementwise_kernel_helperILb0EZZZNS0_12_GLOBAL__N_119airy_ai_kernel_cudaERNS_18TensorIteratorBaseEENKUlvE_clEvENKUlvE_clEvEUldE_NS0_6memory8policies11unroll_baseILi256ESt5arrayIPcLm2EE23TrivialOffsetCalculatorILi1EjESF_NS8_15LoadWithoutCastENS8_16StoreWithoutCastELi4ELi1EEEEEvT0_T1_.num_named_barrier, 0
	.set .L_ZN2at6native25elementwise_kernel_helperILb0EZZZNS0_12_GLOBAL__N_119airy_ai_kernel_cudaERNS_18TensorIteratorBaseEENKUlvE_clEvENKUlvE_clEvEUldE_NS0_6memory8policies11unroll_baseILi256ESt5arrayIPcLm2EE23TrivialOffsetCalculatorILi1EjESF_NS8_15LoadWithoutCastENS8_16StoreWithoutCastELi4ELi1EEEEEvT0_T1_.private_seg_size, 0
	.set .L_ZN2at6native25elementwise_kernel_helperILb0EZZZNS0_12_GLOBAL__N_119airy_ai_kernel_cudaERNS_18TensorIteratorBaseEENKUlvE_clEvENKUlvE_clEvEUldE_NS0_6memory8policies11unroll_baseILi256ESt5arrayIPcLm2EE23TrivialOffsetCalculatorILi1EjESF_NS8_15LoadWithoutCastENS8_16StoreWithoutCastELi4ELi1EEEEEvT0_T1_.uses_vcc, 1
	.set .L_ZN2at6native25elementwise_kernel_helperILb0EZZZNS0_12_GLOBAL__N_119airy_ai_kernel_cudaERNS_18TensorIteratorBaseEENKUlvE_clEvENKUlvE_clEvEUldE_NS0_6memory8policies11unroll_baseILi256ESt5arrayIPcLm2EE23TrivialOffsetCalculatorILi1EjESF_NS8_15LoadWithoutCastENS8_16StoreWithoutCastELi4ELi1EEEEEvT0_T1_.uses_flat_scratch, 0
	.set .L_ZN2at6native25elementwise_kernel_helperILb0EZZZNS0_12_GLOBAL__N_119airy_ai_kernel_cudaERNS_18TensorIteratorBaseEENKUlvE_clEvENKUlvE_clEvEUldE_NS0_6memory8policies11unroll_baseILi256ESt5arrayIPcLm2EE23TrivialOffsetCalculatorILi1EjESF_NS8_15LoadWithoutCastENS8_16StoreWithoutCastELi4ELi1EEEEEvT0_T1_.has_dyn_sized_stack, 0
	.set .L_ZN2at6native25elementwise_kernel_helperILb0EZZZNS0_12_GLOBAL__N_119airy_ai_kernel_cudaERNS_18TensorIteratorBaseEENKUlvE_clEvENKUlvE_clEvEUldE_NS0_6memory8policies11unroll_baseILi256ESt5arrayIPcLm2EE23TrivialOffsetCalculatorILi1EjESF_NS8_15LoadWithoutCastENS8_16StoreWithoutCastELi4ELi1EEEEEvT0_T1_.has_recursion, 0
	.set .L_ZN2at6native25elementwise_kernel_helperILb0EZZZNS0_12_GLOBAL__N_119airy_ai_kernel_cudaERNS_18TensorIteratorBaseEENKUlvE_clEvENKUlvE_clEvEUldE_NS0_6memory8policies11unroll_baseILi256ESt5arrayIPcLm2EE23TrivialOffsetCalculatorILi1EjESF_NS8_15LoadWithoutCastENS8_16StoreWithoutCastELi4ELi1EEEEEvT0_T1_.has_indirect_call, 0
	.section	.AMDGPU.csdata,"",@progbits
; Function info:
; codeLenInByte = 26380
; TotalNumSgprs: 49
; NumVgprs: 86
; ScratchSize: 0
; MemoryBound: 0
	.text
	.p2align	2                               ; -- Begin function _ZN2at6native25elementwise_kernel_helperILb0EZZZNS0_12_GLOBAL__N_119airy_ai_kernel_cudaERNS_18TensorIteratorBaseEENKUlvE_clEvENKUlvE_clEvEUldE_NS0_6memory8policies10vectorizedILi4ESt5arrayIPcLm2EELi4EEEEEvT0_T1_
	.type	_ZN2at6native25elementwise_kernel_helperILb0EZZZNS0_12_GLOBAL__N_119airy_ai_kernel_cudaERNS_18TensorIteratorBaseEENKUlvE_clEvENKUlvE_clEvEUldE_NS0_6memory8policies10vectorizedILi4ESt5arrayIPcLm2EELi4EEEEEvT0_T1_,@function
_ZN2at6native25elementwise_kernel_helperILb0EZZZNS0_12_GLOBAL__N_119airy_ai_kernel_cudaERNS_18TensorIteratorBaseEENKUlvE_clEvENKUlvE_clEvEUldE_NS0_6memory8policies10vectorizedILi4ESt5arrayIPcLm2EELi4EEEEEvT0_T1_: ; @_ZN2at6native25elementwise_kernel_helperILb0EZZZNS0_12_GLOBAL__N_119airy_ai_kernel_cudaERNS_18TensorIteratorBaseEENKUlvE_clEvENKUlvE_clEvEUldE_NS0_6memory8policies10vectorizedILi4ESt5arrayIPcLm2EELi4EEEEEvT0_T1_
; %bb.0:
	s_waitcnt vmcnt(0) expcnt(0) lgkmcnt(0)
	s_lshl_b32 s4, s12, 10
	v_and_b32_e32 v4, 0x3ff, v31
	s_ashr_i32 s5, s4, 31
	s_mov_b32 s44, exec_lo
	s_lshl_b64 s[6:7], s[4:5], 3
	v_lshlrev_b32_e32 v32, 5, v4
	v_add_co_u32 v2, vcc_lo, v2, s6
	v_add_co_ci_u32_e64 v3, null, s7, v3, vcc_lo
	v_mov_b32_e32 v4, 0
	v_add_co_u32 v2, vcc_lo, v2, v32
	v_add_co_ci_u32_e64 v3, null, 0, v3, vcc_lo
	v_mov_b32_e32 v5, 0x7ff80000
	s_clause 0x1
	flat_load_dwordx4 v[10:13], v[2:3]
	flat_load_dwordx4 v[6:9], v[2:3] offset:16
	v_mov_b32_e32 v2, 0
	v_mov_b32_e32 v3, 0x7ff80000
	s_waitcnt vmcnt(1) lgkmcnt(1)
	v_cmpx_neq_f64_e64 0x7ff00000, |v[10:11]|
	s_cbranch_execz .LBB1_22
; %bb.1:
	v_mov_b32_e32 v2, 0
	v_mov_b32_e32 v3, 0
	s_mov_b32 s4, 0x872b020c
	s_mov_b32 s5, 0x4059f916
	s_mov_b32 s45, exec_lo
	v_cmpx_nlt_f64_e32 s[4:5], v[10:11]
	s_cbranch_execz .LBB1_21
; %bb.2:
	s_mov_b32 s5, 0xc000b851
	s_mov_b32 s4, 0xeb851eb8
	v_cmp_ngt_f64_e32 vcc_lo, s[4:5], v[10:11]
	s_and_saveexec_b32 s5, vcc_lo
	s_xor_b32 s8, exec_lo, s5
	s_cbranch_execz .LBB1_10
; %bb.3:
	s_mov_b32 s5, 0x4000b851
	v_mov_b32_e32 v2, 0
	v_cmp_nle_f64_e64 s9, s[4:5], v[10:11]
	v_cmp_le_f64_e32 vcc_lo, s[4:5], v[10:11]
	v_mov_b32_e32 v3, 0
	s_mov_b32 s4, s9
	s_and_saveexec_b32 s10, vcc_lo
	s_cbranch_execz .LBB1_5
; %bb.4:
	v_cmp_gt_f64_e32 vcc_lo, 0x10000000, v[10:11]
	s_mov_b32 s4, 0x2537b658
	s_mov_b32 s12, 0x2624d31
	;; [unrolled: 1-line block ×4, first 2 shown]
	v_cndmask_b32_e64 v2, 0, 0x100, vcc_lo
	v_ldexp_f64 v[2:3], v[10:11], v2
	v_rsq_f64_e32 v[14:15], v[2:3]
	v_mul_f64 v[16:17], v[2:3], v[14:15]
	v_mul_f64 v[14:15], v[14:15], 0.5
	v_fma_f64 v[18:19], -v[14:15], v[16:17], 0.5
	v_fma_f64 v[16:17], v[16:17], v[18:19], v[16:17]
	v_fma_f64 v[14:15], v[14:15], v[18:19], v[14:15]
	v_fma_f64 v[18:19], -v[16:17], v[16:17], v[2:3]
	v_fma_f64 v[16:17], v[18:19], v[14:15], v[16:17]
	v_fma_f64 v[18:19], -v[16:17], v[16:17], v[2:3]
	v_fma_f64 v[14:15], v[18:19], v[14:15], v[16:17]
	v_cndmask_b32_e64 v16, 0, 0xffffff80, vcc_lo
	v_cmp_class_f64_e64 vcc_lo, v[2:3], 0x260
	v_ldexp_f64 v[14:15], v[14:15], v16
	v_add_f64 v[16:17], v[10:11], v[10:11]
	v_cndmask_b32_e32 v3, v15, v3, vcc_lo
	v_cndmask_b32_e32 v2, v14, v2, vcc_lo
	v_mul_f64 v[14:15], v[16:17], v[2:3]
	v_div_scale_f64 v[16:17], null, 0x40080000, 0x40080000, v[14:15]
	v_div_scale_f64 v[22:23], vcc_lo, v[14:15], 0x40080000, v[14:15]
	v_rcp_f64_e32 v[18:19], v[16:17]
	v_fma_f64 v[20:21], -v[16:17], v[18:19], 1.0
	v_fma_f64 v[18:19], v[18:19], v[20:21], v[18:19]
	v_fma_f64 v[20:21], -v[16:17], v[18:19], 1.0
	v_fma_f64 v[18:19], v[18:19], v[20:21], v[18:19]
	v_mul_f64 v[20:21], v[22:23], v[18:19]
	v_fma_f64 v[16:17], -v[16:17], v[20:21], v[22:23]
	v_div_fmas_f64 v[16:17], v[16:17], v[18:19], v[20:21]
	v_div_fixup_f64 v[14:15], v[16:17], 0x40080000, v[14:15]
	v_div_scale_f64 v[16:17], null, v[14:15], v[14:15], 1.0
	v_div_scale_f64 v[22:23], vcc_lo, 1.0, v[14:15], 1.0
	v_rcp_f64_e32 v[18:19], v[16:17]
	v_fma_f64 v[20:21], -v[16:17], v[18:19], 1.0
	v_fma_f64 v[18:19], v[18:19], v[20:21], v[18:19]
	v_fma_f64 v[20:21], -v[16:17], v[18:19], 1.0
	v_fma_f64 v[18:19], v[18:19], v[20:21], v[18:19]
	v_mul_f64 v[20:21], v[22:23], v[18:19]
	v_fma_f64 v[16:17], -v[16:17], v[20:21], v[22:23]
	v_div_fmas_f64 v[16:17], v[16:17], v[18:19], v[20:21]
	v_cmp_gt_f64_e32 vcc_lo, 0x10000000, v[2:3]
	v_div_fixup_f64 v[16:17], v[16:17], v[14:15], 1.0
	v_cndmask_b32_e64 v28, 0, 0x100, vcc_lo
	v_ldexp_f64 v[2:3], v[2:3], v28
	v_fma_f64 v[18:19], v[16:17], 0, s[12:13]
	v_fma_f64 v[20:21], v[16:17], 0, s[4:5]
	s_mov_b32 s4, 0x652b82fe
	s_mov_b32 s5, 0x3ff71547
	s_mov_b32 s12, 0x5332ca5
	v_mul_f64 v[22:23], v[14:15], s[4:5]
	s_mov_b32 s4, 0x871a9067
	s_mov_b32 s5, 0x402803e3
	;; [unrolled: 1-line block ×3, first 2 shown]
	v_fma_f64 v[18:19], v[16:17], v[18:19], s[12:13]
	v_fma_f64 v[20:21], v[16:17], v[20:21], s[4:5]
	s_mov_b32 s4, 0xde2e1e3
	s_mov_b32 s12, 0xb04d51a0
	s_mov_b32 s5, 0x405311e5
	v_rndne_f64_e32 v[22:23], v[22:23]
	s_mov_b32 s13, 0x405520e3
	v_fma_f64 v[18:19], v[16:17], v[18:19], s[12:13]
	v_fma_f64 v[20:21], v[16:17], v[20:21], s[4:5]
	s_mov_b32 s4, 0xfefa39ef
	s_mov_b32 s5, 0xbfe62e42
	;; [unrolled: 1-line block ×3, first 2 shown]
	v_fma_f64 v[24:25], v[22:23], s[4:5], v[14:15]
	s_mov_b32 s4, 0xee40073c
	s_mov_b32 s5, 0x406502da
	;; [unrolled: 1-line block ×3, first 2 shown]
	v_fma_f64 v[18:19], v[16:17], v[18:19], s[12:13]
	v_fma_f64 v[20:21], v[16:17], v[20:21], s[4:5]
	s_mov_b32 s4, 0x3b39803f
	s_mov_b32 s5, 0xbc7abc9e
	;; [unrolled: 1-line block ×3, first 2 shown]
	v_fma_f64 v[24:25], v[22:23], s[4:5], v[24:25]
	s_mov_b32 s4, 0x5ba1fddf
	s_mov_b32 s5, 0x4063f834
	;; [unrolled: 1-line block ×3, first 2 shown]
	v_fma_f64 v[18:19], v[16:17], v[18:19], s[12:13]
	v_fma_f64 v[20:21], v[16:17], v[20:21], s[4:5]
	s_mov_b32 s4, 0xfca7ab0c
	s_mov_b32 s12, 0x6a5dcb37
	;; [unrolled: 1-line block ×4, first 2 shown]
	v_fma_f64 v[26:27], v[24:25], s[12:13], s[4:5]
	s_mov_b32 s4, 0x4f4cea4f
	s_mov_b32 s12, 0xee91d35f
	;; [unrolled: 1-line block ×4, first 2 shown]
	v_fma_f64 v[18:19], v[16:17], v[18:19], s[12:13]
	v_fma_f64 v[20:21], v[16:17], v[20:21], s[4:5]
	s_mov_b32 s4, 0x623fde64
	s_mov_b32 s5, 0x3ec71dee
	;; [unrolled: 1-line block ×4, first 2 shown]
	v_fma_f64 v[26:27], v[24:25], v[26:27], s[4:5]
	s_mov_b32 s4, 0x5c2a0f4d
	s_mov_b32 s5, 0x402c0d8d
	v_fma_f64 v[18:19], v[16:17], v[18:19], s[12:13]
	v_fma_f64 v[20:21], v[16:17], v[20:21], s[4:5]
	s_mov_b32 s4, 0x7c89e6b0
	s_mov_b32 s5, 0x3efa0199
	v_fma_f64 v[26:27], v[24:25], v[26:27], s[4:5]
	s_mov_b32 s4, 0x14761f6e
	s_mov_b32 s5, 0x3f2a01a0
	v_fma_f64 v[18:19], v[16:17], v[18:19], 1.0
	v_fma_f64 v[16:17], v[16:17], v[20:21], 1.0
	v_rsq_f64_e32 v[20:21], v[2:3]
	v_fma_f64 v[26:27], v[24:25], v[26:27], s[4:5]
	s_mov_b32 s4, 0x1852b7b0
	s_mov_b32 s5, 0x3f56c16c
	v_div_scale_f64 v[28:29], null, v[18:19], v[18:19], v[16:17]
	v_mul_f64 v[30:31], v[2:3], v[20:21]
	v_mul_f64 v[20:21], v[20:21], 0.5
	v_fma_f64 v[26:27], v[24:25], v[26:27], s[4:5]
	s_mov_b32 s4, 0x11122322
	s_mov_b32 s5, 0x3f811111
	v_rcp_f64_e32 v[33:34], v[28:29]
	v_fma_f64 v[35:36], -v[20:21], v[30:31], 0.5
	v_fma_f64 v[26:27], v[24:25], v[26:27], s[4:5]
	s_mov_b32 s4, 0x555502a1
	s_mov_b32 s5, 0x3fa55555
	v_fma_f64 v[37:38], -v[28:29], v[33:34], 1.0
	v_fma_f64 v[30:31], v[30:31], v[35:36], v[30:31]
	v_fma_f64 v[20:21], v[20:21], v[35:36], v[20:21]
	;; [unrolled: 1-line block ×3, first 2 shown]
	s_mov_b32 s4, 0x55555511
	s_mov_b32 s5, 0x3fc55555
	v_fma_f64 v[33:34], v[33:34], v[37:38], v[33:34]
	v_fma_f64 v[35:36], -v[30:31], v[30:31], v[2:3]
	v_fma_f64 v[26:27], v[24:25], v[26:27], s[4:5]
	s_mov_b32 s4, 11
	s_mov_b32 s5, 0x3fe00000
	v_fma_f64 v[37:38], -v[28:29], v[33:34], 1.0
	v_fma_f64 v[30:31], v[35:36], v[20:21], v[30:31]
	v_fma_f64 v[26:27], v[24:25], v[26:27], s[4:5]
	v_div_scale_f64 v[35:36], s4, v[16:17], v[18:19], v[16:17]
	v_cmp_class_f64_e64 s5, v[2:3], 0x260
	v_fma_f64 v[33:34], v[33:34], v[37:38], v[33:34]
	v_fma_f64 v[37:38], -v[30:31], v[30:31], v[2:3]
	v_fma_f64 v[26:27], v[24:25], v[26:27], 1.0
	v_mul_f64 v[48:49], v[35:36], v[33:34]
	v_fma_f64 v[20:21], v[37:38], v[20:21], v[30:31]
	v_cvt_i32_f64_e32 v30, v[22:23]
	v_fma_f64 v[22:23], v[24:25], v[26:27], 1.0
	v_cndmask_b32_e64 v26, 0, 0xffffff80, vcc_lo
	s_mov_b32 vcc_lo, s4
	v_cmp_ngt_f64_e64 s4, 0xc090cc00, v[14:15]
	v_fma_f64 v[24:25], -v[28:29], v[48:49], v[35:36]
	v_ldexp_f64 v[20:21], v[20:21], v26
	v_ldexp_f64 v[22:23], v[22:23], v30
	v_div_fmas_f64 v[24:25], v[24:25], v[33:34], v[48:49]
	v_cmp_nlt_f64_e32 vcc_lo, 0x40900000, v[14:15]
	v_cndmask_b32_e64 v3, v21, v3, s5
	v_cndmask_b32_e64 v2, v20, v2, s5
	v_add_f64 v[2:3], v[2:3], v[2:3]
	v_div_fixup_f64 v[14:15], v[24:25], v[18:19], v[16:17]
	v_cndmask_b32_e32 v21, 0x7ff00000, v23, vcc_lo
	s_and_b32 vcc_lo, s4, vcc_lo
	v_cndmask_b32_e32 v16, 0, v22, vcc_lo
	v_cndmask_b32_e64 v17, 0, v21, s4
	s_mov_b32 s4, 0x50429b6d
	s_mov_b32 s5, 0x3fe20dd7
	v_mul_f64 v[2:3], v[2:3], v[16:17]
	v_mul_f64 v[14:15], v[14:15], s[4:5]
	s_mov_b32 s4, 0xfd0a823a
	s_mov_b32 s5, 0x4020a402
	v_div_scale_f64 v[16:17], null, v[2:3], v[2:3], v[14:15]
	v_rcp_f64_e32 v[18:19], v[16:17]
	v_fma_f64 v[20:21], -v[16:17], v[18:19], 1.0
	v_fma_f64 v[18:19], v[18:19], v[20:21], v[18:19]
	v_fma_f64 v[20:21], -v[16:17], v[18:19], 1.0
	v_fma_f64 v[18:19], v[18:19], v[20:21], v[18:19]
	v_div_scale_f64 v[20:21], vcc_lo, v[14:15], v[2:3], v[14:15]
	v_mul_f64 v[22:23], v[20:21], v[18:19]
	v_fma_f64 v[16:17], -v[16:17], v[22:23], v[20:21]
	v_div_fmas_f64 v[16:17], v[16:17], v[18:19], v[22:23]
	v_cmp_nlt_f64_e32 vcc_lo, s[4:5], v[10:11]
	s_andn2_b32 s4, s9, exec_lo
	v_div_fixup_f64 v[2:3], v[16:17], v[2:3], v[14:15]
	s_and_b32 s5, vcc_lo, exec_lo
	s_or_b32 s4, s4, s5
.LBB1_5:
	s_or_b32 exec_lo, exec_lo, s10
	s_and_saveexec_b32 s5, s4
	s_cbranch_execz .LBB1_9
; %bb.6:
	v_mul_f64 v[14:15], v[10:11], v[10:11]
	v_mov_b32_e32 v20, 0
	v_mov_b32_e32 v22, 0
	;; [unrolled: 1-line block ×6, first 2 shown]
	s_mov_b32 s10, 0
	v_mul_f64 v[16:17], v[10:11], v[14:15]
	v_mov_b32_e32 v14, 0
	v_mov_b32_e32 v15, 0x3ff00000
.LBB1_7:                                ; =>This Inner Loop Header: Depth=1
	v_mul_f64 v[20:21], v[16:17], v[20:21]
	v_add_f64 v[22:23], v[22:23], 1.0
	v_mul_f64 v[10:11], v[16:17], v[10:11]
	v_div_scale_f64 v[24:25], null, v[22:23], v[22:23], v[20:21]
	v_div_scale_f64 v[30:31], vcc_lo, v[20:21], v[22:23], v[20:21]
	v_rcp_f64_e32 v[26:27], v[24:25]
	v_fma_f64 v[28:29], -v[24:25], v[26:27], 1.0
	v_fma_f64 v[26:27], v[26:27], v[28:29], v[26:27]
	v_fma_f64 v[28:29], -v[24:25], v[26:27], 1.0
	v_fma_f64 v[26:27], v[26:27], v[28:29], v[26:27]
	v_mul_f64 v[28:29], v[30:31], v[26:27]
	v_fma_f64 v[24:25], -v[24:25], v[28:29], v[30:31]
	v_div_fmas_f64 v[24:25], v[24:25], v[26:27], v[28:29]
	v_add_f64 v[26:27], v[22:23], 1.0
	v_div_fixup_f64 v[20:21], v[24:25], v[22:23], v[20:21]
	v_div_scale_f64 v[22:23], null, v[26:27], v[26:27], v[10:11]
	v_div_scale_f64 v[37:38], vcc_lo, v[10:11], v[26:27], v[10:11]
	v_div_scale_f64 v[24:25], null, v[26:27], v[26:27], v[20:21]
	v_rcp_f64_e32 v[28:29], v[22:23]
	v_rcp_f64_e32 v[30:31], v[24:25]
	v_fma_f64 v[33:34], -v[22:23], v[28:29], 1.0
	v_fma_f64 v[35:36], -v[24:25], v[30:31], 1.0
	v_fma_f64 v[28:29], v[28:29], v[33:34], v[28:29]
	v_fma_f64 v[30:31], v[30:31], v[35:36], v[30:31]
	v_fma_f64 v[33:34], -v[22:23], v[28:29], 1.0
	v_fma_f64 v[35:36], -v[24:25], v[30:31], 1.0
	v_fma_f64 v[28:29], v[28:29], v[33:34], v[28:29]
	v_div_scale_f64 v[33:34], s4, v[20:21], v[26:27], v[20:21]
	v_fma_f64 v[30:31], v[30:31], v[35:36], v[30:31]
	v_mul_f64 v[35:36], v[37:38], v[28:29]
	v_mul_f64 v[48:49], v[33:34], v[30:31]
	v_fma_f64 v[22:23], -v[22:23], v[35:36], v[37:38]
	v_fma_f64 v[24:25], -v[24:25], v[48:49], v[33:34]
	v_div_fmas_f64 v[28:29], v[22:23], v[28:29], v[35:36]
	s_mov_b32 vcc_lo, s4
	v_div_fmas_f64 v[22:23], v[24:25], v[30:31], v[48:49]
	v_div_fixup_f64 v[10:11], v[28:29], v[26:27], v[10:11]
	v_div_fixup_f64 v[20:21], v[22:23], v[26:27], v[20:21]
	v_add_f64 v[22:23], v[26:27], 1.0
	v_add_f64 v[14:15], v[14:15], v[20:21]
	v_div_scale_f64 v[24:25], null, v[22:23], v[22:23], v[10:11]
	v_div_scale_f64 v[37:38], vcc_lo, v[10:11], v[22:23], v[10:11]
	v_div_scale_f64 v[26:27], null, v[14:15], v[14:15], v[20:21]
	v_rcp_f64_e32 v[28:29], v[24:25]
	v_rcp_f64_e32 v[30:31], v[26:27]
	v_fma_f64 v[33:34], -v[24:25], v[28:29], 1.0
	v_fma_f64 v[35:36], -v[26:27], v[30:31], 1.0
	v_fma_f64 v[28:29], v[28:29], v[33:34], v[28:29]
	v_fma_f64 v[30:31], v[30:31], v[35:36], v[30:31]
	v_fma_f64 v[33:34], -v[24:25], v[28:29], 1.0
	v_fma_f64 v[35:36], -v[26:27], v[30:31], 1.0
	v_fma_f64 v[28:29], v[28:29], v[33:34], v[28:29]
	v_div_scale_f64 v[33:34], s4, v[20:21], v[14:15], v[20:21]
	v_fma_f64 v[30:31], v[30:31], v[35:36], v[30:31]
	v_mul_f64 v[35:36], v[37:38], v[28:29]
	v_mul_f64 v[48:49], v[33:34], v[30:31]
	v_fma_f64 v[24:25], -v[24:25], v[35:36], v[37:38]
	v_fma_f64 v[26:27], -v[26:27], v[48:49], v[33:34]
	v_div_fmas_f64 v[24:25], v[24:25], v[28:29], v[35:36]
	s_mov_b32 vcc_lo, s4
	v_div_fmas_f64 v[26:27], v[26:27], v[30:31], v[48:49]
	v_div_fixup_f64 v[10:11], v[24:25], v[22:23], v[10:11]
	v_div_fixup_f64 v[26:27], v[26:27], v[14:15], v[20:21]
	v_add_f64 v[18:19], v[18:19], v[10:11]
	v_cmp_nlt_f64_e64 s4, 0x3cb00000, |v[26:27]|
	s_or_b32 s10, s4, s10
	s_andn2_b32 exec_lo, exec_lo, s10
	s_cbranch_execnz .LBB1_7
; %bb.8:
	s_or_b32 exec_lo, exec_lo, s10
	s_mov_b32 s10, 0x42b70f8b
	s_mov_b32 s11, 0xbfd0907f
	v_mul_f64 v[10:11], v[18:19], s[10:11]
	s_mov_b32 s10, 0x962715b8
	s_mov_b32 s11, 0x3fd6b8c7
	v_fma_f64 v[10:11], v[14:15], s[10:11], v[10:11]
	v_cndmask_b32_e64 v3, v3, v11, s9
	v_cndmask_b32_e64 v2, v2, v10, s9
.LBB1_9:
	s_or_b32 exec_lo, exec_lo, s5
.LBB1_10:
	s_andn2_saveexec_b32 s46, s8
	s_cbranch_execz .LBB1_20
; %bb.11:
	v_cmp_lt_f64_e32 vcc_lo, 0x90000000, v[10:11]
	s_mov_b32 s5, 0x3fe921fb
	s_mov_b32 s4, 0x54442d18
                                        ; implicit-def: $vgpr34
                                        ; implicit-def: $vgpr22_vgpr23
	v_cndmask_b32_e64 v2, 0, 0x100, vcc_lo
	v_ldexp_f64 v[2:3], -v[10:11], v2
	v_mul_f64 v[10:11], v[10:11], -2.0
	v_rsq_f64_e32 v[14:15], v[2:3]
	v_mul_f64 v[16:17], v[2:3], v[14:15]
	v_mul_f64 v[14:15], v[14:15], 0.5
	v_fma_f64 v[18:19], -v[14:15], v[16:17], 0.5
	v_fma_f64 v[16:17], v[16:17], v[18:19], v[16:17]
	v_fma_f64 v[14:15], v[14:15], v[18:19], v[14:15]
	v_fma_f64 v[18:19], -v[16:17], v[16:17], v[2:3]
	v_fma_f64 v[16:17], v[18:19], v[14:15], v[16:17]
	v_fma_f64 v[18:19], -v[16:17], v[16:17], v[2:3]
	v_fma_f64 v[14:15], v[18:19], v[14:15], v[16:17]
	v_cndmask_b32_e64 v16, 0, 0xffffff80, vcc_lo
	v_cmp_class_f64_e64 vcc_lo, v[2:3], 0x260
	v_ldexp_f64 v[14:15], v[14:15], v16
	v_cndmask_b32_e32 v3, v15, v3, vcc_lo
	v_cndmask_b32_e32 v2, v14, v2, vcc_lo
	v_mul_f64 v[10:11], v[10:11], v[2:3]
	v_div_scale_f64 v[14:15], null, 0x40080000, 0x40080000, v[10:11]
	v_div_scale_f64 v[20:21], vcc_lo, v[10:11], 0x40080000, v[10:11]
	v_rcp_f64_e32 v[16:17], v[14:15]
	v_fma_f64 v[18:19], -v[14:15], v[16:17], 1.0
	v_fma_f64 v[16:17], v[16:17], v[18:19], v[16:17]
	v_fma_f64 v[18:19], -v[14:15], v[16:17], 1.0
	v_fma_f64 v[16:17], v[16:17], v[18:19], v[16:17]
	v_mul_f64 v[18:19], v[20:21], v[16:17]
	v_fma_f64 v[14:15], -v[14:15], v[18:19], v[20:21]
	v_div_fmas_f64 v[14:15], v[14:15], v[16:17], v[18:19]
                                        ; implicit-def: $vgpr18_vgpr19
	v_div_fixup_f64 v[10:11], v[14:15], 0x40080000, v[10:11]
	v_add_f64 v[14:15], v[10:11], s[4:5]
	v_cmp_ngt_f64_e64 s8, 0x41d00000, |v[14:15]|
	v_trig_preop_f64 v[28:29], |v[14:15]|, 0
	v_trig_preop_f64 v[26:27], |v[14:15]|, 1
	v_ldexp_f64 v[30:31], |v[14:15]|, 0xffffff80
	v_trig_preop_f64 v[24:25], |v[14:15]|, 2
	v_and_b32_e32 v35, 0x7fffffff, v15
	s_and_saveexec_b32 s5, s8
	s_xor_b32 s9, exec_lo, s5
	s_cbranch_execz .LBB1_13
; %bb.12:
	v_cmp_le_f64_e64 vcc_lo, 0x7b000000, |v[14:15]|
	v_mov_b32_e32 v54, 0
	s_mov_b32 s5, 0x3ff921fb
	s_mov_b32 s10, 0x33145c07
	;; [unrolled: 1-line block ×3, first 2 shown]
	v_cndmask_b32_e32 v17, v35, v31, vcc_lo
	v_cndmask_b32_e32 v16, v14, v30, vcc_lo
	v_mul_f64 v[18:19], v[28:29], v[16:17]
	v_mul_f64 v[20:21], v[26:27], v[16:17]
	;; [unrolled: 1-line block ×3, first 2 shown]
	v_fma_f64 v[22:23], v[28:29], v[16:17], -v[18:19]
	v_fma_f64 v[52:53], v[26:27], v[16:17], -v[20:21]
	;; [unrolled: 1-line block ×3, first 2 shown]
	v_add_f64 v[33:34], v[20:21], v[22:23]
	v_add_f64 v[36:37], v[33:34], -v[20:21]
	v_add_f64 v[48:49], v[18:19], v[33:34]
	v_add_f64 v[38:39], v[33:34], -v[36:37]
	v_add_f64 v[22:23], v[22:23], -v[36:37]
	v_ldexp_f64 v[36:37], v[48:49], -2
	v_add_f64 v[18:19], v[48:49], -v[18:19]
	v_add_f64 v[20:21], v[20:21], -v[38:39]
	v_add_f64 v[38:39], v[50:51], v[52:53]
	v_cmp_neq_f64_e64 vcc_lo, 0x7ff00000, |v[36:37]|
	v_add_f64 v[18:19], v[33:34], -v[18:19]
	v_add_f64 v[20:21], v[22:23], v[20:21]
	v_fract_f64_e32 v[22:23], v[36:37]
	v_add_f64 v[33:34], v[38:39], v[20:21]
	v_ldexp_f64 v[22:23], v[22:23], 2
	v_add_f64 v[36:37], v[18:19], v[33:34]
	v_cndmask_b32_e32 v23, 0, v23, vcc_lo
	v_cndmask_b32_e32 v22, 0, v22, vcc_lo
	v_add_f64 v[64:65], v[33:34], -v[38:39]
	v_add_f64 v[48:49], v[36:37], v[22:23]
	v_add_f64 v[18:19], v[36:37], -v[18:19]
	v_add_f64 v[70:71], v[33:34], -v[64:65]
	;; [unrolled: 1-line block ×3, first 2 shown]
	v_cmp_gt_f64_e32 vcc_lo, 0, v[48:49]
	v_add_f64 v[48:49], v[38:39], -v[50:51]
	v_add_f64 v[18:19], v[33:34], -v[18:19]
	v_cndmask_b32_e64 v55, 0, 0x40100000, vcc_lo
	v_add_f64 v[68:69], v[38:39], -v[48:49]
	v_add_f64 v[48:49], v[52:53], -v[48:49]
	;; [unrolled: 1-line block ×3, first 2 shown]
	v_add_f64 v[22:23], v[22:23], v[54:55]
	v_add_f64 v[52:53], v[50:51], -v[68:69]
	v_add_f64 v[20:21], v[20:21], v[38:39]
	v_add_f64 v[66:67], v[36:37], v[22:23]
	;; [unrolled: 1-line block ×3, first 2 shown]
	v_cvt_i32_f64_e32 v55, v[66:67]
	v_add_f64 v[20:21], v[48:49], v[20:21]
	v_cvt_f64_i32_e32 v[64:65], v55
	v_add_f64 v[16:17], v[16:17], v[20:21]
	v_add_f64 v[22:23], v[22:23], -v[64:65]
	v_add_f64 v[16:17], v[18:19], v[16:17]
	v_add_f64 v[38:39], v[36:37], v[22:23]
	v_add_f64 v[20:21], v[38:39], -v[22:23]
	v_cmp_le_f64_e32 vcc_lo, 0.5, v[38:39]
	v_add_f64 v[18:19], v[36:37], -v[20:21]
	v_add_co_ci_u32_e64 v34, null, 0, v55, vcc_lo
	v_cndmask_b32_e64 v55, 0, 0x3ff00000, vcc_lo
	v_add_f64 v[16:17], v[16:17], v[18:19]
	v_add_f64 v[18:19], v[38:39], -v[54:55]
	v_add_f64 v[20:21], v[18:19], v[16:17]
	v_mul_f64 v[22:23], v[20:21], s[4:5]
	v_add_f64 v[18:19], v[20:21], -v[18:19]
	v_fma_f64 v[36:37], v[20:21], s[4:5], -v[22:23]
	v_add_f64 v[16:17], v[16:17], -v[18:19]
	v_fma_f64 v[18:19], v[20:21], s[10:11], v[36:37]
	v_fma_f64 v[16:17], v[16:17], s[4:5], v[18:19]
	v_add_f64 v[18:19], v[22:23], v[16:17]
	v_add_f64 v[20:21], v[18:19], -v[22:23]
	v_add_f64 v[22:23], v[16:17], -v[20:21]
	s_andn2_saveexec_b32 s4, s9
	s_cbranch_execz .LBB1_15
	s_branch .LBB1_14
.LBB1_13:
	s_andn2_saveexec_b32 s4, s9
	s_cbranch_execz .LBB1_15
.LBB1_14:
	s_mov_b32 s10, 0x6dc9c883
	s_mov_b32 s11, 0x3fe45f30
	;; [unrolled: 1-line block ×3, first 2 shown]
	v_mul_f64 v[16:17], |v[14:15]|, s[10:11]
	s_mov_b32 s10, 0x54442d18
	s_mov_b32 s11, 0xbff921fb
	;; [unrolled: 1-line block ×3, first 2 shown]
	v_rndne_f64_e32 v[16:17], v[16:17]
	v_fma_f64 v[18:19], v[16:17], s[10:11], |v[14:15]|
	v_mul_f64 v[20:21], v[16:17], s[12:13]
	s_mov_b32 s10, 0x252049c0
	s_mov_b32 s11, 0xb97b839a
	v_fma_f64 v[33:34], v[16:17], s[12:13], v[18:19]
	v_add_f64 v[22:23], v[18:19], v[20:21]
	s_mov_b32 s13, 0x3c91a626
	v_add_f64 v[18:19], v[18:19], -v[22:23]
	v_add_f64 v[22:23], v[22:23], -v[33:34]
	v_add_f64 v[18:19], v[18:19], v[20:21]
	v_fma_f64 v[20:21], v[16:17], s[12:13], v[20:21]
	v_add_f64 v[18:19], v[22:23], v[18:19]
	v_add_f64 v[18:19], v[18:19], -v[20:21]
	v_fma_f64 v[20:21], v[16:17], s[10:11], v[18:19]
	v_add_f64 v[18:19], v[33:34], v[20:21]
	v_add_f64 v[22:23], v[18:19], -v[33:34]
	v_cvt_i32_f64_e32 v34, v[16:17]
	v_add_f64 v[22:23], v[20:21], -v[22:23]
.LBB1_15:
	s_or_b32 exec_lo, exec_lo, s4
                                        ; implicit-def: $vgpr33
                                        ; implicit-def: $vgpr16_vgpr17
                                        ; implicit-def: $vgpr20_vgpr21
	s_and_saveexec_b32 s4, s8
	s_xor_b32 s4, exec_lo, s4
	s_cbranch_execz .LBB1_17
; %bb.16:
	v_cmp_le_f64_e64 vcc_lo, 0x7b000000, |v[14:15]|
	v_mov_b32_e32 v54, 0
	s_mov_b32 s8, 0x54442d18
	s_mov_b32 s9, 0x3ff921fb
	;; [unrolled: 1-line block ×4, first 2 shown]
	v_cndmask_b32_e32 v17, v35, v31, vcc_lo
	v_cndmask_b32_e32 v16, v14, v30, vcc_lo
	v_mul_f64 v[20:21], v[28:29], v[16:17]
	v_mul_f64 v[30:31], v[26:27], v[16:17]
	;; [unrolled: 1-line block ×3, first 2 shown]
	v_fma_f64 v[28:29], v[28:29], v[16:17], -v[20:21]
	v_fma_f64 v[26:27], v[26:27], v[16:17], -v[30:31]
	;; [unrolled: 1-line block ×3, first 2 shown]
	v_add_f64 v[35:36], v[30:31], v[28:29]
	v_add_f64 v[37:38], v[35:36], -v[30:31]
	v_add_f64 v[50:51], v[20:21], v[35:36]
	v_add_f64 v[48:49], v[35:36], -v[37:38]
	v_add_f64 v[28:29], v[28:29], -v[37:38]
	v_ldexp_f64 v[37:38], v[50:51], -2
	v_add_f64 v[20:21], v[50:51], -v[20:21]
	v_add_f64 v[30:31], v[30:31], -v[48:49]
	v_add_f64 v[48:49], v[52:53], v[26:27]
	v_cmp_neq_f64_e64 vcc_lo, 0x7ff00000, |v[37:38]|
	v_add_f64 v[20:21], v[35:36], -v[20:21]
	v_add_f64 v[28:29], v[28:29], v[30:31]
	v_fract_f64_e32 v[30:31], v[37:38]
	v_add_f64 v[35:36], v[48:49], v[28:29]
	v_ldexp_f64 v[30:31], v[30:31], 2
	v_add_f64 v[37:38], v[20:21], v[35:36]
	v_cndmask_b32_e32 v31, 0, v31, vcc_lo
	v_cndmask_b32_e32 v30, 0, v30, vcc_lo
	v_add_f64 v[64:65], v[35:36], -v[48:49]
	v_add_f64 v[50:51], v[37:38], v[30:31]
	v_add_f64 v[20:21], v[37:38], -v[20:21]
	v_add_f64 v[70:71], v[35:36], -v[64:65]
	;; [unrolled: 1-line block ×3, first 2 shown]
	v_cmp_gt_f64_e32 vcc_lo, 0, v[50:51]
	v_add_f64 v[50:51], v[48:49], -v[52:53]
	v_add_f64 v[20:21], v[35:36], -v[20:21]
	v_cndmask_b32_e64 v55, 0, 0x40100000, vcc_lo
	v_add_f64 v[68:69], v[48:49], -v[50:51]
	v_add_f64 v[26:27], v[26:27], -v[50:51]
	;; [unrolled: 1-line block ×3, first 2 shown]
	v_add_f64 v[30:31], v[30:31], v[54:55]
	v_add_f64 v[50:51], v[52:53], -v[68:69]
	v_add_f64 v[28:29], v[28:29], v[48:49]
	v_add_f64 v[66:67], v[37:38], v[30:31]
	;; [unrolled: 1-line block ×3, first 2 shown]
	v_cvt_i32_f64_e32 v33, v[66:67]
	v_add_f64 v[24:25], v[26:27], v[28:29]
	v_cvt_f64_i32_e32 v[64:65], v33
	v_add_f64 v[16:17], v[16:17], v[24:25]
	v_add_f64 v[30:31], v[30:31], -v[64:65]
	v_add_f64 v[16:17], v[20:21], v[16:17]
	v_add_f64 v[26:27], v[37:38], v[30:31]
	v_add_f64 v[24:25], v[26:27], -v[30:31]
	v_cmp_le_f64_e32 vcc_lo, 0.5, v[26:27]
	v_add_f64 v[20:21], v[37:38], -v[24:25]
	v_cndmask_b32_e64 v55, 0, 0x3ff00000, vcc_lo
	v_add_co_ci_u32_e64 v33, null, 0, v33, vcc_lo
	v_add_f64 v[16:17], v[16:17], v[20:21]
	v_add_f64 v[20:21], v[26:27], -v[54:55]
	v_add_f64 v[24:25], v[20:21], v[16:17]
	v_mul_f64 v[26:27], v[24:25], s[8:9]
	v_add_f64 v[20:21], v[24:25], -v[20:21]
	v_fma_f64 v[28:29], v[24:25], s[8:9], -v[26:27]
	v_add_f64 v[16:17], v[16:17], -v[20:21]
	v_fma_f64 v[20:21], v[24:25], s[10:11], v[28:29]
	v_fma_f64 v[20:21], v[16:17], s[8:9], v[20:21]
	v_add_f64 v[16:17], v[26:27], v[20:21]
	v_add_f64 v[24:25], v[16:17], -v[26:27]
	v_add_f64 v[20:21], v[20:21], -v[24:25]
	s_andn2_saveexec_b32 s4, s4
	s_cbranch_execnz .LBB1_18
	s_branch .LBB1_19
.LBB1_17:
	s_andn2_saveexec_b32 s4, s4
	s_cbranch_execz .LBB1_19
.LBB1_18:
	s_mov_b32 s8, 0x6dc9c883
	s_mov_b32 s9, 0x3fe45f30
	;; [unrolled: 1-line block ×3, first 2 shown]
	v_mul_f64 v[16:17], |v[14:15]|, s[8:9]
	s_mov_b32 s8, 0x54442d18
	s_mov_b32 s9, 0xbff921fb
	;; [unrolled: 1-line block ×3, first 2 shown]
	v_rndne_f64_e32 v[24:25], v[16:17]
	v_fma_f64 v[16:17], v[24:25], s[8:9], |v[14:15]|
	v_mul_f64 v[20:21], v[24:25], s[10:11]
	s_mov_b32 s8, 0x252049c0
	s_mov_b32 s9, 0xb97b839a
	v_cvt_i32_f64_e32 v33, v[24:25]
	v_fma_f64 v[28:29], v[24:25], s[10:11], v[16:17]
	v_add_f64 v[26:27], v[16:17], v[20:21]
	s_mov_b32 s11, 0x3c91a626
	v_add_f64 v[16:17], v[16:17], -v[26:27]
	v_add_f64 v[26:27], v[26:27], -v[28:29]
	v_add_f64 v[16:17], v[16:17], v[20:21]
	v_fma_f64 v[20:21], v[24:25], s[10:11], v[20:21]
	v_add_f64 v[16:17], v[26:27], v[16:17]
	v_add_f64 v[16:17], v[16:17], -v[20:21]
	v_fma_f64 v[20:21], v[24:25], s[8:9], v[16:17]
	v_add_f64 v[16:17], v[28:29], v[20:21]
	v_add_f64 v[26:27], v[16:17], -v[28:29]
	v_add_f64 v[20:21], v[20:21], -v[26:27]
.LBB1_19:
	s_or_b32 exec_lo, exec_lo, s4
	v_div_scale_f64 v[24:25], null, v[10:11], v[10:11], 1.0
	s_mov_b32 s4, 0xd50ae6fb
	s_mov_b32 s5, 0xbfc0db6c
	;; [unrolled: 1-line block ×20, first 2 shown]
	v_rcp_f64_e32 v[26:27], v[24:25]
	s_mov_b32 s26, 0x19e83e5c
	s_mov_b32 s27, 0xbf2a01a0
	;; [unrolled: 1-line block ×8, first 2 shown]
	v_fma_f64 v[28:29], -v[24:25], v[26:27], 1.0
	v_fma_f64 v[26:27], v[26:27], v[28:29], v[26:27]
	v_fma_f64 v[28:29], -v[24:25], v[26:27], 1.0
	v_fma_f64 v[26:27], v[26:27], v[28:29], v[26:27]
	v_div_scale_f64 v[28:29], vcc_lo, 1.0, v[10:11], 1.0
	v_mul_f64 v[30:31], v[28:29], v[26:27]
	v_fma_f64 v[24:25], -v[24:25], v[30:31], v[28:29]
	v_div_fmas_f64 v[24:25], v[24:25], v[26:27], v[30:31]
	v_mul_f64 v[30:31], v[18:19], v[18:19]
	v_div_fixup_f64 v[10:11], v[24:25], v[10:11], 1.0
	v_mul_f64 v[35:36], v[30:31], 0.5
	v_fma_f64 v[50:51], v[30:31], s[10:11], s[8:9]
	v_mul_f64 v[24:25], v[10:11], v[10:11]
	v_add_f64 v[37:38], -v[35:36], 1.0
	v_fma_f64 v[50:51], v[30:31], v[50:51], s[12:13]
	v_fma_f64 v[26:27], v[24:25], 0, s[4:5]
	s_mov_b32 s4, 0x98566852
	s_mov_b32 s5, 0xbfe40bee
	v_add_f64 v[48:49], -v[37:38], 1.0
	v_fma_f64 v[50:51], v[30:31], v[50:51], s[14:15]
	v_fma_f64 v[26:27], v[24:25], v[26:27], s[4:5]
	s_mov_b32 s4, 0xc2f79f7d
	s_mov_b32 s5, 0xbfe62e59
	v_add_f64 v[35:36], v[48:49], -v[35:36]
	v_fma_f64 v[50:51], v[30:31], v[50:51], s[16:17]
	v_mul_f64 v[48:49], v[30:31], v[30:31]
	v_fma_f64 v[26:27], v[24:25], v[26:27], s[4:5]
	s_mov_b32 s4, 0x4bb3f40b
	s_mov_b32 s5, 0xbfd1e7ea
	v_fma_f64 v[35:36], v[18:19], -v[22:23], v[35:36]
	v_fma_f64 v[50:51], v[30:31], v[50:51], s[18:19]
	v_fma_f64 v[26:27], v[24:25], v[26:27], s[4:5]
	s_mov_b32 s4, 0xf47dbd8a
	s_mov_b32 s5, 0xbfa92f6e
	v_fma_f64 v[35:36], v[48:49], v[50:51], v[35:36]
	v_mul_f64 v[48:49], v[18:19], -v[30:31]
	v_mul_f64 v[50:51], v[22:23], 0.5
	v_fma_f64 v[26:27], v[24:25], v[26:27], s[4:5]
	s_mov_b32 s4, 0xc8d9e090
	s_mov_b32 s5, 0xbf70a401
	v_add_f64 v[35:36], v[37:38], v[35:36]
	v_fma_f64 v[37:38], v[30:31], s[22:23], s[20:21]
	v_fma_f64 v[26:27], v[24:25], v[26:27], s[4:5]
	s_mov_b32 s4, 0xaf4b009c
	s_mov_b32 s5, 0xbf24e06e
	v_fma_f64 v[37:38], v[30:31], v[37:38], s[24:25]
	v_fma_f64 v[26:27], v[24:25], v[26:27], s[4:5]
	s_mov_b32 s4, 0x1d42366d
	s_mov_b32 s5, 0xbec74a78
	v_fma_f64 v[37:38], v[30:31], v[37:38], s[26:27]
	v_fma_f64 v[26:27], v[24:25], v[26:27], s[4:5]
	s_mov_b32 s4, 0x2572edf2
	s_mov_b32 s5, 0x402ab64b
	v_fma_f64 v[28:29], v[24:25], 0, s[4:5]
	s_mov_b32 s4, 0x44787b1a
	s_mov_b32 s5, 0x4040575c
	v_fma_f64 v[37:38], v[30:31], v[37:38], s[28:29]
	v_fma_f64 v[28:29], v[24:25], v[28:29], s[4:5]
	s_mov_b32 s4, 0xa3b73410
	s_mov_b32 s5, 0x403abc98
	v_fma_f64 v[37:38], v[48:49], v[37:38], v[50:51]
	v_fma_f64 v[28:29], v[24:25], v[28:29], s[4:5]
	s_mov_b32 s4, 0x2ac99873
	s_mov_b32 s5, 0x40225fc8
	v_fma_f64 v[22:23], v[30:31], v[37:38], -v[22:23]
	v_fma_f64 v[28:29], v[24:25], v[28:29], s[4:5]
	s_mov_b32 s4, 0x39de9319
	s_mov_b32 s5, 0x3ff79acb
	v_fma_f64 v[22:23], v[48:49], s[40:41], v[22:23]
	v_fma_f64 v[28:29], v[24:25], v[28:29], s[4:5]
	s_mov_b32 s4, 0xb4045a2b
	s_mov_b32 s5, 0x3fbd9dac
	v_add_f64 v[18:19], v[18:19], -v[22:23]
	v_and_b32_e32 v22, 1, v34
	v_cmp_eq_u32_e32 vcc_lo, 0, v22
	v_lshlrev_b32_e32 v22, 30, v34
	v_xor_b32_e32 v22, v22, v15
	v_and_b32_e32 v22, 0x80000000, v22
	v_fma_f64 v[28:29], v[24:25], v[28:29], s[4:5]
	s_mov_b32 s4, 0xe03af617
	s_mov_b32 s5, 0x3f7208ca
	v_cndmask_b32_e32 v19, v36, v19, vcc_lo
	v_cndmask_b32_e32 v18, v35, v18, vcc_lo
	v_xor_b32_e32 v19, v19, v22
	v_fma_f64 v[28:29], v[24:25], v[28:29], s[4:5]
	s_mov_b32 s4, 0xaf76e73b
	s_mov_b32 s5, 0x3f13c8d7
	v_fma_f64 v[28:29], v[24:25], v[28:29], s[4:5]
	s_mov_b32 s4, 0xb99518a7
	s_mov_b32 s5, 0x3e9e52b9
	;; [unrolled: 3-line block ×3, first 2 shown]
	v_fma_f64 v[26:27], v[24:25], v[26:27], s[4:5]
	v_cmp_class_f64_e64 s4, v[14:15], 0x1f8
	v_cndmask_b32_e64 v14, 0, v18, s4
	v_cndmask_b32_e64 v15, 0x7ff80000, v19, s4
	v_mul_f64 v[18:19], v[24:25], v[26:27]
	v_div_scale_f64 v[22:23], null, v[28:29], v[28:29], v[18:19]
	v_rcp_f64_e32 v[26:27], v[22:23]
	v_fma_f64 v[30:31], -v[22:23], v[26:27], 1.0
	v_fma_f64 v[26:27], v[26:27], v[30:31], v[26:27]
	v_fma_f64 v[30:31], -v[22:23], v[26:27], 1.0
	v_fma_f64 v[26:27], v[26:27], v[30:31], v[26:27]
	v_div_scale_f64 v[30:31], vcc_lo, v[18:19], v[28:29], v[18:19]
	v_mul_f64 v[34:35], v[30:31], v[26:27]
	v_fma_f64 v[22:23], -v[22:23], v[34:35], v[30:31]
	v_div_fmas_f64 v[22:23], v[22:23], v[26:27], v[34:35]
	v_cmp_gt_f64_e32 vcc_lo, 0x10000000, v[2:3]
	v_div_fixup_f64 v[18:19], v[22:23], v[28:29], v[18:19]
	v_fma_f64 v[22:23], v[24:25], 0, s[42:43]
	s_mov_b32 s42, 0x6437b7
	s_mov_b32 s43, 0x3fd907d5
	v_add_f64 v[18:19], v[18:19], 1.0
	v_fma_f64 v[22:23], v[24:25], v[22:23], s[42:43]
	s_mov_b32 s42, 0x3a2034eb
	s_mov_b32 s43, 0x3ff10d83
	v_fma_f64 v[22:23], v[24:25], v[22:23], s[42:43]
	s_mov_b32 s42, 0xa0ef1acb
	s_mov_b32 s43, 0x3fee0dac
	v_fma_f64 v[22:23], v[24:25], v[22:23], s[42:43]
	s_mov_b32 s42, 0xcea8fe1d
	s_mov_b32 s43, 0x3fd67e69
	v_fma_f64 v[22:23], v[24:25], v[22:23], s[42:43]
	s_mov_b32 s42, 0x21e90978
	s_mov_b32 s43, 0x3fb03a41
	v_fma_f64 v[22:23], v[24:25], v[22:23], s[42:43]
	s_mov_b32 s42, 0xf12f5043
	s_mov_b32 s43, 0x3f77fe99
	v_fma_f64 v[22:23], v[24:25], v[22:23], s[42:43]
	s_mov_b32 s42, 0x600e17a2
	s_mov_b32 s43, 0x3f328976
	v_fma_f64 v[22:23], v[24:25], v[22:23], s[42:43]
	s_mov_b32 s42, 0x69f8574e
	s_mov_b32 s43, 0x3edd4f3d
	v_fma_f64 v[22:23], v[24:25], v[22:23], s[42:43]
	s_mov_b32 s42, 0xbbad11c8
	s_mov_b32 s43, 0x3e75ca92
	v_fma_f64 v[22:23], v[24:25], v[22:23], s[42:43]
	s_mov_b32 s42, 0x7d97ee7a
	s_mov_b32 s43, 0x3df778a4
	v_fma_f64 v[22:23], v[24:25], v[22:23], s[42:43]
	s_mov_b32 s42, 0xf3d56b40
	s_mov_b32 s43, 0x40229e2b
	v_fma_f64 v[26:27], v[24:25], 0, s[42:43]
	s_mov_b32 s42, 0xc0ef18d4
	s_mov_b32 s43, 0x4033d5d5
	v_mul_f64 v[10:11], v[10:11], v[22:23]
	v_fma_f64 v[26:27], v[24:25], v[26:27], s[42:43]
	s_mov_b32 s42, 0x7ea7dc35
	s_mov_b32 s43, 0x402f211b
	v_fma_f64 v[26:27], v[24:25], v[26:27], s[42:43]
	s_mov_b32 s42, 0x2b79dbce
	s_mov_b32 s43, 0x4015e84e
	;; [unrolled: 3-line block ×8, first 2 shown]
	v_fma_f64 v[24:25], v[24:25], v[26:27], s[42:43]
	v_cndmask_b32_e64 v26, 0, 0x100, vcc_lo
	s_mov_b32 s42, 0x50429b6d
	s_mov_b32 s43, 0x3fe20dd7
	v_ldexp_f64 v[2:3], v[2:3], v26
	v_rsq_f64_e32 v[26:27], v[2:3]
	v_mul_f64 v[28:29], v[2:3], v[26:27]
	v_mul_f64 v[26:27], v[26:27], 0.5
	v_fma_f64 v[30:31], -v[26:27], v[28:29], 0.5
	v_fma_f64 v[28:29], v[28:29], v[30:31], v[28:29]
	v_fma_f64 v[26:27], v[26:27], v[30:31], v[26:27]
	v_fma_f64 v[34:35], -v[28:29], v[28:29], v[2:3]
	v_fma_f64 v[28:29], v[34:35], v[26:27], v[28:29]
	v_fma_f64 v[30:31], -v[28:29], v[28:29], v[2:3]
	v_fma_f64 v[26:27], v[30:31], v[26:27], v[28:29]
	v_cndmask_b32_e64 v28, 0, 0xffffff80, vcc_lo
	v_cmp_class_f64_e64 vcc_lo, v[2:3], 0x260
	v_ldexp_f64 v[26:27], v[26:27], v28
	v_cndmask_b32_e32 v3, v27, v3, vcc_lo
	v_cndmask_b32_e32 v2, v26, v2, vcc_lo
	v_div_scale_f64 v[26:27], null, v[2:3], v[2:3], s[42:43]
	v_rcp_f64_e32 v[28:29], v[26:27]
	v_fma_f64 v[30:31], -v[26:27], v[28:29], 1.0
	v_fma_f64 v[28:29], v[28:29], v[30:31], v[28:29]
	v_fma_f64 v[30:31], -v[26:27], v[28:29], 1.0
	v_fma_f64 v[28:29], v[28:29], v[30:31], v[28:29]
	v_div_scale_f64 v[30:31], vcc_lo, s[42:43], v[2:3], s[42:43]
	v_mul_f64 v[34:35], v[30:31], v[28:29]
	v_fma_f64 v[26:27], -v[26:27], v[34:35], v[30:31]
	v_div_fmas_f64 v[26:27], v[26:27], v[28:29], v[34:35]
	v_div_fixup_f64 v[2:3], v[26:27], v[2:3], s[42:43]
	v_mul_f64 v[26:27], v[16:17], v[16:17]
	v_mul_f64 v[28:29], v[26:27], 0.5
	v_fma_f64 v[36:37], v[26:27], s[10:11], s[8:9]
	v_add_f64 v[30:31], -v[28:29], 1.0
	v_fma_f64 v[36:37], v[26:27], v[36:37], s[12:13]
	v_add_f64 v[34:35], -v[30:31], 1.0
	v_fma_f64 v[36:37], v[26:27], v[36:37], s[14:15]
	v_add_f64 v[28:29], v[34:35], -v[28:29]
	v_fma_f64 v[36:37], v[26:27], v[36:37], s[16:17]
	v_mul_f64 v[34:35], v[26:27], v[26:27]
	v_fma_f64 v[28:29], v[16:17], -v[20:21], v[28:29]
	v_fma_f64 v[36:37], v[26:27], v[36:37], s[18:19]
	v_fma_f64 v[28:29], v[34:35], v[36:37], v[28:29]
	v_mul_f64 v[34:35], v[16:17], -v[26:27]
	v_mul_f64 v[36:37], v[20:21], 0.5
	v_add_f64 v[28:29], v[30:31], v[28:29]
	v_fma_f64 v[30:31], v[26:27], s[22:23], s[20:21]
	v_fma_f64 v[30:31], v[26:27], v[30:31], s[24:25]
	;; [unrolled: 1-line block ×5, first 2 shown]
	v_fma_f64 v[20:21], v[26:27], v[30:31], -v[20:21]
	v_fma_f64 v[20:21], v[34:35], s[40:41], v[20:21]
	v_add_f64 v[16:17], v[16:17], -v[20:21]
	v_and_b32_e32 v20, 1, v33
	v_cmp_eq_u32_e32 vcc_lo, 0, v20
	v_lshlrev_b32_e32 v20, 30, v33
	v_and_b32_e32 v20, 0x80000000, v20
	v_xor_b32_e32 v17, 0x80000000, v17
	v_cndmask_b32_e32 v16, v16, v28, vcc_lo
	v_cndmask_b32_e32 v17, v17, v29, vcc_lo
	v_cndmask_b32_e64 v16, 0, v16, s4
	v_xor_b32_e32 v17, v17, v20
	v_div_scale_f64 v[20:21], null, v[24:25], v[24:25], v[10:11]
	v_cndmask_b32_e64 v17, 0x7ff80000, v17, s4
	v_rcp_f64_e32 v[22:23], v[20:21]
	v_fma_f64 v[26:27], -v[20:21], v[22:23], 1.0
	v_fma_f64 v[22:23], v[22:23], v[26:27], v[22:23]
	v_fma_f64 v[26:27], -v[20:21], v[22:23], 1.0
	v_fma_f64 v[22:23], v[22:23], v[26:27], v[22:23]
	v_div_scale_f64 v[26:27], vcc_lo, v[10:11], v[24:25], v[10:11]
	v_mul_f64 v[28:29], v[26:27], v[22:23]
	v_fma_f64 v[20:21], -v[20:21], v[28:29], v[26:27]
	v_div_fmas_f64 v[20:21], v[20:21], v[22:23], v[28:29]
	v_div_fixup_f64 v[10:11], v[20:21], v[24:25], v[10:11]
	v_mul_f64 v[10:11], v[10:11], v[16:17]
	v_fma_f64 v[10:11], v[18:19], v[14:15], -v[10:11]
	v_mul_f64 v[2:3], v[2:3], v[10:11]
.LBB1_20:
	s_or_b32 exec_lo, exec_lo, s46
.LBB1_21:
	s_or_b32 exec_lo, exec_lo, s45
.LBB1_22:
	s_or_b32 exec_lo, exec_lo, s44
	s_mov_b32 s44, exec_lo
	v_cmpx_neq_f64_e64 0x7ff00000, |v[12:13]|
	s_cbranch_execz .LBB1_44
; %bb.23:
	v_mov_b32_e32 v4, 0
	v_mov_b32_e32 v5, 0
	s_mov_b32 s4, 0x872b020c
	s_mov_b32 s5, 0x4059f916
	s_mov_b32 s45, exec_lo
	v_cmpx_nlt_f64_e32 s[4:5], v[12:13]
	s_cbranch_execz .LBB1_43
; %bb.24:
	s_mov_b32 s5, 0xc000b851
	s_mov_b32 s4, 0xeb851eb8
	v_cmp_ngt_f64_e32 vcc_lo, s[4:5], v[12:13]
	s_and_saveexec_b32 s5, vcc_lo
	s_xor_b32 s8, exec_lo, s5
	s_cbranch_execz .LBB1_32
; %bb.25:
	s_mov_b32 s5, 0x4000b851
	v_mov_b32_e32 v4, 0
	v_cmp_nle_f64_e64 s9, s[4:5], v[12:13]
	v_cmp_le_f64_e32 vcc_lo, s[4:5], v[12:13]
	v_mov_b32_e32 v5, 0
	s_mov_b32 s4, s9
	s_and_saveexec_b32 s10, vcc_lo
	s_cbranch_execz .LBB1_27
; %bb.26:
	v_cmp_gt_f64_e32 vcc_lo, 0x10000000, v[12:13]
	s_mov_b32 s4, 0x2537b658
	s_mov_b32 s12, 0x2624d31
	;; [unrolled: 1-line block ×4, first 2 shown]
	v_cndmask_b32_e64 v4, 0, 0x100, vcc_lo
	v_ldexp_f64 v[4:5], v[12:13], v4
	v_rsq_f64_e32 v[10:11], v[4:5]
	v_mul_f64 v[14:15], v[4:5], v[10:11]
	v_mul_f64 v[10:11], v[10:11], 0.5
	v_fma_f64 v[16:17], -v[10:11], v[14:15], 0.5
	v_fma_f64 v[14:15], v[14:15], v[16:17], v[14:15]
	v_fma_f64 v[10:11], v[10:11], v[16:17], v[10:11]
	v_fma_f64 v[16:17], -v[14:15], v[14:15], v[4:5]
	v_fma_f64 v[14:15], v[16:17], v[10:11], v[14:15]
	v_fma_f64 v[16:17], -v[14:15], v[14:15], v[4:5]
	v_fma_f64 v[10:11], v[16:17], v[10:11], v[14:15]
	v_cndmask_b32_e64 v14, 0, 0xffffff80, vcc_lo
	v_cmp_class_f64_e64 vcc_lo, v[4:5], 0x260
	v_ldexp_f64 v[10:11], v[10:11], v14
	v_add_f64 v[14:15], v[12:13], v[12:13]
	v_cndmask_b32_e32 v5, v11, v5, vcc_lo
	v_cndmask_b32_e32 v4, v10, v4, vcc_lo
	v_mul_f64 v[10:11], v[14:15], v[4:5]
	v_div_scale_f64 v[14:15], null, 0x40080000, 0x40080000, v[10:11]
	v_div_scale_f64 v[20:21], vcc_lo, v[10:11], 0x40080000, v[10:11]
	v_rcp_f64_e32 v[16:17], v[14:15]
	v_fma_f64 v[18:19], -v[14:15], v[16:17], 1.0
	v_fma_f64 v[16:17], v[16:17], v[18:19], v[16:17]
	v_fma_f64 v[18:19], -v[14:15], v[16:17], 1.0
	v_fma_f64 v[16:17], v[16:17], v[18:19], v[16:17]
	v_mul_f64 v[18:19], v[20:21], v[16:17]
	v_fma_f64 v[14:15], -v[14:15], v[18:19], v[20:21]
	v_div_fmas_f64 v[14:15], v[14:15], v[16:17], v[18:19]
	v_div_fixup_f64 v[10:11], v[14:15], 0x40080000, v[10:11]
	v_div_scale_f64 v[14:15], null, v[10:11], v[10:11], 1.0
	v_div_scale_f64 v[20:21], vcc_lo, 1.0, v[10:11], 1.0
	v_rcp_f64_e32 v[16:17], v[14:15]
	v_fma_f64 v[18:19], -v[14:15], v[16:17], 1.0
	v_fma_f64 v[16:17], v[16:17], v[18:19], v[16:17]
	v_fma_f64 v[18:19], -v[14:15], v[16:17], 1.0
	v_fma_f64 v[16:17], v[16:17], v[18:19], v[16:17]
	v_mul_f64 v[18:19], v[20:21], v[16:17]
	v_fma_f64 v[14:15], -v[14:15], v[18:19], v[20:21]
	v_div_fmas_f64 v[14:15], v[14:15], v[16:17], v[18:19]
	v_cmp_gt_f64_e32 vcc_lo, 0x10000000, v[4:5]
	v_div_fixup_f64 v[14:15], v[14:15], v[10:11], 1.0
	v_cndmask_b32_e64 v26, 0, 0x100, vcc_lo
	v_ldexp_f64 v[4:5], v[4:5], v26
	v_fma_f64 v[16:17], v[14:15], 0, s[12:13]
	v_fma_f64 v[18:19], v[14:15], 0, s[4:5]
	s_mov_b32 s4, 0x652b82fe
	s_mov_b32 s5, 0x3ff71547
	;; [unrolled: 1-line block ×3, first 2 shown]
	v_mul_f64 v[20:21], v[10:11], s[4:5]
	s_mov_b32 s4, 0x871a9067
	s_mov_b32 s5, 0x402803e3
	;; [unrolled: 1-line block ×3, first 2 shown]
	v_fma_f64 v[16:17], v[14:15], v[16:17], s[12:13]
	v_fma_f64 v[18:19], v[14:15], v[18:19], s[4:5]
	s_mov_b32 s4, 0xde2e1e3
	s_mov_b32 s12, 0xb04d51a0
	;; [unrolled: 1-line block ×3, first 2 shown]
	v_rndne_f64_e32 v[20:21], v[20:21]
	s_mov_b32 s13, 0x405520e3
	v_fma_f64 v[16:17], v[14:15], v[16:17], s[12:13]
	v_fma_f64 v[18:19], v[14:15], v[18:19], s[4:5]
	s_mov_b32 s4, 0xfefa39ef
	s_mov_b32 s5, 0xbfe62e42
	;; [unrolled: 1-line block ×3, first 2 shown]
	v_fma_f64 v[22:23], v[20:21], s[4:5], v[10:11]
	s_mov_b32 s4, 0xee40073c
	s_mov_b32 s5, 0x406502da
	;; [unrolled: 1-line block ×3, first 2 shown]
	v_fma_f64 v[16:17], v[14:15], v[16:17], s[12:13]
	v_fma_f64 v[18:19], v[14:15], v[18:19], s[4:5]
	s_mov_b32 s4, 0x3b39803f
	s_mov_b32 s5, 0xbc7abc9e
	;; [unrolled: 1-line block ×3, first 2 shown]
	v_fma_f64 v[22:23], v[20:21], s[4:5], v[22:23]
	s_mov_b32 s4, 0x5ba1fddf
	s_mov_b32 s5, 0x4063f834
	;; [unrolled: 1-line block ×3, first 2 shown]
	v_fma_f64 v[16:17], v[14:15], v[16:17], s[12:13]
	v_fma_f64 v[18:19], v[14:15], v[18:19], s[4:5]
	s_mov_b32 s4, 0xfca7ab0c
	s_mov_b32 s12, 0x6a5dcb37
	;; [unrolled: 1-line block ×4, first 2 shown]
	v_fma_f64 v[24:25], v[22:23], s[12:13], s[4:5]
	s_mov_b32 s4, 0x4f4cea4f
	s_mov_b32 s12, 0xee91d35f
	;; [unrolled: 1-line block ×4, first 2 shown]
	v_fma_f64 v[16:17], v[14:15], v[16:17], s[12:13]
	v_fma_f64 v[18:19], v[14:15], v[18:19], s[4:5]
	s_mov_b32 s4, 0x623fde64
	s_mov_b32 s5, 0x3ec71dee
	;; [unrolled: 1-line block ×4, first 2 shown]
	v_fma_f64 v[24:25], v[22:23], v[24:25], s[4:5]
	s_mov_b32 s4, 0x5c2a0f4d
	s_mov_b32 s5, 0x402c0d8d
	v_fma_f64 v[16:17], v[14:15], v[16:17], s[12:13]
	v_fma_f64 v[18:19], v[14:15], v[18:19], s[4:5]
	s_mov_b32 s4, 0x7c89e6b0
	s_mov_b32 s5, 0x3efa0199
	v_fma_f64 v[24:25], v[22:23], v[24:25], s[4:5]
	s_mov_b32 s4, 0x14761f6e
	s_mov_b32 s5, 0x3f2a01a0
	v_fma_f64 v[16:17], v[14:15], v[16:17], 1.0
	v_fma_f64 v[14:15], v[14:15], v[18:19], 1.0
	v_rsq_f64_e32 v[18:19], v[4:5]
	v_fma_f64 v[24:25], v[22:23], v[24:25], s[4:5]
	s_mov_b32 s4, 0x1852b7b0
	s_mov_b32 s5, 0x3f56c16c
	v_div_scale_f64 v[26:27], null, v[16:17], v[16:17], v[14:15]
	v_mul_f64 v[28:29], v[4:5], v[18:19]
	v_mul_f64 v[18:19], v[18:19], 0.5
	v_fma_f64 v[24:25], v[22:23], v[24:25], s[4:5]
	s_mov_b32 s4, 0x11122322
	s_mov_b32 s5, 0x3f811111
	v_rcp_f64_e32 v[30:31], v[26:27]
	v_fma_f64 v[33:34], -v[18:19], v[28:29], 0.5
	v_fma_f64 v[24:25], v[22:23], v[24:25], s[4:5]
	s_mov_b32 s4, 0x555502a1
	s_mov_b32 s5, 0x3fa55555
	v_fma_f64 v[35:36], -v[26:27], v[30:31], 1.0
	v_fma_f64 v[28:29], v[28:29], v[33:34], v[28:29]
	v_fma_f64 v[18:19], v[18:19], v[33:34], v[18:19]
	;; [unrolled: 1-line block ×3, first 2 shown]
	s_mov_b32 s4, 0x55555511
	s_mov_b32 s5, 0x3fc55555
	v_fma_f64 v[30:31], v[30:31], v[35:36], v[30:31]
	v_fma_f64 v[33:34], -v[28:29], v[28:29], v[4:5]
	v_fma_f64 v[24:25], v[22:23], v[24:25], s[4:5]
	s_mov_b32 s4, 11
	s_mov_b32 s5, 0x3fe00000
	v_fma_f64 v[35:36], -v[26:27], v[30:31], 1.0
	v_fma_f64 v[28:29], v[33:34], v[18:19], v[28:29]
	v_fma_f64 v[24:25], v[22:23], v[24:25], s[4:5]
	v_div_scale_f64 v[33:34], s4, v[14:15], v[16:17], v[14:15]
	v_cmp_class_f64_e64 s5, v[4:5], 0x260
	v_fma_f64 v[30:31], v[30:31], v[35:36], v[30:31]
	v_fma_f64 v[35:36], -v[28:29], v[28:29], v[4:5]
	v_fma_f64 v[24:25], v[22:23], v[24:25], 1.0
	v_mul_f64 v[37:38], v[33:34], v[30:31]
	v_fma_f64 v[18:19], v[35:36], v[18:19], v[28:29]
	v_cvt_i32_f64_e32 v28, v[20:21]
	v_fma_f64 v[20:21], v[22:23], v[24:25], 1.0
	v_cndmask_b32_e64 v24, 0, 0xffffff80, vcc_lo
	s_mov_b32 vcc_lo, s4
	v_cmp_ngt_f64_e64 s4, 0xc090cc00, v[10:11]
	v_fma_f64 v[22:23], -v[26:27], v[37:38], v[33:34]
	v_ldexp_f64 v[18:19], v[18:19], v24
	v_ldexp_f64 v[20:21], v[20:21], v28
	v_div_fmas_f64 v[22:23], v[22:23], v[30:31], v[37:38]
	v_cmp_nlt_f64_e32 vcc_lo, 0x40900000, v[10:11]
	v_cndmask_b32_e64 v5, v19, v5, s5
	v_cndmask_b32_e64 v4, v18, v4, s5
	v_add_f64 v[4:5], v[4:5], v[4:5]
	v_div_fixup_f64 v[10:11], v[22:23], v[16:17], v[14:15]
	v_cndmask_b32_e32 v19, 0x7ff00000, v21, vcc_lo
	s_and_b32 vcc_lo, s4, vcc_lo
	v_cndmask_b32_e32 v14, 0, v20, vcc_lo
	v_cndmask_b32_e64 v15, 0, v19, s4
	s_mov_b32 s4, 0x50429b6d
	s_mov_b32 s5, 0x3fe20dd7
	v_mul_f64 v[4:5], v[4:5], v[14:15]
	v_mul_f64 v[10:11], v[10:11], s[4:5]
	s_mov_b32 s4, 0xfd0a823a
	s_mov_b32 s5, 0x4020a402
	v_div_scale_f64 v[14:15], null, v[4:5], v[4:5], v[10:11]
	v_rcp_f64_e32 v[16:17], v[14:15]
	v_fma_f64 v[18:19], -v[14:15], v[16:17], 1.0
	v_fma_f64 v[16:17], v[16:17], v[18:19], v[16:17]
	v_fma_f64 v[18:19], -v[14:15], v[16:17], 1.0
	v_fma_f64 v[16:17], v[16:17], v[18:19], v[16:17]
	v_div_scale_f64 v[18:19], vcc_lo, v[10:11], v[4:5], v[10:11]
	v_mul_f64 v[20:21], v[18:19], v[16:17]
	v_fma_f64 v[14:15], -v[14:15], v[20:21], v[18:19]
	v_div_fmas_f64 v[14:15], v[14:15], v[16:17], v[20:21]
	v_cmp_nlt_f64_e32 vcc_lo, s[4:5], v[12:13]
	s_andn2_b32 s4, s9, exec_lo
	v_div_fixup_f64 v[4:5], v[14:15], v[4:5], v[10:11]
	s_and_b32 s5, vcc_lo, exec_lo
	s_or_b32 s4, s4, s5
.LBB1_27:
	s_or_b32 exec_lo, exec_lo, s10
	s_and_saveexec_b32 s5, s4
	s_cbranch_execz .LBB1_31
; %bb.28:
	v_mul_f64 v[10:11], v[12:13], v[12:13]
	v_mov_b32_e32 v18, 0
	v_mov_b32_e32 v20, 0
	;; [unrolled: 1-line block ×6, first 2 shown]
	s_mov_b32 s10, 0
	v_mul_f64 v[14:15], v[12:13], v[10:11]
	v_mov_b32_e32 v10, 0
	v_mov_b32_e32 v11, 0x3ff00000
.LBB1_29:                               ; =>This Inner Loop Header: Depth=1
	v_mul_f64 v[18:19], v[14:15], v[18:19]
	v_add_f64 v[20:21], v[20:21], 1.0
	v_mul_f64 v[12:13], v[14:15], v[12:13]
	v_div_scale_f64 v[22:23], null, v[20:21], v[20:21], v[18:19]
	v_div_scale_f64 v[28:29], vcc_lo, v[18:19], v[20:21], v[18:19]
	v_rcp_f64_e32 v[24:25], v[22:23]
	v_fma_f64 v[26:27], -v[22:23], v[24:25], 1.0
	v_fma_f64 v[24:25], v[24:25], v[26:27], v[24:25]
	v_fma_f64 v[26:27], -v[22:23], v[24:25], 1.0
	v_fma_f64 v[24:25], v[24:25], v[26:27], v[24:25]
	v_mul_f64 v[26:27], v[28:29], v[24:25]
	v_fma_f64 v[22:23], -v[22:23], v[26:27], v[28:29]
	v_div_fmas_f64 v[22:23], v[22:23], v[24:25], v[26:27]
	v_add_f64 v[24:25], v[20:21], 1.0
	v_div_fixup_f64 v[18:19], v[22:23], v[20:21], v[18:19]
	v_div_scale_f64 v[20:21], null, v[24:25], v[24:25], v[12:13]
	v_div_scale_f64 v[35:36], vcc_lo, v[12:13], v[24:25], v[12:13]
	v_div_scale_f64 v[22:23], null, v[24:25], v[24:25], v[18:19]
	v_rcp_f64_e32 v[26:27], v[20:21]
	v_rcp_f64_e32 v[28:29], v[22:23]
	v_fma_f64 v[30:31], -v[20:21], v[26:27], 1.0
	v_fma_f64 v[33:34], -v[22:23], v[28:29], 1.0
	v_fma_f64 v[26:27], v[26:27], v[30:31], v[26:27]
	v_fma_f64 v[28:29], v[28:29], v[33:34], v[28:29]
	v_fma_f64 v[30:31], -v[20:21], v[26:27], 1.0
	v_fma_f64 v[33:34], -v[22:23], v[28:29], 1.0
	v_fma_f64 v[26:27], v[26:27], v[30:31], v[26:27]
	v_div_scale_f64 v[30:31], s4, v[18:19], v[24:25], v[18:19]
	v_fma_f64 v[28:29], v[28:29], v[33:34], v[28:29]
	v_mul_f64 v[33:34], v[35:36], v[26:27]
	v_mul_f64 v[37:38], v[30:31], v[28:29]
	v_fma_f64 v[20:21], -v[20:21], v[33:34], v[35:36]
	v_fma_f64 v[22:23], -v[22:23], v[37:38], v[30:31]
	v_div_fmas_f64 v[26:27], v[20:21], v[26:27], v[33:34]
	s_mov_b32 vcc_lo, s4
	v_div_fmas_f64 v[20:21], v[22:23], v[28:29], v[37:38]
	v_div_fixup_f64 v[12:13], v[26:27], v[24:25], v[12:13]
	v_div_fixup_f64 v[18:19], v[20:21], v[24:25], v[18:19]
	v_add_f64 v[20:21], v[24:25], 1.0
	v_add_f64 v[10:11], v[10:11], v[18:19]
	v_div_scale_f64 v[22:23], null, v[20:21], v[20:21], v[12:13]
	v_div_scale_f64 v[35:36], vcc_lo, v[12:13], v[20:21], v[12:13]
	v_div_scale_f64 v[24:25], null, v[10:11], v[10:11], v[18:19]
	v_rcp_f64_e32 v[26:27], v[22:23]
	v_rcp_f64_e32 v[28:29], v[24:25]
	v_fma_f64 v[30:31], -v[22:23], v[26:27], 1.0
	v_fma_f64 v[33:34], -v[24:25], v[28:29], 1.0
	v_fma_f64 v[26:27], v[26:27], v[30:31], v[26:27]
	v_fma_f64 v[28:29], v[28:29], v[33:34], v[28:29]
	v_fma_f64 v[30:31], -v[22:23], v[26:27], 1.0
	v_fma_f64 v[33:34], -v[24:25], v[28:29], 1.0
	v_fma_f64 v[26:27], v[26:27], v[30:31], v[26:27]
	v_div_scale_f64 v[30:31], s4, v[18:19], v[10:11], v[18:19]
	v_fma_f64 v[28:29], v[28:29], v[33:34], v[28:29]
	v_mul_f64 v[33:34], v[35:36], v[26:27]
	v_mul_f64 v[37:38], v[30:31], v[28:29]
	v_fma_f64 v[22:23], -v[22:23], v[33:34], v[35:36]
	v_fma_f64 v[24:25], -v[24:25], v[37:38], v[30:31]
	v_div_fmas_f64 v[22:23], v[22:23], v[26:27], v[33:34]
	s_mov_b32 vcc_lo, s4
	v_div_fmas_f64 v[24:25], v[24:25], v[28:29], v[37:38]
	v_div_fixup_f64 v[12:13], v[22:23], v[20:21], v[12:13]
	v_div_fixup_f64 v[24:25], v[24:25], v[10:11], v[18:19]
	v_add_f64 v[16:17], v[16:17], v[12:13]
	v_cmp_nlt_f64_e64 s4, 0x3cb00000, |v[24:25]|
	s_or_b32 s10, s4, s10
	s_andn2_b32 exec_lo, exec_lo, s10
	s_cbranch_execnz .LBB1_29
; %bb.30:
	s_or_b32 exec_lo, exec_lo, s10
	s_mov_b32 s10, 0x42b70f8b
	s_mov_b32 s11, 0xbfd0907f
	v_mul_f64 v[12:13], v[16:17], s[10:11]
	s_mov_b32 s10, 0x962715b8
	s_mov_b32 s11, 0x3fd6b8c7
	v_fma_f64 v[10:11], v[10:11], s[10:11], v[12:13]
	v_cndmask_b32_e64 v5, v5, v11, s9
	v_cndmask_b32_e64 v4, v4, v10, s9
.LBB1_31:
	s_or_b32 exec_lo, exec_lo, s5
                                        ; implicit-def: $vgpr12_vgpr13
.LBB1_32:
	s_andn2_saveexec_b32 s46, s8
	s_cbranch_execz .LBB1_42
; %bb.33:
	v_cmp_lt_f64_e32 vcc_lo, 0x90000000, v[12:13]
	s_mov_b32 s5, 0x3fe921fb
	s_mov_b32 s4, 0x54442d18
                                        ; implicit-def: $vgpr31
                                        ; implicit-def: $vgpr20_vgpr21
	v_cndmask_b32_e64 v4, 0, 0x100, vcc_lo
	v_ldexp_f64 v[4:5], -v[12:13], v4
	v_mul_f64 v[12:13], v[12:13], -2.0
	v_rsq_f64_e32 v[10:11], v[4:5]
	v_mul_f64 v[14:15], v[4:5], v[10:11]
	v_mul_f64 v[10:11], v[10:11], 0.5
	v_fma_f64 v[16:17], -v[10:11], v[14:15], 0.5
	v_fma_f64 v[14:15], v[14:15], v[16:17], v[14:15]
	v_fma_f64 v[10:11], v[10:11], v[16:17], v[10:11]
	v_fma_f64 v[16:17], -v[14:15], v[14:15], v[4:5]
	v_fma_f64 v[14:15], v[16:17], v[10:11], v[14:15]
	v_fma_f64 v[16:17], -v[14:15], v[14:15], v[4:5]
	v_fma_f64 v[10:11], v[16:17], v[10:11], v[14:15]
	v_cndmask_b32_e64 v14, 0, 0xffffff80, vcc_lo
	v_cmp_class_f64_e64 vcc_lo, v[4:5], 0x260
	v_ldexp_f64 v[10:11], v[10:11], v14
	v_cndmask_b32_e32 v5, v11, v5, vcc_lo
	v_cndmask_b32_e32 v4, v10, v4, vcc_lo
	v_mul_f64 v[10:11], v[12:13], v[4:5]
	v_div_scale_f64 v[12:13], null, 0x40080000, 0x40080000, v[10:11]
	v_div_scale_f64 v[18:19], vcc_lo, v[10:11], 0x40080000, v[10:11]
	v_rcp_f64_e32 v[14:15], v[12:13]
	v_fma_f64 v[16:17], -v[12:13], v[14:15], 1.0
	v_fma_f64 v[14:15], v[14:15], v[16:17], v[14:15]
	v_fma_f64 v[16:17], -v[12:13], v[14:15], 1.0
	v_fma_f64 v[14:15], v[14:15], v[16:17], v[14:15]
	v_mul_f64 v[16:17], v[18:19], v[14:15]
	v_fma_f64 v[12:13], -v[12:13], v[16:17], v[18:19]
	v_div_fmas_f64 v[12:13], v[12:13], v[14:15], v[16:17]
                                        ; implicit-def: $vgpr16_vgpr17
	v_div_fixup_f64 v[10:11], v[12:13], 0x40080000, v[10:11]
	v_add_f64 v[12:13], v[10:11], s[4:5]
	v_cmp_ngt_f64_e64 s8, 0x41d00000, |v[12:13]|
	v_trig_preop_f64 v[26:27], |v[12:13]|, 0
	v_trig_preop_f64 v[24:25], |v[12:13]|, 1
	v_ldexp_f64 v[28:29], |v[12:13]|, 0xffffff80
	v_trig_preop_f64 v[22:23], |v[12:13]|, 2
	v_and_b32_e32 v33, 0x7fffffff, v13
	s_and_saveexec_b32 s5, s8
	s_xor_b32 s9, exec_lo, s5
	s_cbranch_execz .LBB1_35
; %bb.34:
	v_cmp_le_f64_e64 vcc_lo, 0x7b000000, |v[12:13]|
	v_mov_b32_e32 v52, 0
	s_mov_b32 s5, 0x3ff921fb
	s_mov_b32 s10, 0x33145c07
	;; [unrolled: 1-line block ×3, first 2 shown]
	v_cndmask_b32_e32 v15, v33, v29, vcc_lo
	v_cndmask_b32_e32 v14, v12, v28, vcc_lo
	v_mul_f64 v[16:17], v[26:27], v[14:15]
	v_mul_f64 v[18:19], v[24:25], v[14:15]
	;; [unrolled: 1-line block ×3, first 2 shown]
	v_fma_f64 v[20:21], v[26:27], v[14:15], -v[16:17]
	v_fma_f64 v[50:51], v[24:25], v[14:15], -v[18:19]
	;; [unrolled: 1-line block ×3, first 2 shown]
	v_add_f64 v[30:31], v[18:19], v[20:21]
	v_add_f64 v[34:35], v[30:31], -v[18:19]
	v_add_f64 v[38:39], v[16:17], v[30:31]
	v_add_f64 v[36:37], v[30:31], -v[34:35]
	v_add_f64 v[20:21], v[20:21], -v[34:35]
	v_ldexp_f64 v[34:35], v[38:39], -2
	v_add_f64 v[16:17], v[38:39], -v[16:17]
	v_add_f64 v[18:19], v[18:19], -v[36:37]
	v_add_f64 v[36:37], v[48:49], v[50:51]
	v_cmp_neq_f64_e64 vcc_lo, 0x7ff00000, |v[34:35]|
	v_add_f64 v[16:17], v[30:31], -v[16:17]
	v_add_f64 v[18:19], v[20:21], v[18:19]
	v_fract_f64_e32 v[20:21], v[34:35]
	v_add_f64 v[30:31], v[36:37], v[18:19]
	v_ldexp_f64 v[20:21], v[20:21], 2
	v_add_f64 v[34:35], v[16:17], v[30:31]
	v_cndmask_b32_e32 v21, 0, v21, vcc_lo
	v_cndmask_b32_e32 v20, 0, v20, vcc_lo
	v_add_f64 v[38:39], v[34:35], v[20:21]
	v_add_f64 v[16:17], v[34:35], -v[16:17]
	v_cmp_gt_f64_e32 vcc_lo, 0, v[38:39]
	v_add_f64 v[38:39], v[36:37], -v[48:49]
	v_add_f64 v[16:17], v[30:31], -v[16:17]
	v_cndmask_b32_e64 v53, 0, 0x40100000, vcc_lo
	v_add_f64 v[66:67], v[36:37], -v[38:39]
	v_add_f64 v[38:39], v[50:51], -v[38:39]
	v_add_f64 v[20:21], v[20:21], v[52:53]
	v_add_f64 v[53:54], v[30:31], -v[36:37]
	v_add_f64 v[50:51], v[48:49], -v[66:67]
	v_add_f64 v[64:65], v[34:35], v[20:21]
	;; [unrolled: 3-line block ×3, first 2 shown]
	v_cvt_i32_f64_e32 v55, v[64:65]
	v_add_f64 v[36:37], v[36:37], -v[68:69]
	v_cvt_f64_i32_e32 v[53:54], v55
	v_add_f64 v[18:19], v[18:19], v[36:37]
	v_add_f64 v[20:21], v[20:21], -v[53:54]
	v_add_f64 v[18:19], v[38:39], v[18:19]
	v_add_f64 v[36:37], v[34:35], v[20:21]
	;; [unrolled: 1-line block ×3, first 2 shown]
	v_add_f64 v[18:19], v[36:37], -v[20:21]
	v_cmp_le_f64_e32 vcc_lo, 0.5, v[36:37]
	v_add_f64 v[14:15], v[16:17], v[14:15]
	v_add_f64 v[16:17], v[34:35], -v[18:19]
	v_cndmask_b32_e64 v53, 0, 0x3ff00000, vcc_lo
	v_add_co_ci_u32_e64 v31, null, 0, v55, vcc_lo
	v_add_f64 v[14:15], v[14:15], v[16:17]
	v_add_f64 v[16:17], v[36:37], -v[52:53]
	v_add_f64 v[18:19], v[16:17], v[14:15]
	v_mul_f64 v[20:21], v[18:19], s[4:5]
	v_add_f64 v[16:17], v[18:19], -v[16:17]
	v_fma_f64 v[34:35], v[18:19], s[4:5], -v[20:21]
	v_add_f64 v[14:15], v[14:15], -v[16:17]
	v_fma_f64 v[16:17], v[18:19], s[10:11], v[34:35]
	v_fma_f64 v[14:15], v[14:15], s[4:5], v[16:17]
	v_add_f64 v[16:17], v[20:21], v[14:15]
	v_add_f64 v[18:19], v[16:17], -v[20:21]
	v_add_f64 v[20:21], v[14:15], -v[18:19]
	s_andn2_saveexec_b32 s4, s9
	s_cbranch_execz .LBB1_37
	s_branch .LBB1_36
.LBB1_35:
	s_andn2_saveexec_b32 s4, s9
	s_cbranch_execz .LBB1_37
.LBB1_36:
	s_mov_b32 s10, 0x6dc9c883
	s_mov_b32 s11, 0x3fe45f30
	;; [unrolled: 1-line block ×3, first 2 shown]
	v_mul_f64 v[14:15], |v[12:13]|, s[10:11]
	s_mov_b32 s10, 0x54442d18
	s_mov_b32 s11, 0xbff921fb
	;; [unrolled: 1-line block ×3, first 2 shown]
	v_rndne_f64_e32 v[14:15], v[14:15]
	v_fma_f64 v[16:17], v[14:15], s[10:11], |v[12:13]|
	v_mul_f64 v[18:19], v[14:15], s[12:13]
	s_mov_b32 s10, 0x252049c0
	s_mov_b32 s11, 0xb97b839a
	v_fma_f64 v[30:31], v[14:15], s[12:13], v[16:17]
	v_add_f64 v[20:21], v[16:17], v[18:19]
	s_mov_b32 s13, 0x3c91a626
	v_add_f64 v[16:17], v[16:17], -v[20:21]
	v_add_f64 v[20:21], v[20:21], -v[30:31]
	v_add_f64 v[16:17], v[16:17], v[18:19]
	v_fma_f64 v[18:19], v[14:15], s[12:13], v[18:19]
	v_add_f64 v[16:17], v[20:21], v[16:17]
	v_add_f64 v[16:17], v[16:17], -v[18:19]
	v_fma_f64 v[18:19], v[14:15], s[10:11], v[16:17]
	v_add_f64 v[16:17], v[30:31], v[18:19]
	v_add_f64 v[20:21], v[16:17], -v[30:31]
	v_cvt_i32_f64_e32 v31, v[14:15]
	v_add_f64 v[20:21], v[18:19], -v[20:21]
.LBB1_37:
	s_or_b32 exec_lo, exec_lo, s4
                                        ; implicit-def: $vgpr30
                                        ; implicit-def: $vgpr14_vgpr15
                                        ; implicit-def: $vgpr18_vgpr19
	s_and_saveexec_b32 s4, s8
	s_xor_b32 s4, exec_lo, s4
	s_cbranch_execz .LBB1_39
; %bb.38:
	v_cmp_le_f64_e64 vcc_lo, 0x7b000000, |v[12:13]|
	v_mov_b32_e32 v52, 0
	s_mov_b32 s8, 0x54442d18
	s_mov_b32 s9, 0x3ff921fb
	;; [unrolled: 1-line block ×4, first 2 shown]
	v_cndmask_b32_e32 v15, v33, v29, vcc_lo
	v_cndmask_b32_e32 v14, v12, v28, vcc_lo
	v_mul_f64 v[18:19], v[26:27], v[14:15]
	v_mul_f64 v[28:29], v[24:25], v[14:15]
	;; [unrolled: 1-line block ×3, first 2 shown]
	v_fma_f64 v[26:27], v[26:27], v[14:15], -v[18:19]
	v_fma_f64 v[24:25], v[24:25], v[14:15], -v[28:29]
	;; [unrolled: 1-line block ×3, first 2 shown]
	v_add_f64 v[33:34], v[28:29], v[26:27]
	v_add_f64 v[35:36], v[33:34], -v[28:29]
	v_add_f64 v[48:49], v[18:19], v[33:34]
	v_add_f64 v[37:38], v[33:34], -v[35:36]
	v_add_f64 v[26:27], v[26:27], -v[35:36]
	v_ldexp_f64 v[35:36], v[48:49], -2
	v_add_f64 v[18:19], v[48:49], -v[18:19]
	v_add_f64 v[28:29], v[28:29], -v[37:38]
	v_add_f64 v[37:38], v[50:51], v[24:25]
	v_cmp_neq_f64_e64 vcc_lo, 0x7ff00000, |v[35:36]|
	v_add_f64 v[18:19], v[33:34], -v[18:19]
	v_add_f64 v[26:27], v[26:27], v[28:29]
	v_fract_f64_e32 v[28:29], v[35:36]
	v_add_f64 v[33:34], v[37:38], v[26:27]
	v_ldexp_f64 v[28:29], v[28:29], 2
	v_add_f64 v[35:36], v[18:19], v[33:34]
	v_cndmask_b32_e32 v29, 0, v29, vcc_lo
	v_cndmask_b32_e32 v28, 0, v28, vcc_lo
	v_add_f64 v[48:49], v[35:36], v[28:29]
	v_add_f64 v[18:19], v[35:36], -v[18:19]
	v_cmp_gt_f64_e32 vcc_lo, 0, v[48:49]
	v_add_f64 v[48:49], v[37:38], -v[50:51]
	v_add_f64 v[18:19], v[33:34], -v[18:19]
	v_cndmask_b32_e64 v53, 0, 0x40100000, vcc_lo
	v_add_f64 v[66:67], v[37:38], -v[48:49]
	v_add_f64 v[24:25], v[24:25], -v[48:49]
	v_add_f64 v[28:29], v[28:29], v[52:53]
	v_add_f64 v[53:54], v[33:34], -v[37:38]
	v_add_f64 v[48:49], v[50:51], -v[66:67]
	v_add_f64 v[64:65], v[35:36], v[28:29]
	;; [unrolled: 3-line block ×3, first 2 shown]
	v_cvt_i32_f64_e32 v30, v[64:65]
	v_add_f64 v[37:38], v[37:38], -v[68:69]
	v_cvt_f64_i32_e32 v[53:54], v30
	v_add_f64 v[26:27], v[26:27], v[37:38]
	v_add_f64 v[28:29], v[28:29], -v[53:54]
	v_add_f64 v[22:23], v[24:25], v[26:27]
	v_add_f64 v[24:25], v[35:36], v[28:29]
	;; [unrolled: 1-line block ×3, first 2 shown]
	v_add_f64 v[22:23], v[24:25], -v[28:29]
	v_cmp_le_f64_e32 vcc_lo, 0.5, v[24:25]
	v_add_f64 v[14:15], v[18:19], v[14:15]
	v_add_f64 v[18:19], v[35:36], -v[22:23]
	v_cndmask_b32_e64 v53, 0, 0x3ff00000, vcc_lo
	v_add_co_ci_u32_e64 v30, null, 0, v30, vcc_lo
	v_add_f64 v[14:15], v[14:15], v[18:19]
	v_add_f64 v[18:19], v[24:25], -v[52:53]
	v_add_f64 v[22:23], v[18:19], v[14:15]
	v_mul_f64 v[24:25], v[22:23], s[8:9]
	v_add_f64 v[18:19], v[22:23], -v[18:19]
	v_fma_f64 v[26:27], v[22:23], s[8:9], -v[24:25]
	v_add_f64 v[14:15], v[14:15], -v[18:19]
	v_fma_f64 v[18:19], v[22:23], s[10:11], v[26:27]
	v_fma_f64 v[18:19], v[14:15], s[8:9], v[18:19]
	v_add_f64 v[14:15], v[24:25], v[18:19]
	v_add_f64 v[22:23], v[14:15], -v[24:25]
	v_add_f64 v[18:19], v[18:19], -v[22:23]
	s_andn2_saveexec_b32 s4, s4
	s_cbranch_execnz .LBB1_40
	s_branch .LBB1_41
.LBB1_39:
	s_andn2_saveexec_b32 s4, s4
	s_cbranch_execz .LBB1_41
.LBB1_40:
	s_mov_b32 s8, 0x6dc9c883
	s_mov_b32 s9, 0x3fe45f30
	;; [unrolled: 1-line block ×3, first 2 shown]
	v_mul_f64 v[14:15], |v[12:13]|, s[8:9]
	s_mov_b32 s8, 0x54442d18
	s_mov_b32 s9, 0xbff921fb
	;; [unrolled: 1-line block ×3, first 2 shown]
	v_rndne_f64_e32 v[22:23], v[14:15]
	v_fma_f64 v[14:15], v[22:23], s[8:9], |v[12:13]|
	v_mul_f64 v[18:19], v[22:23], s[10:11]
	s_mov_b32 s8, 0x252049c0
	s_mov_b32 s9, 0xb97b839a
	v_cvt_i32_f64_e32 v30, v[22:23]
	v_fma_f64 v[26:27], v[22:23], s[10:11], v[14:15]
	v_add_f64 v[24:25], v[14:15], v[18:19]
	s_mov_b32 s11, 0x3c91a626
	v_add_f64 v[14:15], v[14:15], -v[24:25]
	v_add_f64 v[24:25], v[24:25], -v[26:27]
	v_add_f64 v[14:15], v[14:15], v[18:19]
	v_fma_f64 v[18:19], v[22:23], s[10:11], v[18:19]
	v_add_f64 v[14:15], v[24:25], v[14:15]
	v_add_f64 v[14:15], v[14:15], -v[18:19]
	v_fma_f64 v[18:19], v[22:23], s[8:9], v[14:15]
	v_add_f64 v[14:15], v[26:27], v[18:19]
	v_add_f64 v[24:25], v[14:15], -v[26:27]
	v_add_f64 v[18:19], v[18:19], -v[24:25]
.LBB1_41:
	s_or_b32 exec_lo, exec_lo, s4
	v_div_scale_f64 v[22:23], null, v[10:11], v[10:11], 1.0
	s_mov_b32 s4, 0xd50ae6fb
	s_mov_b32 s5, 0xbfc0db6c
	;; [unrolled: 1-line block ×20, first 2 shown]
	v_rcp_f64_e32 v[24:25], v[22:23]
	s_mov_b32 s26, 0x19e83e5c
	s_mov_b32 s27, 0xbf2a01a0
	;; [unrolled: 1-line block ×8, first 2 shown]
	v_fma_f64 v[26:27], -v[22:23], v[24:25], 1.0
	v_fma_f64 v[24:25], v[24:25], v[26:27], v[24:25]
	v_fma_f64 v[26:27], -v[22:23], v[24:25], 1.0
	v_fma_f64 v[24:25], v[24:25], v[26:27], v[24:25]
	v_div_scale_f64 v[26:27], vcc_lo, 1.0, v[10:11], 1.0
	v_mul_f64 v[28:29], v[26:27], v[24:25]
	v_fma_f64 v[22:23], -v[22:23], v[28:29], v[26:27]
	v_div_fmas_f64 v[22:23], v[22:23], v[24:25], v[28:29]
	v_mul_f64 v[28:29], v[16:17], v[16:17]
	v_div_fixup_f64 v[10:11], v[22:23], v[10:11], 1.0
	v_mul_f64 v[33:34], v[28:29], 0.5
	v_fma_f64 v[48:49], v[28:29], s[10:11], s[8:9]
	v_mul_f64 v[22:23], v[10:11], v[10:11]
	v_add_f64 v[35:36], -v[33:34], 1.0
	v_fma_f64 v[48:49], v[28:29], v[48:49], s[12:13]
	v_fma_f64 v[24:25], v[22:23], 0, s[4:5]
	s_mov_b32 s4, 0x98566852
	s_mov_b32 s5, 0xbfe40bee
	v_add_f64 v[37:38], -v[35:36], 1.0
	v_fma_f64 v[48:49], v[28:29], v[48:49], s[14:15]
	v_fma_f64 v[24:25], v[22:23], v[24:25], s[4:5]
	s_mov_b32 s4, 0xc2f79f7d
	s_mov_b32 s5, 0xbfe62e59
	v_add_f64 v[33:34], v[37:38], -v[33:34]
	v_fma_f64 v[48:49], v[28:29], v[48:49], s[16:17]
	v_mul_f64 v[37:38], v[28:29], v[28:29]
	v_fma_f64 v[24:25], v[22:23], v[24:25], s[4:5]
	s_mov_b32 s4, 0x4bb3f40b
	s_mov_b32 s5, 0xbfd1e7ea
	v_fma_f64 v[33:34], v[16:17], -v[20:21], v[33:34]
	v_fma_f64 v[48:49], v[28:29], v[48:49], s[18:19]
	v_fma_f64 v[24:25], v[22:23], v[24:25], s[4:5]
	s_mov_b32 s4, 0xf47dbd8a
	s_mov_b32 s5, 0xbfa92f6e
	v_fma_f64 v[33:34], v[37:38], v[48:49], v[33:34]
	v_mul_f64 v[37:38], v[16:17], -v[28:29]
	v_mul_f64 v[48:49], v[20:21], 0.5
	v_fma_f64 v[24:25], v[22:23], v[24:25], s[4:5]
	s_mov_b32 s4, 0xc8d9e090
	s_mov_b32 s5, 0xbf70a401
	v_add_f64 v[33:34], v[35:36], v[33:34]
	v_fma_f64 v[35:36], v[28:29], s[22:23], s[20:21]
	v_fma_f64 v[24:25], v[22:23], v[24:25], s[4:5]
	s_mov_b32 s4, 0xaf4b009c
	s_mov_b32 s5, 0xbf24e06e
	v_fma_f64 v[35:36], v[28:29], v[35:36], s[24:25]
	v_fma_f64 v[24:25], v[22:23], v[24:25], s[4:5]
	s_mov_b32 s4, 0x1d42366d
	s_mov_b32 s5, 0xbec74a78
	v_fma_f64 v[35:36], v[28:29], v[35:36], s[26:27]
	v_fma_f64 v[24:25], v[22:23], v[24:25], s[4:5]
	s_mov_b32 s4, 0x2572edf2
	s_mov_b32 s5, 0x402ab64b
	v_fma_f64 v[26:27], v[22:23], 0, s[4:5]
	s_mov_b32 s4, 0x44787b1a
	s_mov_b32 s5, 0x4040575c
	v_fma_f64 v[35:36], v[28:29], v[35:36], s[28:29]
	v_fma_f64 v[26:27], v[22:23], v[26:27], s[4:5]
	s_mov_b32 s4, 0xa3b73410
	s_mov_b32 s5, 0x403abc98
	v_fma_f64 v[35:36], v[37:38], v[35:36], v[48:49]
	v_fma_f64 v[26:27], v[22:23], v[26:27], s[4:5]
	s_mov_b32 s4, 0x2ac99873
	s_mov_b32 s5, 0x40225fc8
	v_fma_f64 v[20:21], v[28:29], v[35:36], -v[20:21]
	v_fma_f64 v[26:27], v[22:23], v[26:27], s[4:5]
	s_mov_b32 s4, 0x39de9319
	s_mov_b32 s5, 0x3ff79acb
	v_fma_f64 v[20:21], v[37:38], s[40:41], v[20:21]
	v_fma_f64 v[26:27], v[22:23], v[26:27], s[4:5]
	s_mov_b32 s4, 0xb4045a2b
	s_mov_b32 s5, 0x3fbd9dac
	v_add_f64 v[16:17], v[16:17], -v[20:21]
	v_and_b32_e32 v20, 1, v31
	v_cmp_eq_u32_e32 vcc_lo, 0, v20
	v_lshlrev_b32_e32 v20, 30, v31
	v_xor_b32_e32 v20, v20, v13
	v_and_b32_e32 v20, 0x80000000, v20
	v_fma_f64 v[26:27], v[22:23], v[26:27], s[4:5]
	s_mov_b32 s4, 0xe03af617
	s_mov_b32 s5, 0x3f7208ca
	v_cndmask_b32_e32 v17, v34, v17, vcc_lo
	v_cndmask_b32_e32 v16, v33, v16, vcc_lo
	v_xor_b32_e32 v17, v17, v20
	v_fma_f64 v[26:27], v[22:23], v[26:27], s[4:5]
	s_mov_b32 s4, 0xaf76e73b
	s_mov_b32 s5, 0x3f13c8d7
	v_fma_f64 v[26:27], v[22:23], v[26:27], s[4:5]
	s_mov_b32 s4, 0xb99518a7
	s_mov_b32 s5, 0x3e9e52b9
	;; [unrolled: 3-line block ×3, first 2 shown]
	v_fma_f64 v[24:25], v[22:23], v[24:25], s[4:5]
	v_cmp_class_f64_e64 s4, v[12:13], 0x1f8
	v_cndmask_b32_e64 v12, 0, v16, s4
	v_cndmask_b32_e64 v13, 0x7ff80000, v17, s4
	v_mul_f64 v[16:17], v[22:23], v[24:25]
	v_div_scale_f64 v[20:21], null, v[26:27], v[26:27], v[16:17]
	v_rcp_f64_e32 v[24:25], v[20:21]
	v_fma_f64 v[28:29], -v[20:21], v[24:25], 1.0
	v_fma_f64 v[24:25], v[24:25], v[28:29], v[24:25]
	v_fma_f64 v[28:29], -v[20:21], v[24:25], 1.0
	v_fma_f64 v[24:25], v[24:25], v[28:29], v[24:25]
	v_div_scale_f64 v[28:29], vcc_lo, v[16:17], v[26:27], v[16:17]
	v_mul_f64 v[33:34], v[28:29], v[24:25]
	v_fma_f64 v[20:21], -v[20:21], v[33:34], v[28:29]
	v_div_fmas_f64 v[20:21], v[20:21], v[24:25], v[33:34]
	v_cmp_gt_f64_e32 vcc_lo, 0x10000000, v[4:5]
	v_div_fixup_f64 v[16:17], v[20:21], v[26:27], v[16:17]
	v_fma_f64 v[20:21], v[22:23], 0, s[42:43]
	s_mov_b32 s42, 0x6437b7
	s_mov_b32 s43, 0x3fd907d5
	v_add_f64 v[16:17], v[16:17], 1.0
	v_fma_f64 v[20:21], v[22:23], v[20:21], s[42:43]
	s_mov_b32 s42, 0x3a2034eb
	s_mov_b32 s43, 0x3ff10d83
	v_fma_f64 v[20:21], v[22:23], v[20:21], s[42:43]
	s_mov_b32 s42, 0xa0ef1acb
	s_mov_b32 s43, 0x3fee0dac
	;; [unrolled: 3-line block ×11, first 2 shown]
	v_mul_f64 v[10:11], v[10:11], v[20:21]
	v_fma_f64 v[24:25], v[22:23], v[24:25], s[42:43]
	s_mov_b32 s42, 0x7ea7dc35
	s_mov_b32 s43, 0x402f211b
	v_fma_f64 v[24:25], v[22:23], v[24:25], s[42:43]
	s_mov_b32 s42, 0x2b79dbce
	s_mov_b32 s43, 0x4015e84e
	v_fma_f64 v[24:25], v[22:23], v[24:25], s[42:43]
	s_mov_b32 s42, 0xc195ece3
	s_mov_b32 s43, 0x3fee8992
	v_fma_f64 v[24:25], v[22:23], v[24:25], s[42:43]
	s_mov_b32 s42, 0xed64a9ee
	s_mov_b32 s43, 0x3fb6221d
	v_fma_f64 v[24:25], v[22:23], v[24:25], s[42:43]
	s_mov_b32 s42, 0x6be393bb
	s_mov_b32 s43, 0x3f70e704
	v_fma_f64 v[24:25], v[22:23], v[24:25], s[42:43]
	s_mov_b32 s42, 0xd603a5a0
	s_mov_b32 s43, 0x3f1a8b61
	v_fma_f64 v[24:25], v[22:23], v[24:25], s[42:43]
	s_mov_b32 s42, 0xdb0724e8
	s_mov_b32 s43, 0x3eb3a845
	v_fma_f64 v[24:25], v[22:23], v[24:25], s[42:43]
	s_mov_b32 s42, 0x3dd589d4
	s_mov_b32 s43, 0x3e351fc7
	v_fma_f64 v[22:23], v[22:23], v[24:25], s[42:43]
	v_cndmask_b32_e64 v24, 0, 0x100, vcc_lo
	s_mov_b32 s42, 0x50429b6d
	s_mov_b32 s43, 0x3fe20dd7
	v_ldexp_f64 v[4:5], v[4:5], v24
	v_rsq_f64_e32 v[24:25], v[4:5]
	v_mul_f64 v[26:27], v[4:5], v[24:25]
	v_mul_f64 v[24:25], v[24:25], 0.5
	v_fma_f64 v[28:29], -v[24:25], v[26:27], 0.5
	v_fma_f64 v[26:27], v[26:27], v[28:29], v[26:27]
	v_fma_f64 v[24:25], v[24:25], v[28:29], v[24:25]
	v_fma_f64 v[33:34], -v[26:27], v[26:27], v[4:5]
	v_fma_f64 v[26:27], v[33:34], v[24:25], v[26:27]
	v_fma_f64 v[28:29], -v[26:27], v[26:27], v[4:5]
	v_fma_f64 v[24:25], v[28:29], v[24:25], v[26:27]
	v_cndmask_b32_e64 v26, 0, 0xffffff80, vcc_lo
	v_cmp_class_f64_e64 vcc_lo, v[4:5], 0x260
	v_ldexp_f64 v[24:25], v[24:25], v26
	v_cndmask_b32_e32 v5, v25, v5, vcc_lo
	v_cndmask_b32_e32 v4, v24, v4, vcc_lo
	v_div_scale_f64 v[24:25], null, v[4:5], v[4:5], s[42:43]
	v_rcp_f64_e32 v[26:27], v[24:25]
	v_fma_f64 v[28:29], -v[24:25], v[26:27], 1.0
	v_fma_f64 v[26:27], v[26:27], v[28:29], v[26:27]
	v_fma_f64 v[28:29], -v[24:25], v[26:27], 1.0
	v_fma_f64 v[26:27], v[26:27], v[28:29], v[26:27]
	v_div_scale_f64 v[28:29], vcc_lo, s[42:43], v[4:5], s[42:43]
	v_mul_f64 v[33:34], v[28:29], v[26:27]
	v_fma_f64 v[24:25], -v[24:25], v[33:34], v[28:29]
	v_div_fmas_f64 v[24:25], v[24:25], v[26:27], v[33:34]
	v_div_fixup_f64 v[4:5], v[24:25], v[4:5], s[42:43]
	v_mul_f64 v[24:25], v[14:15], v[14:15]
	v_mul_f64 v[26:27], v[24:25], 0.5
	v_fma_f64 v[35:36], v[24:25], s[10:11], s[8:9]
	v_add_f64 v[28:29], -v[26:27], 1.0
	v_fma_f64 v[35:36], v[24:25], v[35:36], s[12:13]
	v_add_f64 v[33:34], -v[28:29], 1.0
	v_fma_f64 v[35:36], v[24:25], v[35:36], s[14:15]
	v_add_f64 v[26:27], v[33:34], -v[26:27]
	v_fma_f64 v[35:36], v[24:25], v[35:36], s[16:17]
	v_mul_f64 v[33:34], v[24:25], v[24:25]
	v_fma_f64 v[26:27], v[14:15], -v[18:19], v[26:27]
	v_fma_f64 v[35:36], v[24:25], v[35:36], s[18:19]
	v_fma_f64 v[26:27], v[33:34], v[35:36], v[26:27]
	v_mul_f64 v[33:34], v[14:15], -v[24:25]
	v_mul_f64 v[35:36], v[18:19], 0.5
	v_add_f64 v[26:27], v[28:29], v[26:27]
	v_fma_f64 v[28:29], v[24:25], s[22:23], s[20:21]
	v_fma_f64 v[28:29], v[24:25], v[28:29], s[24:25]
	;; [unrolled: 1-line block ×5, first 2 shown]
	v_fma_f64 v[18:19], v[24:25], v[28:29], -v[18:19]
	v_fma_f64 v[18:19], v[33:34], s[40:41], v[18:19]
	v_add_f64 v[14:15], v[14:15], -v[18:19]
	v_and_b32_e32 v18, 1, v30
	v_cmp_eq_u32_e32 vcc_lo, 0, v18
	v_lshlrev_b32_e32 v18, 30, v30
	v_and_b32_e32 v18, 0x80000000, v18
	v_xor_b32_e32 v15, 0x80000000, v15
	v_cndmask_b32_e32 v14, v14, v26, vcc_lo
	v_cndmask_b32_e32 v15, v15, v27, vcc_lo
	v_cndmask_b32_e64 v14, 0, v14, s4
	v_xor_b32_e32 v15, v15, v18
	v_div_scale_f64 v[18:19], null, v[22:23], v[22:23], v[10:11]
	v_cndmask_b32_e64 v15, 0x7ff80000, v15, s4
	v_rcp_f64_e32 v[20:21], v[18:19]
	v_fma_f64 v[24:25], -v[18:19], v[20:21], 1.0
	v_fma_f64 v[20:21], v[20:21], v[24:25], v[20:21]
	v_fma_f64 v[24:25], -v[18:19], v[20:21], 1.0
	v_fma_f64 v[20:21], v[20:21], v[24:25], v[20:21]
	v_div_scale_f64 v[24:25], vcc_lo, v[10:11], v[22:23], v[10:11]
	v_mul_f64 v[26:27], v[24:25], v[20:21]
	v_fma_f64 v[18:19], -v[18:19], v[26:27], v[24:25]
	v_div_fmas_f64 v[18:19], v[18:19], v[20:21], v[26:27]
	v_div_fixup_f64 v[10:11], v[18:19], v[22:23], v[10:11]
	v_mul_f64 v[10:11], v[10:11], v[14:15]
	v_fma_f64 v[10:11], v[16:17], v[12:13], -v[10:11]
	v_mul_f64 v[4:5], v[4:5], v[10:11]
.LBB1_42:
	s_or_b32 exec_lo, exec_lo, s46
.LBB1_43:
	s_or_b32 exec_lo, exec_lo, s45
.LBB1_44:
	s_or_b32 exec_lo, exec_lo, s44
	v_mov_b32_e32 v12, 0
	v_mov_b32_e32 v10, 0
	v_mov_b32_e32 v13, 0x7ff80000
	v_mov_b32_e32 v11, 0x7ff80000
	s_mov_b32 s44, exec_lo
	s_waitcnt vmcnt(0) lgkmcnt(0)
	v_cmpx_neq_f64_e64 0x7ff00000, |v[6:7]|
	s_cbranch_execz .LBB1_66
; %bb.45:
	v_mov_b32_e32 v10, 0
	v_mov_b32_e32 v11, 0
	s_mov_b32 s4, 0x872b020c
	s_mov_b32 s5, 0x4059f916
	s_mov_b32 s45, exec_lo
	v_cmpx_nlt_f64_e32 s[4:5], v[6:7]
	s_cbranch_execz .LBB1_65
; %bb.46:
	s_mov_b32 s5, 0xc000b851
	s_mov_b32 s4, 0xeb851eb8
	v_cmp_ngt_f64_e32 vcc_lo, s[4:5], v[6:7]
	s_and_saveexec_b32 s5, vcc_lo
	s_xor_b32 s8, exec_lo, s5
	s_cbranch_execz .LBB1_54
; %bb.47:
	s_mov_b32 s5, 0x4000b851
	v_mov_b32_e32 v10, 0
	v_cmp_nle_f64_e64 s9, s[4:5], v[6:7]
	v_cmp_le_f64_e32 vcc_lo, s[4:5], v[6:7]
	v_mov_b32_e32 v11, 0
	s_mov_b32 s4, s9
	s_and_saveexec_b32 s10, vcc_lo
	s_cbranch_execz .LBB1_49
; %bb.48:
	v_cmp_gt_f64_e32 vcc_lo, 0x10000000, v[6:7]
	s_mov_b32 s4, 0x2537b658
	s_mov_b32 s12, 0x2624d31
	;; [unrolled: 1-line block ×4, first 2 shown]
	v_cndmask_b32_e64 v10, 0, 0x100, vcc_lo
	v_ldexp_f64 v[10:11], v[6:7], v10
	v_rsq_f64_e32 v[14:15], v[10:11]
	v_mul_f64 v[16:17], v[10:11], v[14:15]
	v_mul_f64 v[14:15], v[14:15], 0.5
	v_fma_f64 v[18:19], -v[14:15], v[16:17], 0.5
	v_fma_f64 v[16:17], v[16:17], v[18:19], v[16:17]
	v_fma_f64 v[14:15], v[14:15], v[18:19], v[14:15]
	v_fma_f64 v[18:19], -v[16:17], v[16:17], v[10:11]
	v_fma_f64 v[16:17], v[18:19], v[14:15], v[16:17]
	v_fma_f64 v[18:19], -v[16:17], v[16:17], v[10:11]
	v_fma_f64 v[14:15], v[18:19], v[14:15], v[16:17]
	v_cndmask_b32_e64 v16, 0, 0xffffff80, vcc_lo
	v_cmp_class_f64_e64 vcc_lo, v[10:11], 0x260
	v_ldexp_f64 v[14:15], v[14:15], v16
	v_add_f64 v[16:17], v[6:7], v[6:7]
	v_cndmask_b32_e32 v11, v15, v11, vcc_lo
	v_cndmask_b32_e32 v10, v14, v10, vcc_lo
	v_mul_f64 v[14:15], v[16:17], v[10:11]
	v_div_scale_f64 v[16:17], null, 0x40080000, 0x40080000, v[14:15]
	v_div_scale_f64 v[22:23], vcc_lo, v[14:15], 0x40080000, v[14:15]
	v_rcp_f64_e32 v[18:19], v[16:17]
	v_fma_f64 v[20:21], -v[16:17], v[18:19], 1.0
	v_fma_f64 v[18:19], v[18:19], v[20:21], v[18:19]
	v_fma_f64 v[20:21], -v[16:17], v[18:19], 1.0
	v_fma_f64 v[18:19], v[18:19], v[20:21], v[18:19]
	v_mul_f64 v[20:21], v[22:23], v[18:19]
	v_fma_f64 v[16:17], -v[16:17], v[20:21], v[22:23]
	v_div_fmas_f64 v[16:17], v[16:17], v[18:19], v[20:21]
	v_div_fixup_f64 v[14:15], v[16:17], 0x40080000, v[14:15]
	v_div_scale_f64 v[16:17], null, v[14:15], v[14:15], 1.0
	v_div_scale_f64 v[22:23], vcc_lo, 1.0, v[14:15], 1.0
	v_rcp_f64_e32 v[18:19], v[16:17]
	v_fma_f64 v[20:21], -v[16:17], v[18:19], 1.0
	v_fma_f64 v[18:19], v[18:19], v[20:21], v[18:19]
	v_fma_f64 v[20:21], -v[16:17], v[18:19], 1.0
	v_fma_f64 v[18:19], v[18:19], v[20:21], v[18:19]
	v_mul_f64 v[20:21], v[22:23], v[18:19]
	v_fma_f64 v[16:17], -v[16:17], v[20:21], v[22:23]
	v_div_fmas_f64 v[16:17], v[16:17], v[18:19], v[20:21]
	v_cmp_gt_f64_e32 vcc_lo, 0x10000000, v[10:11]
	v_div_fixup_f64 v[16:17], v[16:17], v[14:15], 1.0
	v_cndmask_b32_e64 v28, 0, 0x100, vcc_lo
	v_ldexp_f64 v[10:11], v[10:11], v28
	v_fma_f64 v[18:19], v[16:17], 0, s[12:13]
	v_fma_f64 v[20:21], v[16:17], 0, s[4:5]
	s_mov_b32 s4, 0x652b82fe
	s_mov_b32 s5, 0x3ff71547
	;; [unrolled: 1-line block ×3, first 2 shown]
	v_mul_f64 v[22:23], v[14:15], s[4:5]
	s_mov_b32 s4, 0x871a9067
	s_mov_b32 s5, 0x402803e3
	;; [unrolled: 1-line block ×3, first 2 shown]
	v_fma_f64 v[18:19], v[16:17], v[18:19], s[12:13]
	v_fma_f64 v[20:21], v[16:17], v[20:21], s[4:5]
	s_mov_b32 s4, 0xde2e1e3
	s_mov_b32 s12, 0xb04d51a0
	;; [unrolled: 1-line block ×3, first 2 shown]
	v_rndne_f64_e32 v[22:23], v[22:23]
	s_mov_b32 s13, 0x405520e3
	v_fma_f64 v[18:19], v[16:17], v[18:19], s[12:13]
	v_fma_f64 v[20:21], v[16:17], v[20:21], s[4:5]
	s_mov_b32 s4, 0xfefa39ef
	s_mov_b32 s5, 0xbfe62e42
	;; [unrolled: 1-line block ×3, first 2 shown]
	v_fma_f64 v[24:25], v[22:23], s[4:5], v[14:15]
	s_mov_b32 s4, 0xee40073c
	s_mov_b32 s5, 0x406502da
	;; [unrolled: 1-line block ×3, first 2 shown]
	v_fma_f64 v[18:19], v[16:17], v[18:19], s[12:13]
	v_fma_f64 v[20:21], v[16:17], v[20:21], s[4:5]
	s_mov_b32 s4, 0x3b39803f
	s_mov_b32 s5, 0xbc7abc9e
	;; [unrolled: 1-line block ×3, first 2 shown]
	v_fma_f64 v[24:25], v[22:23], s[4:5], v[24:25]
	s_mov_b32 s4, 0x5ba1fddf
	s_mov_b32 s5, 0x4063f834
	s_mov_b32 s13, 0x40648782
	v_fma_f64 v[18:19], v[16:17], v[18:19], s[12:13]
	v_fma_f64 v[20:21], v[16:17], v[20:21], s[4:5]
	s_mov_b32 s4, 0xfca7ab0c
	s_mov_b32 s12, 0x6a5dcb37
	;; [unrolled: 1-line block ×4, first 2 shown]
	v_fma_f64 v[26:27], v[24:25], s[12:13], s[4:5]
	s_mov_b32 s4, 0x4f4cea4f
	s_mov_b32 s12, 0xee91d35f
	;; [unrolled: 1-line block ×4, first 2 shown]
	v_fma_f64 v[18:19], v[16:17], v[18:19], s[12:13]
	v_fma_f64 v[20:21], v[16:17], v[20:21], s[4:5]
	s_mov_b32 s4, 0x623fde64
	s_mov_b32 s5, 0x3ec71dee
	;; [unrolled: 1-line block ×4, first 2 shown]
	v_fma_f64 v[26:27], v[24:25], v[26:27], s[4:5]
	s_mov_b32 s4, 0x5c2a0f4d
	s_mov_b32 s5, 0x402c0d8d
	v_fma_f64 v[18:19], v[16:17], v[18:19], s[12:13]
	v_fma_f64 v[20:21], v[16:17], v[20:21], s[4:5]
	s_mov_b32 s4, 0x7c89e6b0
	s_mov_b32 s5, 0x3efa0199
	v_fma_f64 v[26:27], v[24:25], v[26:27], s[4:5]
	s_mov_b32 s4, 0x14761f6e
	s_mov_b32 s5, 0x3f2a01a0
	v_fma_f64 v[18:19], v[16:17], v[18:19], 1.0
	v_fma_f64 v[16:17], v[16:17], v[20:21], 1.0
	v_rsq_f64_e32 v[20:21], v[10:11]
	v_fma_f64 v[26:27], v[24:25], v[26:27], s[4:5]
	s_mov_b32 s4, 0x1852b7b0
	s_mov_b32 s5, 0x3f56c16c
	v_div_scale_f64 v[28:29], null, v[18:19], v[18:19], v[16:17]
	v_mul_f64 v[30:31], v[10:11], v[20:21]
	v_mul_f64 v[20:21], v[20:21], 0.5
	v_fma_f64 v[26:27], v[24:25], v[26:27], s[4:5]
	s_mov_b32 s4, 0x11122322
	s_mov_b32 s5, 0x3f811111
	v_rcp_f64_e32 v[33:34], v[28:29]
	v_fma_f64 v[35:36], -v[20:21], v[30:31], 0.5
	v_fma_f64 v[26:27], v[24:25], v[26:27], s[4:5]
	s_mov_b32 s4, 0x555502a1
	s_mov_b32 s5, 0x3fa55555
	v_fma_f64 v[37:38], -v[28:29], v[33:34], 1.0
	v_fma_f64 v[30:31], v[30:31], v[35:36], v[30:31]
	v_fma_f64 v[20:21], v[20:21], v[35:36], v[20:21]
	;; [unrolled: 1-line block ×3, first 2 shown]
	s_mov_b32 s4, 0x55555511
	s_mov_b32 s5, 0x3fc55555
	v_fma_f64 v[33:34], v[33:34], v[37:38], v[33:34]
	v_fma_f64 v[35:36], -v[30:31], v[30:31], v[10:11]
	v_fma_f64 v[26:27], v[24:25], v[26:27], s[4:5]
	s_mov_b32 s4, 11
	s_mov_b32 s5, 0x3fe00000
	v_fma_f64 v[37:38], -v[28:29], v[33:34], 1.0
	v_fma_f64 v[30:31], v[35:36], v[20:21], v[30:31]
	v_fma_f64 v[26:27], v[24:25], v[26:27], s[4:5]
	v_div_scale_f64 v[35:36], s4, v[16:17], v[18:19], v[16:17]
	v_cmp_class_f64_e64 s5, v[10:11], 0x260
	v_fma_f64 v[33:34], v[33:34], v[37:38], v[33:34]
	v_fma_f64 v[37:38], -v[30:31], v[30:31], v[10:11]
	v_fma_f64 v[26:27], v[24:25], v[26:27], 1.0
	v_mul_f64 v[48:49], v[35:36], v[33:34]
	v_fma_f64 v[20:21], v[37:38], v[20:21], v[30:31]
	v_cvt_i32_f64_e32 v30, v[22:23]
	v_fma_f64 v[22:23], v[24:25], v[26:27], 1.0
	v_cndmask_b32_e64 v26, 0, 0xffffff80, vcc_lo
	s_mov_b32 vcc_lo, s4
	v_cmp_ngt_f64_e64 s4, 0xc090cc00, v[14:15]
	v_fma_f64 v[24:25], -v[28:29], v[48:49], v[35:36]
	v_ldexp_f64 v[20:21], v[20:21], v26
	v_ldexp_f64 v[22:23], v[22:23], v30
	v_div_fmas_f64 v[24:25], v[24:25], v[33:34], v[48:49]
	v_cmp_nlt_f64_e32 vcc_lo, 0x40900000, v[14:15]
	v_cndmask_b32_e64 v11, v21, v11, s5
	v_cndmask_b32_e64 v10, v20, v10, s5
	v_add_f64 v[10:11], v[10:11], v[10:11]
	v_div_fixup_f64 v[14:15], v[24:25], v[18:19], v[16:17]
	v_cndmask_b32_e32 v21, 0x7ff00000, v23, vcc_lo
	s_and_b32 vcc_lo, s4, vcc_lo
	v_cndmask_b32_e32 v16, 0, v22, vcc_lo
	v_cndmask_b32_e64 v17, 0, v21, s4
	s_mov_b32 s4, 0x50429b6d
	s_mov_b32 s5, 0x3fe20dd7
	v_mul_f64 v[10:11], v[10:11], v[16:17]
	v_mul_f64 v[14:15], v[14:15], s[4:5]
	s_mov_b32 s4, 0xfd0a823a
	s_mov_b32 s5, 0x4020a402
	v_div_scale_f64 v[16:17], null, v[10:11], v[10:11], v[14:15]
	v_rcp_f64_e32 v[18:19], v[16:17]
	v_fma_f64 v[20:21], -v[16:17], v[18:19], 1.0
	v_fma_f64 v[18:19], v[18:19], v[20:21], v[18:19]
	v_fma_f64 v[20:21], -v[16:17], v[18:19], 1.0
	v_fma_f64 v[18:19], v[18:19], v[20:21], v[18:19]
	v_div_scale_f64 v[20:21], vcc_lo, v[14:15], v[10:11], v[14:15]
	v_mul_f64 v[22:23], v[20:21], v[18:19]
	v_fma_f64 v[16:17], -v[16:17], v[22:23], v[20:21]
	v_div_fmas_f64 v[16:17], v[16:17], v[18:19], v[22:23]
	v_cmp_nlt_f64_e32 vcc_lo, s[4:5], v[6:7]
	s_andn2_b32 s4, s9, exec_lo
	v_div_fixup_f64 v[10:11], v[16:17], v[10:11], v[14:15]
	s_and_b32 s5, vcc_lo, exec_lo
	s_or_b32 s4, s4, s5
.LBB1_49:
	s_or_b32 exec_lo, exec_lo, s10
	s_and_saveexec_b32 s5, s4
	s_cbranch_execz .LBB1_53
; %bb.50:
	v_mul_f64 v[14:15], v[6:7], v[6:7]
	v_mov_b32_e32 v20, 0
	v_mov_b32_e32 v22, 0
	;; [unrolled: 1-line block ×6, first 2 shown]
	s_mov_b32 s10, 0
	v_mul_f64 v[16:17], v[6:7], v[14:15]
	v_mov_b32_e32 v14, 0
	v_mov_b32_e32 v15, 0x3ff00000
.LBB1_51:                               ; =>This Inner Loop Header: Depth=1
	v_mul_f64 v[20:21], v[16:17], v[20:21]
	v_add_f64 v[22:23], v[22:23], 1.0
	v_mul_f64 v[6:7], v[16:17], v[6:7]
	v_div_scale_f64 v[24:25], null, v[22:23], v[22:23], v[20:21]
	v_div_scale_f64 v[30:31], vcc_lo, v[20:21], v[22:23], v[20:21]
	v_rcp_f64_e32 v[26:27], v[24:25]
	v_fma_f64 v[28:29], -v[24:25], v[26:27], 1.0
	v_fma_f64 v[26:27], v[26:27], v[28:29], v[26:27]
	v_fma_f64 v[28:29], -v[24:25], v[26:27], 1.0
	v_fma_f64 v[26:27], v[26:27], v[28:29], v[26:27]
	v_mul_f64 v[28:29], v[30:31], v[26:27]
	v_fma_f64 v[24:25], -v[24:25], v[28:29], v[30:31]
	v_div_fmas_f64 v[24:25], v[24:25], v[26:27], v[28:29]
	v_add_f64 v[26:27], v[22:23], 1.0
	v_div_fixup_f64 v[20:21], v[24:25], v[22:23], v[20:21]
	v_div_scale_f64 v[22:23], null, v[26:27], v[26:27], v[6:7]
	v_div_scale_f64 v[37:38], vcc_lo, v[6:7], v[26:27], v[6:7]
	v_div_scale_f64 v[24:25], null, v[26:27], v[26:27], v[20:21]
	v_rcp_f64_e32 v[28:29], v[22:23]
	v_rcp_f64_e32 v[30:31], v[24:25]
	v_fma_f64 v[33:34], -v[22:23], v[28:29], 1.0
	v_fma_f64 v[35:36], -v[24:25], v[30:31], 1.0
	v_fma_f64 v[28:29], v[28:29], v[33:34], v[28:29]
	v_fma_f64 v[30:31], v[30:31], v[35:36], v[30:31]
	v_fma_f64 v[33:34], -v[22:23], v[28:29], 1.0
	v_fma_f64 v[35:36], -v[24:25], v[30:31], 1.0
	v_fma_f64 v[28:29], v[28:29], v[33:34], v[28:29]
	v_div_scale_f64 v[33:34], s4, v[20:21], v[26:27], v[20:21]
	v_fma_f64 v[30:31], v[30:31], v[35:36], v[30:31]
	v_mul_f64 v[35:36], v[37:38], v[28:29]
	v_mul_f64 v[48:49], v[33:34], v[30:31]
	v_fma_f64 v[22:23], -v[22:23], v[35:36], v[37:38]
	v_fma_f64 v[24:25], -v[24:25], v[48:49], v[33:34]
	v_div_fmas_f64 v[28:29], v[22:23], v[28:29], v[35:36]
	s_mov_b32 vcc_lo, s4
	v_div_fmas_f64 v[22:23], v[24:25], v[30:31], v[48:49]
	v_div_fixup_f64 v[6:7], v[28:29], v[26:27], v[6:7]
	v_div_fixup_f64 v[20:21], v[22:23], v[26:27], v[20:21]
	v_add_f64 v[22:23], v[26:27], 1.0
	v_add_f64 v[14:15], v[14:15], v[20:21]
	v_div_scale_f64 v[24:25], null, v[22:23], v[22:23], v[6:7]
	v_div_scale_f64 v[37:38], vcc_lo, v[6:7], v[22:23], v[6:7]
	v_div_scale_f64 v[26:27], null, v[14:15], v[14:15], v[20:21]
	v_rcp_f64_e32 v[28:29], v[24:25]
	v_rcp_f64_e32 v[30:31], v[26:27]
	v_fma_f64 v[33:34], -v[24:25], v[28:29], 1.0
	v_fma_f64 v[35:36], -v[26:27], v[30:31], 1.0
	v_fma_f64 v[28:29], v[28:29], v[33:34], v[28:29]
	v_fma_f64 v[30:31], v[30:31], v[35:36], v[30:31]
	v_fma_f64 v[33:34], -v[24:25], v[28:29], 1.0
	v_fma_f64 v[35:36], -v[26:27], v[30:31], 1.0
	v_fma_f64 v[28:29], v[28:29], v[33:34], v[28:29]
	v_div_scale_f64 v[33:34], s4, v[20:21], v[14:15], v[20:21]
	v_fma_f64 v[30:31], v[30:31], v[35:36], v[30:31]
	v_mul_f64 v[35:36], v[37:38], v[28:29]
	v_mul_f64 v[48:49], v[33:34], v[30:31]
	v_fma_f64 v[24:25], -v[24:25], v[35:36], v[37:38]
	v_fma_f64 v[26:27], -v[26:27], v[48:49], v[33:34]
	v_div_fmas_f64 v[24:25], v[24:25], v[28:29], v[35:36]
	s_mov_b32 vcc_lo, s4
	v_div_fmas_f64 v[26:27], v[26:27], v[30:31], v[48:49]
	v_div_fixup_f64 v[6:7], v[24:25], v[22:23], v[6:7]
	v_div_fixup_f64 v[26:27], v[26:27], v[14:15], v[20:21]
	v_add_f64 v[18:19], v[18:19], v[6:7]
	v_cmp_nlt_f64_e64 s4, 0x3cb00000, |v[26:27]|
	s_or_b32 s10, s4, s10
	s_andn2_b32 exec_lo, exec_lo, s10
	s_cbranch_execnz .LBB1_51
; %bb.52:
	s_or_b32 exec_lo, exec_lo, s10
	s_mov_b32 s10, 0x42b70f8b
	s_mov_b32 s11, 0xbfd0907f
	v_mul_f64 v[6:7], v[18:19], s[10:11]
	s_mov_b32 s10, 0x962715b8
	s_mov_b32 s11, 0x3fd6b8c7
	v_fma_f64 v[6:7], v[14:15], s[10:11], v[6:7]
	v_cndmask_b32_e64 v11, v11, v7, s9
	v_cndmask_b32_e64 v10, v10, v6, s9
.LBB1_53:
	s_or_b32 exec_lo, exec_lo, s5
.LBB1_54:
	s_andn2_saveexec_b32 s46, s8
	s_cbranch_execz .LBB1_64
; %bb.55:
	v_cmp_lt_f64_e32 vcc_lo, 0x90000000, v[6:7]
	s_mov_b32 s5, 0x3fe921fb
	s_mov_b32 s4, 0x54442d18
                                        ; implicit-def: $vgpr34
                                        ; implicit-def: $vgpr22_vgpr23
	v_cndmask_b32_e64 v10, 0, 0x100, vcc_lo
	v_ldexp_f64 v[10:11], -v[6:7], v10
	v_rsq_f64_e32 v[14:15], v[10:11]
	v_mul_f64 v[16:17], v[10:11], v[14:15]
	v_mul_f64 v[14:15], v[14:15], 0.5
	v_fma_f64 v[18:19], -v[14:15], v[16:17], 0.5
	v_fma_f64 v[16:17], v[16:17], v[18:19], v[16:17]
	v_fma_f64 v[14:15], v[14:15], v[18:19], v[14:15]
	v_fma_f64 v[18:19], -v[16:17], v[16:17], v[10:11]
	v_fma_f64 v[16:17], v[18:19], v[14:15], v[16:17]
	v_fma_f64 v[18:19], -v[16:17], v[16:17], v[10:11]
	v_fma_f64 v[14:15], v[18:19], v[14:15], v[16:17]
	v_cndmask_b32_e64 v16, 0, 0xffffff80, vcc_lo
	v_cmp_class_f64_e64 vcc_lo, v[10:11], 0x260
	v_ldexp_f64 v[14:15], v[14:15], v16
	v_mul_f64 v[16:17], v[6:7], -2.0
	v_cndmask_b32_e32 v7, v15, v11, vcc_lo
	v_cndmask_b32_e32 v6, v14, v10, vcc_lo
	v_mul_f64 v[10:11], v[16:17], v[6:7]
	v_div_scale_f64 v[14:15], null, 0x40080000, 0x40080000, v[10:11]
	v_div_scale_f64 v[20:21], vcc_lo, v[10:11], 0x40080000, v[10:11]
	v_rcp_f64_e32 v[16:17], v[14:15]
	v_fma_f64 v[18:19], -v[14:15], v[16:17], 1.0
	v_fma_f64 v[16:17], v[16:17], v[18:19], v[16:17]
	v_fma_f64 v[18:19], -v[14:15], v[16:17], 1.0
	v_fma_f64 v[16:17], v[16:17], v[18:19], v[16:17]
	v_mul_f64 v[18:19], v[20:21], v[16:17]
	v_fma_f64 v[14:15], -v[14:15], v[18:19], v[20:21]
	v_div_fmas_f64 v[14:15], v[14:15], v[16:17], v[18:19]
                                        ; implicit-def: $vgpr18_vgpr19
	v_div_fixup_f64 v[10:11], v[14:15], 0x40080000, v[10:11]
	v_add_f64 v[14:15], v[10:11], s[4:5]
	v_cmp_ngt_f64_e64 s8, 0x41d00000, |v[14:15]|
	v_trig_preop_f64 v[28:29], |v[14:15]|, 0
	v_trig_preop_f64 v[26:27], |v[14:15]|, 1
	v_ldexp_f64 v[30:31], |v[14:15]|, 0xffffff80
	v_trig_preop_f64 v[24:25], |v[14:15]|, 2
	v_and_b32_e32 v35, 0x7fffffff, v15
	s_and_saveexec_b32 s5, s8
	s_xor_b32 s9, exec_lo, s5
	s_cbranch_execz .LBB1_57
; %bb.56:
	v_cmp_le_f64_e64 vcc_lo, 0x7b000000, |v[14:15]|
	v_mov_b32_e32 v54, 0
	s_mov_b32 s5, 0x3ff921fb
	s_mov_b32 s10, 0x33145c07
	s_mov_b32 s11, 0x3c91a626
	v_cndmask_b32_e32 v17, v35, v31, vcc_lo
	v_cndmask_b32_e32 v16, v14, v30, vcc_lo
	v_mul_f64 v[18:19], v[28:29], v[16:17]
	v_mul_f64 v[20:21], v[26:27], v[16:17]
	;; [unrolled: 1-line block ×3, first 2 shown]
	v_fma_f64 v[22:23], v[28:29], v[16:17], -v[18:19]
	v_fma_f64 v[52:53], v[26:27], v[16:17], -v[20:21]
	;; [unrolled: 1-line block ×3, first 2 shown]
	v_add_f64 v[33:34], v[20:21], v[22:23]
	v_add_f64 v[36:37], v[33:34], -v[20:21]
	v_add_f64 v[48:49], v[18:19], v[33:34]
	v_add_f64 v[38:39], v[33:34], -v[36:37]
	v_add_f64 v[22:23], v[22:23], -v[36:37]
	v_ldexp_f64 v[36:37], v[48:49], -2
	v_add_f64 v[18:19], v[48:49], -v[18:19]
	v_add_f64 v[20:21], v[20:21], -v[38:39]
	v_add_f64 v[38:39], v[50:51], v[52:53]
	v_cmp_neq_f64_e64 vcc_lo, 0x7ff00000, |v[36:37]|
	v_add_f64 v[18:19], v[33:34], -v[18:19]
	v_add_f64 v[20:21], v[22:23], v[20:21]
	v_fract_f64_e32 v[22:23], v[36:37]
	v_add_f64 v[33:34], v[38:39], v[20:21]
	v_ldexp_f64 v[22:23], v[22:23], 2
	v_add_f64 v[36:37], v[18:19], v[33:34]
	v_cndmask_b32_e32 v23, 0, v23, vcc_lo
	v_cndmask_b32_e32 v22, 0, v22, vcc_lo
	v_add_f64 v[64:65], v[33:34], -v[38:39]
	v_add_f64 v[48:49], v[36:37], v[22:23]
	v_add_f64 v[18:19], v[36:37], -v[18:19]
	v_add_f64 v[70:71], v[33:34], -v[64:65]
	;; [unrolled: 1-line block ×3, first 2 shown]
	v_cmp_gt_f64_e32 vcc_lo, 0, v[48:49]
	v_add_f64 v[48:49], v[38:39], -v[50:51]
	v_add_f64 v[18:19], v[33:34], -v[18:19]
	v_cndmask_b32_e64 v55, 0, 0x40100000, vcc_lo
	v_add_f64 v[68:69], v[38:39], -v[48:49]
	v_add_f64 v[48:49], v[52:53], -v[48:49]
	;; [unrolled: 1-line block ×3, first 2 shown]
	v_add_f64 v[22:23], v[22:23], v[54:55]
	v_add_f64 v[52:53], v[50:51], -v[68:69]
	v_add_f64 v[20:21], v[20:21], v[38:39]
	v_add_f64 v[66:67], v[36:37], v[22:23]
	;; [unrolled: 1-line block ×3, first 2 shown]
	v_cvt_i32_f64_e32 v55, v[66:67]
	v_add_f64 v[20:21], v[48:49], v[20:21]
	v_cvt_f64_i32_e32 v[64:65], v55
	v_add_f64 v[16:17], v[16:17], v[20:21]
	v_add_f64 v[22:23], v[22:23], -v[64:65]
	v_add_f64 v[16:17], v[18:19], v[16:17]
	v_add_f64 v[38:39], v[36:37], v[22:23]
	v_add_f64 v[20:21], v[38:39], -v[22:23]
	v_cmp_le_f64_e32 vcc_lo, 0.5, v[38:39]
	v_add_f64 v[18:19], v[36:37], -v[20:21]
	v_add_co_ci_u32_e64 v34, null, 0, v55, vcc_lo
	v_cndmask_b32_e64 v55, 0, 0x3ff00000, vcc_lo
	v_add_f64 v[16:17], v[16:17], v[18:19]
	v_add_f64 v[18:19], v[38:39], -v[54:55]
	v_add_f64 v[20:21], v[18:19], v[16:17]
	v_mul_f64 v[22:23], v[20:21], s[4:5]
	v_add_f64 v[18:19], v[20:21], -v[18:19]
	v_fma_f64 v[36:37], v[20:21], s[4:5], -v[22:23]
	v_add_f64 v[16:17], v[16:17], -v[18:19]
	v_fma_f64 v[18:19], v[20:21], s[10:11], v[36:37]
	v_fma_f64 v[16:17], v[16:17], s[4:5], v[18:19]
	v_add_f64 v[18:19], v[22:23], v[16:17]
	v_add_f64 v[20:21], v[18:19], -v[22:23]
	v_add_f64 v[22:23], v[16:17], -v[20:21]
	s_andn2_saveexec_b32 s4, s9
	s_cbranch_execz .LBB1_59
	s_branch .LBB1_58
.LBB1_57:
	s_andn2_saveexec_b32 s4, s9
	s_cbranch_execz .LBB1_59
.LBB1_58:
	s_mov_b32 s10, 0x6dc9c883
	s_mov_b32 s11, 0x3fe45f30
	;; [unrolled: 1-line block ×3, first 2 shown]
	v_mul_f64 v[16:17], |v[14:15]|, s[10:11]
	s_mov_b32 s10, 0x54442d18
	s_mov_b32 s11, 0xbff921fb
	;; [unrolled: 1-line block ×3, first 2 shown]
	v_rndne_f64_e32 v[16:17], v[16:17]
	v_fma_f64 v[18:19], v[16:17], s[10:11], |v[14:15]|
	v_mul_f64 v[20:21], v[16:17], s[12:13]
	s_mov_b32 s10, 0x252049c0
	s_mov_b32 s11, 0xb97b839a
	v_fma_f64 v[33:34], v[16:17], s[12:13], v[18:19]
	v_add_f64 v[22:23], v[18:19], v[20:21]
	s_mov_b32 s13, 0x3c91a626
	v_add_f64 v[18:19], v[18:19], -v[22:23]
	v_add_f64 v[22:23], v[22:23], -v[33:34]
	v_add_f64 v[18:19], v[18:19], v[20:21]
	v_fma_f64 v[20:21], v[16:17], s[12:13], v[20:21]
	v_add_f64 v[18:19], v[22:23], v[18:19]
	v_add_f64 v[18:19], v[18:19], -v[20:21]
	v_fma_f64 v[20:21], v[16:17], s[10:11], v[18:19]
	v_add_f64 v[18:19], v[33:34], v[20:21]
	v_add_f64 v[22:23], v[18:19], -v[33:34]
	v_cvt_i32_f64_e32 v34, v[16:17]
	v_add_f64 v[22:23], v[20:21], -v[22:23]
.LBB1_59:
	s_or_b32 exec_lo, exec_lo, s4
                                        ; implicit-def: $vgpr33
                                        ; implicit-def: $vgpr16_vgpr17
                                        ; implicit-def: $vgpr20_vgpr21
	s_and_saveexec_b32 s4, s8
	s_xor_b32 s4, exec_lo, s4
	s_cbranch_execz .LBB1_61
; %bb.60:
	v_cmp_le_f64_e64 vcc_lo, 0x7b000000, |v[14:15]|
	v_mov_b32_e32 v54, 0
	s_mov_b32 s8, 0x54442d18
	s_mov_b32 s9, 0x3ff921fb
	;; [unrolled: 1-line block ×4, first 2 shown]
	v_cndmask_b32_e32 v17, v35, v31, vcc_lo
	v_cndmask_b32_e32 v16, v14, v30, vcc_lo
	v_mul_f64 v[20:21], v[28:29], v[16:17]
	v_mul_f64 v[30:31], v[26:27], v[16:17]
	;; [unrolled: 1-line block ×3, first 2 shown]
	v_fma_f64 v[28:29], v[28:29], v[16:17], -v[20:21]
	v_fma_f64 v[26:27], v[26:27], v[16:17], -v[30:31]
	;; [unrolled: 1-line block ×3, first 2 shown]
	v_add_f64 v[35:36], v[30:31], v[28:29]
	v_add_f64 v[37:38], v[35:36], -v[30:31]
	v_add_f64 v[50:51], v[20:21], v[35:36]
	v_add_f64 v[48:49], v[35:36], -v[37:38]
	v_add_f64 v[28:29], v[28:29], -v[37:38]
	v_ldexp_f64 v[37:38], v[50:51], -2
	v_add_f64 v[20:21], v[50:51], -v[20:21]
	v_add_f64 v[30:31], v[30:31], -v[48:49]
	v_add_f64 v[48:49], v[52:53], v[26:27]
	v_cmp_neq_f64_e64 vcc_lo, 0x7ff00000, |v[37:38]|
	v_add_f64 v[20:21], v[35:36], -v[20:21]
	v_add_f64 v[28:29], v[28:29], v[30:31]
	v_fract_f64_e32 v[30:31], v[37:38]
	v_add_f64 v[35:36], v[48:49], v[28:29]
	v_ldexp_f64 v[30:31], v[30:31], 2
	v_add_f64 v[37:38], v[20:21], v[35:36]
	v_cndmask_b32_e32 v31, 0, v31, vcc_lo
	v_cndmask_b32_e32 v30, 0, v30, vcc_lo
	v_add_f64 v[64:65], v[35:36], -v[48:49]
	v_add_f64 v[50:51], v[37:38], v[30:31]
	v_add_f64 v[20:21], v[37:38], -v[20:21]
	v_add_f64 v[70:71], v[35:36], -v[64:65]
	;; [unrolled: 1-line block ×3, first 2 shown]
	v_cmp_gt_f64_e32 vcc_lo, 0, v[50:51]
	v_add_f64 v[50:51], v[48:49], -v[52:53]
	v_add_f64 v[20:21], v[35:36], -v[20:21]
	v_cndmask_b32_e64 v55, 0, 0x40100000, vcc_lo
	v_add_f64 v[68:69], v[48:49], -v[50:51]
	v_add_f64 v[26:27], v[26:27], -v[50:51]
	v_add_f64 v[48:49], v[48:49], -v[70:71]
	v_add_f64 v[30:31], v[30:31], v[54:55]
	v_add_f64 v[50:51], v[52:53], -v[68:69]
	v_add_f64 v[28:29], v[28:29], v[48:49]
	v_add_f64 v[66:67], v[37:38], v[30:31]
	;; [unrolled: 1-line block ×3, first 2 shown]
	v_cvt_i32_f64_e32 v33, v[66:67]
	v_add_f64 v[24:25], v[26:27], v[28:29]
	v_cvt_f64_i32_e32 v[64:65], v33
	v_add_f64 v[16:17], v[16:17], v[24:25]
	v_add_f64 v[30:31], v[30:31], -v[64:65]
	v_add_f64 v[16:17], v[20:21], v[16:17]
	v_add_f64 v[26:27], v[37:38], v[30:31]
	v_add_f64 v[24:25], v[26:27], -v[30:31]
	v_cmp_le_f64_e32 vcc_lo, 0.5, v[26:27]
	v_add_f64 v[20:21], v[37:38], -v[24:25]
	v_cndmask_b32_e64 v55, 0, 0x3ff00000, vcc_lo
	v_add_co_ci_u32_e64 v33, null, 0, v33, vcc_lo
	v_add_f64 v[16:17], v[16:17], v[20:21]
	v_add_f64 v[20:21], v[26:27], -v[54:55]
	v_add_f64 v[24:25], v[20:21], v[16:17]
	v_mul_f64 v[26:27], v[24:25], s[8:9]
	v_add_f64 v[20:21], v[24:25], -v[20:21]
	v_fma_f64 v[28:29], v[24:25], s[8:9], -v[26:27]
	v_add_f64 v[16:17], v[16:17], -v[20:21]
	v_fma_f64 v[20:21], v[24:25], s[10:11], v[28:29]
	v_fma_f64 v[20:21], v[16:17], s[8:9], v[20:21]
	v_add_f64 v[16:17], v[26:27], v[20:21]
	v_add_f64 v[24:25], v[16:17], -v[26:27]
	v_add_f64 v[20:21], v[20:21], -v[24:25]
	s_andn2_saveexec_b32 s4, s4
	s_cbranch_execnz .LBB1_62
	s_branch .LBB1_63
.LBB1_61:
	s_andn2_saveexec_b32 s4, s4
	s_cbranch_execz .LBB1_63
.LBB1_62:
	s_mov_b32 s8, 0x6dc9c883
	s_mov_b32 s9, 0x3fe45f30
	s_mov_b32 s11, 0xbc91a626
	v_mul_f64 v[16:17], |v[14:15]|, s[8:9]
	s_mov_b32 s8, 0x54442d18
	s_mov_b32 s9, 0xbff921fb
	;; [unrolled: 1-line block ×3, first 2 shown]
	v_rndne_f64_e32 v[24:25], v[16:17]
	v_fma_f64 v[16:17], v[24:25], s[8:9], |v[14:15]|
	v_mul_f64 v[20:21], v[24:25], s[10:11]
	s_mov_b32 s8, 0x252049c0
	s_mov_b32 s9, 0xb97b839a
	v_cvt_i32_f64_e32 v33, v[24:25]
	v_fma_f64 v[28:29], v[24:25], s[10:11], v[16:17]
	v_add_f64 v[26:27], v[16:17], v[20:21]
	s_mov_b32 s11, 0x3c91a626
	v_add_f64 v[16:17], v[16:17], -v[26:27]
	v_add_f64 v[26:27], v[26:27], -v[28:29]
	v_add_f64 v[16:17], v[16:17], v[20:21]
	v_fma_f64 v[20:21], v[24:25], s[10:11], v[20:21]
	v_add_f64 v[16:17], v[26:27], v[16:17]
	v_add_f64 v[16:17], v[16:17], -v[20:21]
	v_fma_f64 v[20:21], v[24:25], s[8:9], v[16:17]
	v_add_f64 v[16:17], v[28:29], v[20:21]
	v_add_f64 v[26:27], v[16:17], -v[28:29]
	v_add_f64 v[20:21], v[20:21], -v[26:27]
.LBB1_63:
	s_or_b32 exec_lo, exec_lo, s4
	v_div_scale_f64 v[24:25], null, v[10:11], v[10:11], 1.0
	s_mov_b32 s4, 0xd50ae6fb
	s_mov_b32 s5, 0xbfc0db6c
	;; [unrolled: 1-line block ×20, first 2 shown]
	v_rcp_f64_e32 v[26:27], v[24:25]
	s_mov_b32 s26, 0x19e83e5c
	s_mov_b32 s27, 0xbf2a01a0
	s_mov_b32 s28, 0x11110bb3
	s_mov_b32 s29, 0x3f811111
	s_mov_b32 s41, 0xbfc55555
	s_mov_b32 s40, s18
	s_mov_b32 s42, 0xddcfbbde
	s_mov_b32 s43, 0x3f943525
	v_fma_f64 v[28:29], -v[24:25], v[26:27], 1.0
	v_fma_f64 v[26:27], v[26:27], v[28:29], v[26:27]
	v_fma_f64 v[28:29], -v[24:25], v[26:27], 1.0
	v_fma_f64 v[26:27], v[26:27], v[28:29], v[26:27]
	v_div_scale_f64 v[28:29], vcc_lo, 1.0, v[10:11], 1.0
	v_mul_f64 v[30:31], v[28:29], v[26:27]
	v_fma_f64 v[24:25], -v[24:25], v[30:31], v[28:29]
	v_div_fmas_f64 v[24:25], v[24:25], v[26:27], v[30:31]
	v_mul_f64 v[30:31], v[18:19], v[18:19]
	v_div_fixup_f64 v[10:11], v[24:25], v[10:11], 1.0
	v_mul_f64 v[35:36], v[30:31], 0.5
	v_fma_f64 v[50:51], v[30:31], s[10:11], s[8:9]
	v_mul_f64 v[24:25], v[10:11], v[10:11]
	v_add_f64 v[37:38], -v[35:36], 1.0
	v_fma_f64 v[50:51], v[30:31], v[50:51], s[12:13]
	v_fma_f64 v[26:27], v[24:25], 0, s[4:5]
	s_mov_b32 s4, 0x98566852
	s_mov_b32 s5, 0xbfe40bee
	v_add_f64 v[48:49], -v[37:38], 1.0
	v_fma_f64 v[50:51], v[30:31], v[50:51], s[14:15]
	v_fma_f64 v[26:27], v[24:25], v[26:27], s[4:5]
	s_mov_b32 s4, 0xc2f79f7d
	s_mov_b32 s5, 0xbfe62e59
	v_add_f64 v[35:36], v[48:49], -v[35:36]
	v_fma_f64 v[50:51], v[30:31], v[50:51], s[16:17]
	v_mul_f64 v[48:49], v[30:31], v[30:31]
	v_fma_f64 v[26:27], v[24:25], v[26:27], s[4:5]
	s_mov_b32 s4, 0x4bb3f40b
	s_mov_b32 s5, 0xbfd1e7ea
	v_fma_f64 v[35:36], v[18:19], -v[22:23], v[35:36]
	v_fma_f64 v[50:51], v[30:31], v[50:51], s[18:19]
	v_fma_f64 v[26:27], v[24:25], v[26:27], s[4:5]
	s_mov_b32 s4, 0xf47dbd8a
	s_mov_b32 s5, 0xbfa92f6e
	v_fma_f64 v[35:36], v[48:49], v[50:51], v[35:36]
	v_mul_f64 v[48:49], v[18:19], -v[30:31]
	v_mul_f64 v[50:51], v[22:23], 0.5
	v_fma_f64 v[26:27], v[24:25], v[26:27], s[4:5]
	s_mov_b32 s4, 0xc8d9e090
	s_mov_b32 s5, 0xbf70a401
	v_add_f64 v[35:36], v[37:38], v[35:36]
	v_fma_f64 v[37:38], v[30:31], s[22:23], s[20:21]
	v_fma_f64 v[26:27], v[24:25], v[26:27], s[4:5]
	s_mov_b32 s4, 0xaf4b009c
	s_mov_b32 s5, 0xbf24e06e
	v_fma_f64 v[37:38], v[30:31], v[37:38], s[24:25]
	v_fma_f64 v[26:27], v[24:25], v[26:27], s[4:5]
	s_mov_b32 s4, 0x1d42366d
	s_mov_b32 s5, 0xbec74a78
	;; [unrolled: 4-line block ×3, first 2 shown]
	v_fma_f64 v[28:29], v[24:25], 0, s[4:5]
	s_mov_b32 s4, 0x44787b1a
	s_mov_b32 s5, 0x4040575c
	v_fma_f64 v[37:38], v[30:31], v[37:38], s[28:29]
	v_fma_f64 v[28:29], v[24:25], v[28:29], s[4:5]
	s_mov_b32 s4, 0xa3b73410
	s_mov_b32 s5, 0x403abc98
	v_fma_f64 v[37:38], v[48:49], v[37:38], v[50:51]
	v_fma_f64 v[28:29], v[24:25], v[28:29], s[4:5]
	s_mov_b32 s4, 0x2ac99873
	s_mov_b32 s5, 0x40225fc8
	v_fma_f64 v[22:23], v[30:31], v[37:38], -v[22:23]
	v_fma_f64 v[28:29], v[24:25], v[28:29], s[4:5]
	s_mov_b32 s4, 0x39de9319
	s_mov_b32 s5, 0x3ff79acb
	v_fma_f64 v[22:23], v[48:49], s[40:41], v[22:23]
	v_fma_f64 v[28:29], v[24:25], v[28:29], s[4:5]
	s_mov_b32 s4, 0xb4045a2b
	s_mov_b32 s5, 0x3fbd9dac
	v_add_f64 v[18:19], v[18:19], -v[22:23]
	v_and_b32_e32 v22, 1, v34
	v_cmp_eq_u32_e32 vcc_lo, 0, v22
	v_lshlrev_b32_e32 v22, 30, v34
	v_xor_b32_e32 v22, v22, v15
	v_and_b32_e32 v22, 0x80000000, v22
	v_fma_f64 v[28:29], v[24:25], v[28:29], s[4:5]
	s_mov_b32 s4, 0xe03af617
	s_mov_b32 s5, 0x3f7208ca
	v_cndmask_b32_e32 v19, v36, v19, vcc_lo
	v_cndmask_b32_e32 v18, v35, v18, vcc_lo
	v_xor_b32_e32 v19, v19, v22
	v_fma_f64 v[28:29], v[24:25], v[28:29], s[4:5]
	s_mov_b32 s4, 0xaf76e73b
	s_mov_b32 s5, 0x3f13c8d7
	v_fma_f64 v[28:29], v[24:25], v[28:29], s[4:5]
	s_mov_b32 s4, 0xb99518a7
	s_mov_b32 s5, 0x3e9e52b9
	;; [unrolled: 3-line block ×3, first 2 shown]
	v_fma_f64 v[26:27], v[24:25], v[26:27], s[4:5]
	v_cmp_class_f64_e64 s4, v[14:15], 0x1f8
	v_cndmask_b32_e64 v14, 0, v18, s4
	v_cndmask_b32_e64 v15, 0x7ff80000, v19, s4
	v_mul_f64 v[18:19], v[24:25], v[26:27]
	v_div_scale_f64 v[22:23], null, v[28:29], v[28:29], v[18:19]
	v_rcp_f64_e32 v[26:27], v[22:23]
	v_fma_f64 v[30:31], -v[22:23], v[26:27], 1.0
	v_fma_f64 v[26:27], v[26:27], v[30:31], v[26:27]
	v_fma_f64 v[30:31], -v[22:23], v[26:27], 1.0
	v_fma_f64 v[26:27], v[26:27], v[30:31], v[26:27]
	v_div_scale_f64 v[30:31], vcc_lo, v[18:19], v[28:29], v[18:19]
	v_mul_f64 v[34:35], v[30:31], v[26:27]
	v_fma_f64 v[22:23], -v[22:23], v[34:35], v[30:31]
	v_div_fmas_f64 v[22:23], v[22:23], v[26:27], v[34:35]
	v_cmp_gt_f64_e32 vcc_lo, 0x10000000, v[6:7]
	v_div_fixup_f64 v[18:19], v[22:23], v[28:29], v[18:19]
	v_fma_f64 v[22:23], v[24:25], 0, s[42:43]
	s_mov_b32 s42, 0x6437b7
	s_mov_b32 s43, 0x3fd907d5
	v_add_f64 v[18:19], v[18:19], 1.0
	v_fma_f64 v[22:23], v[24:25], v[22:23], s[42:43]
	s_mov_b32 s42, 0x3a2034eb
	s_mov_b32 s43, 0x3ff10d83
	v_fma_f64 v[22:23], v[24:25], v[22:23], s[42:43]
	s_mov_b32 s42, 0xa0ef1acb
	s_mov_b32 s43, 0x3fee0dac
	;; [unrolled: 3-line block ×11, first 2 shown]
	v_mul_f64 v[10:11], v[10:11], v[22:23]
	v_fma_f64 v[26:27], v[24:25], v[26:27], s[42:43]
	s_mov_b32 s42, 0x7ea7dc35
	s_mov_b32 s43, 0x402f211b
	v_fma_f64 v[26:27], v[24:25], v[26:27], s[42:43]
	s_mov_b32 s42, 0x2b79dbce
	s_mov_b32 s43, 0x4015e84e
	;; [unrolled: 3-line block ×8, first 2 shown]
	v_fma_f64 v[24:25], v[24:25], v[26:27], s[42:43]
	v_cndmask_b32_e64 v26, 0, 0x100, vcc_lo
	s_mov_b32 s42, 0x50429b6d
	s_mov_b32 s43, 0x3fe20dd7
	v_ldexp_f64 v[6:7], v[6:7], v26
	v_rsq_f64_e32 v[26:27], v[6:7]
	v_mul_f64 v[28:29], v[6:7], v[26:27]
	v_mul_f64 v[26:27], v[26:27], 0.5
	v_fma_f64 v[30:31], -v[26:27], v[28:29], 0.5
	v_fma_f64 v[28:29], v[28:29], v[30:31], v[28:29]
	v_fma_f64 v[26:27], v[26:27], v[30:31], v[26:27]
	v_fma_f64 v[34:35], -v[28:29], v[28:29], v[6:7]
	v_fma_f64 v[28:29], v[34:35], v[26:27], v[28:29]
	v_fma_f64 v[30:31], -v[28:29], v[28:29], v[6:7]
	v_fma_f64 v[26:27], v[30:31], v[26:27], v[28:29]
	v_cndmask_b32_e64 v28, 0, 0xffffff80, vcc_lo
	v_cmp_class_f64_e64 vcc_lo, v[6:7], 0x260
	v_ldexp_f64 v[26:27], v[26:27], v28
	v_cndmask_b32_e32 v7, v27, v7, vcc_lo
	v_cndmask_b32_e32 v6, v26, v6, vcc_lo
	v_div_scale_f64 v[26:27], null, v[6:7], v[6:7], s[42:43]
	v_rcp_f64_e32 v[28:29], v[26:27]
	v_fma_f64 v[30:31], -v[26:27], v[28:29], 1.0
	v_fma_f64 v[28:29], v[28:29], v[30:31], v[28:29]
	v_fma_f64 v[30:31], -v[26:27], v[28:29], 1.0
	v_fma_f64 v[28:29], v[28:29], v[30:31], v[28:29]
	v_div_scale_f64 v[30:31], vcc_lo, s[42:43], v[6:7], s[42:43]
	v_mul_f64 v[34:35], v[30:31], v[28:29]
	v_fma_f64 v[26:27], -v[26:27], v[34:35], v[30:31]
	v_div_fmas_f64 v[26:27], v[26:27], v[28:29], v[34:35]
	v_div_fixup_f64 v[6:7], v[26:27], v[6:7], s[42:43]
	v_mul_f64 v[26:27], v[16:17], v[16:17]
	v_mul_f64 v[28:29], v[26:27], 0.5
	v_fma_f64 v[36:37], v[26:27], s[10:11], s[8:9]
	v_add_f64 v[30:31], -v[28:29], 1.0
	v_fma_f64 v[36:37], v[26:27], v[36:37], s[12:13]
	v_add_f64 v[34:35], -v[30:31], 1.0
	v_fma_f64 v[36:37], v[26:27], v[36:37], s[14:15]
	v_add_f64 v[28:29], v[34:35], -v[28:29]
	v_fma_f64 v[36:37], v[26:27], v[36:37], s[16:17]
	v_mul_f64 v[34:35], v[26:27], v[26:27]
	v_fma_f64 v[28:29], v[16:17], -v[20:21], v[28:29]
	v_fma_f64 v[36:37], v[26:27], v[36:37], s[18:19]
	v_fma_f64 v[28:29], v[34:35], v[36:37], v[28:29]
	v_mul_f64 v[34:35], v[16:17], -v[26:27]
	v_mul_f64 v[36:37], v[20:21], 0.5
	v_add_f64 v[28:29], v[30:31], v[28:29]
	v_fma_f64 v[30:31], v[26:27], s[22:23], s[20:21]
	v_fma_f64 v[30:31], v[26:27], v[30:31], s[24:25]
	;; [unrolled: 1-line block ×5, first 2 shown]
	v_fma_f64 v[20:21], v[26:27], v[30:31], -v[20:21]
	v_fma_f64 v[20:21], v[34:35], s[40:41], v[20:21]
	v_add_f64 v[16:17], v[16:17], -v[20:21]
	v_and_b32_e32 v20, 1, v33
	v_cmp_eq_u32_e32 vcc_lo, 0, v20
	v_lshlrev_b32_e32 v20, 30, v33
	v_and_b32_e32 v20, 0x80000000, v20
	v_xor_b32_e32 v17, 0x80000000, v17
	v_cndmask_b32_e32 v16, v16, v28, vcc_lo
	v_cndmask_b32_e32 v17, v17, v29, vcc_lo
	v_cndmask_b32_e64 v16, 0, v16, s4
	v_xor_b32_e32 v17, v17, v20
	v_div_scale_f64 v[20:21], null, v[24:25], v[24:25], v[10:11]
	v_cndmask_b32_e64 v17, 0x7ff80000, v17, s4
	v_rcp_f64_e32 v[22:23], v[20:21]
	v_fma_f64 v[26:27], -v[20:21], v[22:23], 1.0
	v_fma_f64 v[22:23], v[22:23], v[26:27], v[22:23]
	v_fma_f64 v[26:27], -v[20:21], v[22:23], 1.0
	v_fma_f64 v[22:23], v[22:23], v[26:27], v[22:23]
	v_div_scale_f64 v[26:27], vcc_lo, v[10:11], v[24:25], v[10:11]
	v_mul_f64 v[28:29], v[26:27], v[22:23]
	v_fma_f64 v[20:21], -v[20:21], v[28:29], v[26:27]
	v_div_fmas_f64 v[20:21], v[20:21], v[22:23], v[28:29]
	v_div_fixup_f64 v[10:11], v[20:21], v[24:25], v[10:11]
	v_mul_f64 v[10:11], v[10:11], v[16:17]
	v_fma_f64 v[10:11], v[18:19], v[14:15], -v[10:11]
	v_mul_f64 v[10:11], v[6:7], v[10:11]
.LBB1_64:
	s_or_b32 exec_lo, exec_lo, s46
.LBB1_65:
	s_or_b32 exec_lo, exec_lo, s45
.LBB1_66:
	s_or_b32 exec_lo, exec_lo, s44
	s_mov_b32 s44, exec_lo
	v_cmpx_neq_f64_e64 0x7ff00000, |v[8:9]|
	s_cbranch_execz .LBB1_88
; %bb.67:
	v_mov_b32_e32 v12, 0
	v_mov_b32_e32 v13, 0
	s_mov_b32 s4, 0x872b020c
	s_mov_b32 s5, 0x4059f916
	s_mov_b32 s45, exec_lo
	v_cmpx_nlt_f64_e32 s[4:5], v[8:9]
	s_cbranch_execz .LBB1_87
; %bb.68:
	s_mov_b32 s5, 0xc000b851
	s_mov_b32 s4, 0xeb851eb8
	v_cmp_ngt_f64_e32 vcc_lo, s[4:5], v[8:9]
	s_and_saveexec_b32 s5, vcc_lo
	s_xor_b32 s8, exec_lo, s5
	s_cbranch_execz .LBB1_76
; %bb.69:
	s_mov_b32 s5, 0x4000b851
	v_mov_b32_e32 v12, 0
	v_cmp_nle_f64_e64 s9, s[4:5], v[8:9]
	v_cmp_le_f64_e32 vcc_lo, s[4:5], v[8:9]
	v_mov_b32_e32 v13, 0
	s_mov_b32 s4, s9
	s_and_saveexec_b32 s10, vcc_lo
	s_cbranch_execz .LBB1_71
; %bb.70:
	v_cmp_gt_f64_e32 vcc_lo, 0x10000000, v[8:9]
	s_mov_b32 s4, 0x2537b658
	s_mov_b32 s12, 0x2624d31
	;; [unrolled: 1-line block ×4, first 2 shown]
	v_cndmask_b32_e64 v6, 0, 0x100, vcc_lo
	v_ldexp_f64 v[6:7], v[8:9], v6
	v_rsq_f64_e32 v[12:13], v[6:7]
	v_mul_f64 v[14:15], v[6:7], v[12:13]
	v_mul_f64 v[12:13], v[12:13], 0.5
	v_fma_f64 v[16:17], -v[12:13], v[14:15], 0.5
	v_fma_f64 v[14:15], v[14:15], v[16:17], v[14:15]
	v_fma_f64 v[12:13], v[12:13], v[16:17], v[12:13]
	v_fma_f64 v[16:17], -v[14:15], v[14:15], v[6:7]
	v_fma_f64 v[14:15], v[16:17], v[12:13], v[14:15]
	v_fma_f64 v[16:17], -v[14:15], v[14:15], v[6:7]
	v_fma_f64 v[12:13], v[16:17], v[12:13], v[14:15]
	v_cndmask_b32_e64 v14, 0, 0xffffff80, vcc_lo
	v_cmp_class_f64_e64 vcc_lo, v[6:7], 0x260
	v_ldexp_f64 v[12:13], v[12:13], v14
	v_add_f64 v[14:15], v[8:9], v[8:9]
	v_cndmask_b32_e32 v7, v13, v7, vcc_lo
	v_cndmask_b32_e32 v6, v12, v6, vcc_lo
	v_mul_f64 v[12:13], v[14:15], v[6:7]
	v_div_scale_f64 v[14:15], null, 0x40080000, 0x40080000, v[12:13]
	v_div_scale_f64 v[20:21], vcc_lo, v[12:13], 0x40080000, v[12:13]
	v_rcp_f64_e32 v[16:17], v[14:15]
	v_fma_f64 v[18:19], -v[14:15], v[16:17], 1.0
	v_fma_f64 v[16:17], v[16:17], v[18:19], v[16:17]
	v_fma_f64 v[18:19], -v[14:15], v[16:17], 1.0
	v_fma_f64 v[16:17], v[16:17], v[18:19], v[16:17]
	v_mul_f64 v[18:19], v[20:21], v[16:17]
	v_fma_f64 v[14:15], -v[14:15], v[18:19], v[20:21]
	v_div_fmas_f64 v[14:15], v[14:15], v[16:17], v[18:19]
	v_div_fixup_f64 v[12:13], v[14:15], 0x40080000, v[12:13]
	v_div_scale_f64 v[14:15], null, v[12:13], v[12:13], 1.0
	v_div_scale_f64 v[20:21], vcc_lo, 1.0, v[12:13], 1.0
	v_rcp_f64_e32 v[16:17], v[14:15]
	v_fma_f64 v[18:19], -v[14:15], v[16:17], 1.0
	v_fma_f64 v[16:17], v[16:17], v[18:19], v[16:17]
	v_fma_f64 v[18:19], -v[14:15], v[16:17], 1.0
	v_fma_f64 v[16:17], v[16:17], v[18:19], v[16:17]
	v_mul_f64 v[18:19], v[20:21], v[16:17]
	v_fma_f64 v[14:15], -v[14:15], v[18:19], v[20:21]
	v_div_fmas_f64 v[14:15], v[14:15], v[16:17], v[18:19]
	v_cmp_gt_f64_e32 vcc_lo, 0x10000000, v[6:7]
	v_div_fixup_f64 v[14:15], v[14:15], v[12:13], 1.0
	v_cndmask_b32_e64 v26, 0, 0x100, vcc_lo
	v_ldexp_f64 v[6:7], v[6:7], v26
	v_fma_f64 v[16:17], v[14:15], 0, s[12:13]
	v_fma_f64 v[18:19], v[14:15], 0, s[4:5]
	s_mov_b32 s4, 0x652b82fe
	s_mov_b32 s5, 0x3ff71547
	;; [unrolled: 1-line block ×3, first 2 shown]
	v_mul_f64 v[20:21], v[12:13], s[4:5]
	s_mov_b32 s4, 0x871a9067
	s_mov_b32 s5, 0x402803e3
	;; [unrolled: 1-line block ×3, first 2 shown]
	v_fma_f64 v[16:17], v[14:15], v[16:17], s[12:13]
	v_fma_f64 v[18:19], v[14:15], v[18:19], s[4:5]
	s_mov_b32 s4, 0xde2e1e3
	s_mov_b32 s12, 0xb04d51a0
	;; [unrolled: 1-line block ×3, first 2 shown]
	v_rndne_f64_e32 v[20:21], v[20:21]
	s_mov_b32 s13, 0x405520e3
	v_fma_f64 v[16:17], v[14:15], v[16:17], s[12:13]
	v_fma_f64 v[18:19], v[14:15], v[18:19], s[4:5]
	s_mov_b32 s4, 0xfefa39ef
	s_mov_b32 s5, 0xbfe62e42
	;; [unrolled: 1-line block ×3, first 2 shown]
	v_fma_f64 v[22:23], v[20:21], s[4:5], v[12:13]
	s_mov_b32 s4, 0xee40073c
	s_mov_b32 s5, 0x406502da
	;; [unrolled: 1-line block ×3, first 2 shown]
	v_fma_f64 v[16:17], v[14:15], v[16:17], s[12:13]
	v_fma_f64 v[18:19], v[14:15], v[18:19], s[4:5]
	s_mov_b32 s4, 0x3b39803f
	s_mov_b32 s5, 0xbc7abc9e
	s_mov_b32 s12, 0x9a9ffa61
	v_fma_f64 v[22:23], v[20:21], s[4:5], v[22:23]
	s_mov_b32 s4, 0x5ba1fddf
	s_mov_b32 s5, 0x4063f834
	;; [unrolled: 1-line block ×3, first 2 shown]
	v_fma_f64 v[16:17], v[14:15], v[16:17], s[12:13]
	v_fma_f64 v[18:19], v[14:15], v[18:19], s[4:5]
	s_mov_b32 s4, 0xfca7ab0c
	s_mov_b32 s12, 0x6a5dcb37
	;; [unrolled: 1-line block ×4, first 2 shown]
	v_fma_f64 v[24:25], v[22:23], s[12:13], s[4:5]
	s_mov_b32 s4, 0x4f4cea4f
	s_mov_b32 s12, 0xee91d35f
	;; [unrolled: 1-line block ×4, first 2 shown]
	v_fma_f64 v[16:17], v[14:15], v[16:17], s[12:13]
	v_fma_f64 v[18:19], v[14:15], v[18:19], s[4:5]
	s_mov_b32 s4, 0x623fde64
	s_mov_b32 s5, 0x3ec71dee
	;; [unrolled: 1-line block ×4, first 2 shown]
	v_fma_f64 v[24:25], v[22:23], v[24:25], s[4:5]
	s_mov_b32 s4, 0x5c2a0f4d
	s_mov_b32 s5, 0x402c0d8d
	v_fma_f64 v[16:17], v[14:15], v[16:17], s[12:13]
	v_fma_f64 v[18:19], v[14:15], v[18:19], s[4:5]
	s_mov_b32 s4, 0x7c89e6b0
	s_mov_b32 s5, 0x3efa0199
	v_fma_f64 v[24:25], v[22:23], v[24:25], s[4:5]
	s_mov_b32 s4, 0x14761f6e
	s_mov_b32 s5, 0x3f2a01a0
	v_fma_f64 v[16:17], v[14:15], v[16:17], 1.0
	v_fma_f64 v[14:15], v[14:15], v[18:19], 1.0
	v_rsq_f64_e32 v[18:19], v[6:7]
	v_fma_f64 v[24:25], v[22:23], v[24:25], s[4:5]
	s_mov_b32 s4, 0x1852b7b0
	s_mov_b32 s5, 0x3f56c16c
	v_div_scale_f64 v[26:27], null, v[16:17], v[16:17], v[14:15]
	v_mul_f64 v[28:29], v[6:7], v[18:19]
	v_mul_f64 v[18:19], v[18:19], 0.5
	v_fma_f64 v[24:25], v[22:23], v[24:25], s[4:5]
	s_mov_b32 s4, 0x11122322
	s_mov_b32 s5, 0x3f811111
	v_rcp_f64_e32 v[30:31], v[26:27]
	v_fma_f64 v[33:34], -v[18:19], v[28:29], 0.5
	v_fma_f64 v[24:25], v[22:23], v[24:25], s[4:5]
	s_mov_b32 s4, 0x555502a1
	s_mov_b32 s5, 0x3fa55555
	v_fma_f64 v[35:36], -v[26:27], v[30:31], 1.0
	v_fma_f64 v[28:29], v[28:29], v[33:34], v[28:29]
	v_fma_f64 v[18:19], v[18:19], v[33:34], v[18:19]
	;; [unrolled: 1-line block ×3, first 2 shown]
	s_mov_b32 s4, 0x55555511
	s_mov_b32 s5, 0x3fc55555
	v_fma_f64 v[30:31], v[30:31], v[35:36], v[30:31]
	v_fma_f64 v[33:34], -v[28:29], v[28:29], v[6:7]
	v_fma_f64 v[24:25], v[22:23], v[24:25], s[4:5]
	s_mov_b32 s4, 11
	s_mov_b32 s5, 0x3fe00000
	v_fma_f64 v[35:36], -v[26:27], v[30:31], 1.0
	v_fma_f64 v[28:29], v[33:34], v[18:19], v[28:29]
	v_fma_f64 v[24:25], v[22:23], v[24:25], s[4:5]
	v_div_scale_f64 v[33:34], s4, v[14:15], v[16:17], v[14:15]
	v_cmp_class_f64_e64 s5, v[6:7], 0x260
	v_fma_f64 v[30:31], v[30:31], v[35:36], v[30:31]
	v_fma_f64 v[35:36], -v[28:29], v[28:29], v[6:7]
	v_fma_f64 v[24:25], v[22:23], v[24:25], 1.0
	v_mul_f64 v[37:38], v[33:34], v[30:31]
	v_fma_f64 v[18:19], v[35:36], v[18:19], v[28:29]
	v_cvt_i32_f64_e32 v28, v[20:21]
	v_fma_f64 v[20:21], v[22:23], v[24:25], 1.0
	v_cndmask_b32_e64 v24, 0, 0xffffff80, vcc_lo
	s_mov_b32 vcc_lo, s4
	v_cmp_ngt_f64_e64 s4, 0xc090cc00, v[12:13]
	v_fma_f64 v[22:23], -v[26:27], v[37:38], v[33:34]
	v_ldexp_f64 v[18:19], v[18:19], v24
	v_ldexp_f64 v[20:21], v[20:21], v28
	v_div_fmas_f64 v[22:23], v[22:23], v[30:31], v[37:38]
	v_cmp_nlt_f64_e32 vcc_lo, 0x40900000, v[12:13]
	v_cndmask_b32_e64 v7, v19, v7, s5
	v_cndmask_b32_e64 v6, v18, v6, s5
	v_add_f64 v[6:7], v[6:7], v[6:7]
	v_div_fixup_f64 v[12:13], v[22:23], v[16:17], v[14:15]
	v_cndmask_b32_e32 v19, 0x7ff00000, v21, vcc_lo
	s_and_b32 vcc_lo, s4, vcc_lo
	v_cndmask_b32_e32 v14, 0, v20, vcc_lo
	v_cndmask_b32_e64 v15, 0, v19, s4
	s_mov_b32 s4, 0x50429b6d
	s_mov_b32 s5, 0x3fe20dd7
	v_mul_f64 v[6:7], v[6:7], v[14:15]
	v_mul_f64 v[12:13], v[12:13], s[4:5]
	s_mov_b32 s4, 0xfd0a823a
	s_mov_b32 s5, 0x4020a402
	v_div_scale_f64 v[14:15], null, v[6:7], v[6:7], v[12:13]
	v_rcp_f64_e32 v[16:17], v[14:15]
	v_fma_f64 v[18:19], -v[14:15], v[16:17], 1.0
	v_fma_f64 v[16:17], v[16:17], v[18:19], v[16:17]
	v_fma_f64 v[18:19], -v[14:15], v[16:17], 1.0
	v_fma_f64 v[16:17], v[16:17], v[18:19], v[16:17]
	v_div_scale_f64 v[18:19], vcc_lo, v[12:13], v[6:7], v[12:13]
	v_mul_f64 v[20:21], v[18:19], v[16:17]
	v_fma_f64 v[14:15], -v[14:15], v[20:21], v[18:19]
	v_div_fmas_f64 v[14:15], v[14:15], v[16:17], v[20:21]
	v_cmp_nlt_f64_e32 vcc_lo, s[4:5], v[8:9]
	s_andn2_b32 s4, s9, exec_lo
	v_div_fixup_f64 v[12:13], v[14:15], v[6:7], v[12:13]
	s_and_b32 s5, vcc_lo, exec_lo
	s_or_b32 s4, s4, s5
.LBB1_71:
	s_or_b32 exec_lo, exec_lo, s10
	s_and_saveexec_b32 s5, s4
	s_cbranch_execz .LBB1_75
; %bb.72:
	v_mul_f64 v[6:7], v[8:9], v[8:9]
	v_mov_b32_e32 v18, 0
	v_mov_b32_e32 v20, 0
	;; [unrolled: 1-line block ×6, first 2 shown]
	s_mov_b32 s10, 0
	v_mul_f64 v[14:15], v[8:9], v[6:7]
	v_mov_b32_e32 v6, 0
	v_mov_b32_e32 v7, 0x3ff00000
.LBB1_73:                               ; =>This Inner Loop Header: Depth=1
	v_mul_f64 v[18:19], v[14:15], v[18:19]
	v_add_f64 v[20:21], v[20:21], 1.0
	v_mul_f64 v[8:9], v[14:15], v[8:9]
	v_div_scale_f64 v[22:23], null, v[20:21], v[20:21], v[18:19]
	v_div_scale_f64 v[28:29], vcc_lo, v[18:19], v[20:21], v[18:19]
	v_rcp_f64_e32 v[24:25], v[22:23]
	v_fma_f64 v[26:27], -v[22:23], v[24:25], 1.0
	v_fma_f64 v[24:25], v[24:25], v[26:27], v[24:25]
	v_fma_f64 v[26:27], -v[22:23], v[24:25], 1.0
	v_fma_f64 v[24:25], v[24:25], v[26:27], v[24:25]
	v_mul_f64 v[26:27], v[28:29], v[24:25]
	v_fma_f64 v[22:23], -v[22:23], v[26:27], v[28:29]
	v_div_fmas_f64 v[22:23], v[22:23], v[24:25], v[26:27]
	v_add_f64 v[24:25], v[20:21], 1.0
	v_div_fixup_f64 v[18:19], v[22:23], v[20:21], v[18:19]
	v_div_scale_f64 v[20:21], null, v[24:25], v[24:25], v[8:9]
	v_div_scale_f64 v[35:36], vcc_lo, v[8:9], v[24:25], v[8:9]
	v_div_scale_f64 v[22:23], null, v[24:25], v[24:25], v[18:19]
	v_rcp_f64_e32 v[26:27], v[20:21]
	v_rcp_f64_e32 v[28:29], v[22:23]
	v_fma_f64 v[30:31], -v[20:21], v[26:27], 1.0
	v_fma_f64 v[33:34], -v[22:23], v[28:29], 1.0
	v_fma_f64 v[26:27], v[26:27], v[30:31], v[26:27]
	v_fma_f64 v[28:29], v[28:29], v[33:34], v[28:29]
	v_fma_f64 v[30:31], -v[20:21], v[26:27], 1.0
	v_fma_f64 v[33:34], -v[22:23], v[28:29], 1.0
	v_fma_f64 v[26:27], v[26:27], v[30:31], v[26:27]
	v_div_scale_f64 v[30:31], s4, v[18:19], v[24:25], v[18:19]
	v_fma_f64 v[28:29], v[28:29], v[33:34], v[28:29]
	v_mul_f64 v[33:34], v[35:36], v[26:27]
	v_mul_f64 v[37:38], v[30:31], v[28:29]
	v_fma_f64 v[20:21], -v[20:21], v[33:34], v[35:36]
	v_fma_f64 v[22:23], -v[22:23], v[37:38], v[30:31]
	v_div_fmas_f64 v[26:27], v[20:21], v[26:27], v[33:34]
	s_mov_b32 vcc_lo, s4
	v_div_fmas_f64 v[20:21], v[22:23], v[28:29], v[37:38]
	v_div_fixup_f64 v[8:9], v[26:27], v[24:25], v[8:9]
	v_div_fixup_f64 v[18:19], v[20:21], v[24:25], v[18:19]
	v_add_f64 v[20:21], v[24:25], 1.0
	v_add_f64 v[6:7], v[6:7], v[18:19]
	v_div_scale_f64 v[22:23], null, v[20:21], v[20:21], v[8:9]
	v_div_scale_f64 v[35:36], vcc_lo, v[8:9], v[20:21], v[8:9]
	v_div_scale_f64 v[24:25], null, v[6:7], v[6:7], v[18:19]
	v_rcp_f64_e32 v[26:27], v[22:23]
	v_rcp_f64_e32 v[28:29], v[24:25]
	v_fma_f64 v[30:31], -v[22:23], v[26:27], 1.0
	v_fma_f64 v[33:34], -v[24:25], v[28:29], 1.0
	v_fma_f64 v[26:27], v[26:27], v[30:31], v[26:27]
	v_fma_f64 v[28:29], v[28:29], v[33:34], v[28:29]
	v_fma_f64 v[30:31], -v[22:23], v[26:27], 1.0
	v_fma_f64 v[33:34], -v[24:25], v[28:29], 1.0
	v_fma_f64 v[26:27], v[26:27], v[30:31], v[26:27]
	v_div_scale_f64 v[30:31], s4, v[18:19], v[6:7], v[18:19]
	v_fma_f64 v[28:29], v[28:29], v[33:34], v[28:29]
	v_mul_f64 v[33:34], v[35:36], v[26:27]
	v_mul_f64 v[37:38], v[30:31], v[28:29]
	v_fma_f64 v[22:23], -v[22:23], v[33:34], v[35:36]
	v_fma_f64 v[24:25], -v[24:25], v[37:38], v[30:31]
	v_div_fmas_f64 v[22:23], v[22:23], v[26:27], v[33:34]
	s_mov_b32 vcc_lo, s4
	v_div_fmas_f64 v[24:25], v[24:25], v[28:29], v[37:38]
	v_div_fixup_f64 v[8:9], v[22:23], v[20:21], v[8:9]
	v_div_fixup_f64 v[24:25], v[24:25], v[6:7], v[18:19]
	v_add_f64 v[16:17], v[16:17], v[8:9]
	v_cmp_nlt_f64_e64 s4, 0x3cb00000, |v[24:25]|
	s_or_b32 s10, s4, s10
	s_andn2_b32 exec_lo, exec_lo, s10
	s_cbranch_execnz .LBB1_73
; %bb.74:
	s_or_b32 exec_lo, exec_lo, s10
	s_mov_b32 s10, 0x42b70f8b
	s_mov_b32 s11, 0xbfd0907f
	v_mul_f64 v[8:9], v[16:17], s[10:11]
	s_mov_b32 s10, 0x962715b8
	s_mov_b32 s11, 0x3fd6b8c7
	v_fma_f64 v[6:7], v[6:7], s[10:11], v[8:9]
	v_cndmask_b32_e64 v13, v13, v7, s9
	v_cndmask_b32_e64 v12, v12, v6, s9
.LBB1_75:
	s_or_b32 exec_lo, exec_lo, s5
                                        ; implicit-def: $vgpr8_vgpr9
.LBB1_76:
	s_andn2_saveexec_b32 s46, s8
	s_cbranch_execz .LBB1_86
; %bb.77:
	v_cmp_lt_f64_e32 vcc_lo, 0x90000000, v[8:9]
	s_mov_b32 s5, 0x3fe921fb
	s_mov_b32 s4, 0x54442d18
                                        ; implicit-def: $vgpr31
                                        ; implicit-def: $vgpr20_vgpr21
	v_cndmask_b32_e64 v6, 0, 0x100, vcc_lo
	v_ldexp_f64 v[6:7], -v[8:9], v6
	v_mul_f64 v[8:9], v[8:9], -2.0
	v_rsq_f64_e32 v[12:13], v[6:7]
	v_mul_f64 v[14:15], v[6:7], v[12:13]
	v_mul_f64 v[12:13], v[12:13], 0.5
	v_fma_f64 v[16:17], -v[12:13], v[14:15], 0.5
	v_fma_f64 v[14:15], v[14:15], v[16:17], v[14:15]
	v_fma_f64 v[12:13], v[12:13], v[16:17], v[12:13]
	v_fma_f64 v[16:17], -v[14:15], v[14:15], v[6:7]
	v_fma_f64 v[14:15], v[16:17], v[12:13], v[14:15]
	v_fma_f64 v[16:17], -v[14:15], v[14:15], v[6:7]
	v_fma_f64 v[12:13], v[16:17], v[12:13], v[14:15]
	v_cndmask_b32_e64 v14, 0, 0xffffff80, vcc_lo
	v_cmp_class_f64_e64 vcc_lo, v[6:7], 0x260
	v_ldexp_f64 v[12:13], v[12:13], v14
	v_cndmask_b32_e32 v7, v13, v7, vcc_lo
	v_cndmask_b32_e32 v6, v12, v6, vcc_lo
	v_mul_f64 v[8:9], v[8:9], v[6:7]
	v_div_scale_f64 v[12:13], null, 0x40080000, 0x40080000, v[8:9]
	v_div_scale_f64 v[18:19], vcc_lo, v[8:9], 0x40080000, v[8:9]
	v_rcp_f64_e32 v[14:15], v[12:13]
	v_fma_f64 v[16:17], -v[12:13], v[14:15], 1.0
	v_fma_f64 v[14:15], v[14:15], v[16:17], v[14:15]
	v_fma_f64 v[16:17], -v[12:13], v[14:15], 1.0
	v_fma_f64 v[14:15], v[14:15], v[16:17], v[14:15]
	v_mul_f64 v[16:17], v[18:19], v[14:15]
	v_fma_f64 v[12:13], -v[12:13], v[16:17], v[18:19]
	v_div_fmas_f64 v[12:13], v[12:13], v[14:15], v[16:17]
                                        ; implicit-def: $vgpr16_vgpr17
	v_div_fixup_f64 v[8:9], v[12:13], 0x40080000, v[8:9]
	v_add_f64 v[12:13], v[8:9], s[4:5]
	v_cmp_ngt_f64_e64 s8, 0x41d00000, |v[12:13]|
	v_trig_preop_f64 v[26:27], |v[12:13]|, 0
	v_trig_preop_f64 v[24:25], |v[12:13]|, 1
	v_ldexp_f64 v[28:29], |v[12:13]|, 0xffffff80
	v_trig_preop_f64 v[22:23], |v[12:13]|, 2
	v_and_b32_e32 v33, 0x7fffffff, v13
	s_and_saveexec_b32 s5, s8
	s_xor_b32 s9, exec_lo, s5
	s_cbranch_execz .LBB1_79
; %bb.78:
	v_cmp_le_f64_e64 vcc_lo, 0x7b000000, |v[12:13]|
	v_mov_b32_e32 v52, 0
	s_mov_b32 s5, 0x3ff921fb
	s_mov_b32 s10, 0x33145c07
	;; [unrolled: 1-line block ×3, first 2 shown]
	v_cndmask_b32_e32 v15, v33, v29, vcc_lo
	v_cndmask_b32_e32 v14, v12, v28, vcc_lo
	v_mul_f64 v[16:17], v[26:27], v[14:15]
	v_mul_f64 v[18:19], v[24:25], v[14:15]
	;; [unrolled: 1-line block ×3, first 2 shown]
	v_fma_f64 v[20:21], v[26:27], v[14:15], -v[16:17]
	v_fma_f64 v[50:51], v[24:25], v[14:15], -v[18:19]
	;; [unrolled: 1-line block ×3, first 2 shown]
	v_add_f64 v[30:31], v[18:19], v[20:21]
	v_add_f64 v[34:35], v[30:31], -v[18:19]
	v_add_f64 v[38:39], v[16:17], v[30:31]
	v_add_f64 v[36:37], v[30:31], -v[34:35]
	v_add_f64 v[20:21], v[20:21], -v[34:35]
	v_ldexp_f64 v[34:35], v[38:39], -2
	v_add_f64 v[16:17], v[38:39], -v[16:17]
	v_add_f64 v[18:19], v[18:19], -v[36:37]
	v_add_f64 v[36:37], v[48:49], v[50:51]
	v_cmp_neq_f64_e64 vcc_lo, 0x7ff00000, |v[34:35]|
	v_add_f64 v[16:17], v[30:31], -v[16:17]
	v_add_f64 v[18:19], v[20:21], v[18:19]
	v_fract_f64_e32 v[20:21], v[34:35]
	v_add_f64 v[30:31], v[36:37], v[18:19]
	v_ldexp_f64 v[20:21], v[20:21], 2
	v_add_f64 v[34:35], v[16:17], v[30:31]
	v_cndmask_b32_e32 v21, 0, v21, vcc_lo
	v_cndmask_b32_e32 v20, 0, v20, vcc_lo
	v_add_f64 v[38:39], v[34:35], v[20:21]
	v_add_f64 v[16:17], v[34:35], -v[16:17]
	v_cmp_gt_f64_e32 vcc_lo, 0, v[38:39]
	v_add_f64 v[38:39], v[36:37], -v[48:49]
	v_add_f64 v[16:17], v[30:31], -v[16:17]
	v_cndmask_b32_e64 v53, 0, 0x40100000, vcc_lo
	v_add_f64 v[66:67], v[36:37], -v[38:39]
	v_add_f64 v[38:39], v[50:51], -v[38:39]
	v_add_f64 v[20:21], v[20:21], v[52:53]
	v_add_f64 v[53:54], v[30:31], -v[36:37]
	v_add_f64 v[50:51], v[48:49], -v[66:67]
	v_add_f64 v[64:65], v[34:35], v[20:21]
	;; [unrolled: 3-line block ×3, first 2 shown]
	v_cvt_i32_f64_e32 v55, v[64:65]
	v_add_f64 v[36:37], v[36:37], -v[68:69]
	v_cvt_f64_i32_e32 v[53:54], v55
	v_add_f64 v[18:19], v[18:19], v[36:37]
	v_add_f64 v[20:21], v[20:21], -v[53:54]
	v_add_f64 v[18:19], v[38:39], v[18:19]
	v_add_f64 v[36:37], v[34:35], v[20:21]
	;; [unrolled: 1-line block ×3, first 2 shown]
	v_add_f64 v[18:19], v[36:37], -v[20:21]
	v_cmp_le_f64_e32 vcc_lo, 0.5, v[36:37]
	v_add_f64 v[14:15], v[16:17], v[14:15]
	v_add_f64 v[16:17], v[34:35], -v[18:19]
	v_cndmask_b32_e64 v53, 0, 0x3ff00000, vcc_lo
	v_add_co_ci_u32_e64 v31, null, 0, v55, vcc_lo
	v_add_f64 v[14:15], v[14:15], v[16:17]
	v_add_f64 v[16:17], v[36:37], -v[52:53]
	v_add_f64 v[18:19], v[16:17], v[14:15]
	v_mul_f64 v[20:21], v[18:19], s[4:5]
	v_add_f64 v[16:17], v[18:19], -v[16:17]
	v_fma_f64 v[34:35], v[18:19], s[4:5], -v[20:21]
	v_add_f64 v[14:15], v[14:15], -v[16:17]
	v_fma_f64 v[16:17], v[18:19], s[10:11], v[34:35]
	v_fma_f64 v[14:15], v[14:15], s[4:5], v[16:17]
	v_add_f64 v[16:17], v[20:21], v[14:15]
	v_add_f64 v[18:19], v[16:17], -v[20:21]
	v_add_f64 v[20:21], v[14:15], -v[18:19]
	s_andn2_saveexec_b32 s4, s9
	s_cbranch_execz .LBB1_81
	s_branch .LBB1_80
.LBB1_79:
	s_andn2_saveexec_b32 s4, s9
	s_cbranch_execz .LBB1_81
.LBB1_80:
	s_mov_b32 s10, 0x6dc9c883
	s_mov_b32 s11, 0x3fe45f30
	;; [unrolled: 1-line block ×3, first 2 shown]
	v_mul_f64 v[14:15], |v[12:13]|, s[10:11]
	s_mov_b32 s10, 0x54442d18
	s_mov_b32 s11, 0xbff921fb
	;; [unrolled: 1-line block ×3, first 2 shown]
	v_rndne_f64_e32 v[14:15], v[14:15]
	v_fma_f64 v[16:17], v[14:15], s[10:11], |v[12:13]|
	v_mul_f64 v[18:19], v[14:15], s[12:13]
	s_mov_b32 s10, 0x252049c0
	s_mov_b32 s11, 0xb97b839a
	v_fma_f64 v[30:31], v[14:15], s[12:13], v[16:17]
	v_add_f64 v[20:21], v[16:17], v[18:19]
	s_mov_b32 s13, 0x3c91a626
	v_add_f64 v[16:17], v[16:17], -v[20:21]
	v_add_f64 v[20:21], v[20:21], -v[30:31]
	v_add_f64 v[16:17], v[16:17], v[18:19]
	v_fma_f64 v[18:19], v[14:15], s[12:13], v[18:19]
	v_add_f64 v[16:17], v[20:21], v[16:17]
	v_add_f64 v[16:17], v[16:17], -v[18:19]
	v_fma_f64 v[18:19], v[14:15], s[10:11], v[16:17]
	v_add_f64 v[16:17], v[30:31], v[18:19]
	v_add_f64 v[20:21], v[16:17], -v[30:31]
	v_cvt_i32_f64_e32 v31, v[14:15]
	v_add_f64 v[20:21], v[18:19], -v[20:21]
.LBB1_81:
	s_or_b32 exec_lo, exec_lo, s4
                                        ; implicit-def: $vgpr30
                                        ; implicit-def: $vgpr14_vgpr15
                                        ; implicit-def: $vgpr18_vgpr19
	s_and_saveexec_b32 s4, s8
	s_xor_b32 s4, exec_lo, s4
	s_cbranch_execz .LBB1_83
; %bb.82:
	v_cmp_le_f64_e64 vcc_lo, 0x7b000000, |v[12:13]|
	v_mov_b32_e32 v52, 0
	s_mov_b32 s8, 0x54442d18
	s_mov_b32 s9, 0x3ff921fb
	;; [unrolled: 1-line block ×4, first 2 shown]
	v_cndmask_b32_e32 v15, v33, v29, vcc_lo
	v_cndmask_b32_e32 v14, v12, v28, vcc_lo
	v_mul_f64 v[18:19], v[26:27], v[14:15]
	v_mul_f64 v[28:29], v[24:25], v[14:15]
	;; [unrolled: 1-line block ×3, first 2 shown]
	v_fma_f64 v[26:27], v[26:27], v[14:15], -v[18:19]
	v_fma_f64 v[24:25], v[24:25], v[14:15], -v[28:29]
	;; [unrolled: 1-line block ×3, first 2 shown]
	v_add_f64 v[33:34], v[28:29], v[26:27]
	v_add_f64 v[35:36], v[33:34], -v[28:29]
	v_add_f64 v[48:49], v[18:19], v[33:34]
	v_add_f64 v[37:38], v[33:34], -v[35:36]
	v_add_f64 v[26:27], v[26:27], -v[35:36]
	v_ldexp_f64 v[35:36], v[48:49], -2
	v_add_f64 v[18:19], v[48:49], -v[18:19]
	v_add_f64 v[28:29], v[28:29], -v[37:38]
	v_add_f64 v[37:38], v[50:51], v[24:25]
	v_cmp_neq_f64_e64 vcc_lo, 0x7ff00000, |v[35:36]|
	v_add_f64 v[18:19], v[33:34], -v[18:19]
	v_add_f64 v[26:27], v[26:27], v[28:29]
	v_fract_f64_e32 v[28:29], v[35:36]
	v_add_f64 v[33:34], v[37:38], v[26:27]
	v_ldexp_f64 v[28:29], v[28:29], 2
	v_add_f64 v[35:36], v[18:19], v[33:34]
	v_cndmask_b32_e32 v29, 0, v29, vcc_lo
	v_cndmask_b32_e32 v28, 0, v28, vcc_lo
	v_add_f64 v[48:49], v[35:36], v[28:29]
	v_add_f64 v[18:19], v[35:36], -v[18:19]
	v_cmp_gt_f64_e32 vcc_lo, 0, v[48:49]
	v_add_f64 v[48:49], v[37:38], -v[50:51]
	v_add_f64 v[18:19], v[33:34], -v[18:19]
	v_cndmask_b32_e64 v53, 0, 0x40100000, vcc_lo
	v_add_f64 v[66:67], v[37:38], -v[48:49]
	v_add_f64 v[24:25], v[24:25], -v[48:49]
	v_add_f64 v[28:29], v[28:29], v[52:53]
	v_add_f64 v[53:54], v[33:34], -v[37:38]
	v_add_f64 v[48:49], v[50:51], -v[66:67]
	v_add_f64 v[64:65], v[35:36], v[28:29]
	;; [unrolled: 3-line block ×3, first 2 shown]
	v_cvt_i32_f64_e32 v30, v[64:65]
	v_add_f64 v[37:38], v[37:38], -v[68:69]
	v_cvt_f64_i32_e32 v[53:54], v30
	v_add_f64 v[26:27], v[26:27], v[37:38]
	v_add_f64 v[28:29], v[28:29], -v[53:54]
	v_add_f64 v[22:23], v[24:25], v[26:27]
	v_add_f64 v[24:25], v[35:36], v[28:29]
	v_add_f64 v[14:15], v[14:15], v[22:23]
	v_add_f64 v[22:23], v[24:25], -v[28:29]
	v_cmp_le_f64_e32 vcc_lo, 0.5, v[24:25]
	v_add_f64 v[14:15], v[18:19], v[14:15]
	v_add_f64 v[18:19], v[35:36], -v[22:23]
	v_cndmask_b32_e64 v53, 0, 0x3ff00000, vcc_lo
	v_add_co_ci_u32_e64 v30, null, 0, v30, vcc_lo
	v_add_f64 v[14:15], v[14:15], v[18:19]
	v_add_f64 v[18:19], v[24:25], -v[52:53]
	v_add_f64 v[22:23], v[18:19], v[14:15]
	v_mul_f64 v[24:25], v[22:23], s[8:9]
	v_add_f64 v[18:19], v[22:23], -v[18:19]
	v_fma_f64 v[26:27], v[22:23], s[8:9], -v[24:25]
	v_add_f64 v[14:15], v[14:15], -v[18:19]
	v_fma_f64 v[18:19], v[22:23], s[10:11], v[26:27]
	v_fma_f64 v[18:19], v[14:15], s[8:9], v[18:19]
	v_add_f64 v[14:15], v[24:25], v[18:19]
	v_add_f64 v[22:23], v[14:15], -v[24:25]
	v_add_f64 v[18:19], v[18:19], -v[22:23]
	s_andn2_saveexec_b32 s4, s4
	s_cbranch_execnz .LBB1_84
	s_branch .LBB1_85
.LBB1_83:
	s_andn2_saveexec_b32 s4, s4
	s_cbranch_execz .LBB1_85
.LBB1_84:
	s_mov_b32 s8, 0x6dc9c883
	s_mov_b32 s9, 0x3fe45f30
	;; [unrolled: 1-line block ×3, first 2 shown]
	v_mul_f64 v[14:15], |v[12:13]|, s[8:9]
	s_mov_b32 s8, 0x54442d18
	s_mov_b32 s9, 0xbff921fb
	;; [unrolled: 1-line block ×3, first 2 shown]
	v_rndne_f64_e32 v[22:23], v[14:15]
	v_fma_f64 v[14:15], v[22:23], s[8:9], |v[12:13]|
	v_mul_f64 v[18:19], v[22:23], s[10:11]
	s_mov_b32 s8, 0x252049c0
	s_mov_b32 s9, 0xb97b839a
	v_cvt_i32_f64_e32 v30, v[22:23]
	v_fma_f64 v[26:27], v[22:23], s[10:11], v[14:15]
	v_add_f64 v[24:25], v[14:15], v[18:19]
	s_mov_b32 s11, 0x3c91a626
	v_add_f64 v[14:15], v[14:15], -v[24:25]
	v_add_f64 v[24:25], v[24:25], -v[26:27]
	v_add_f64 v[14:15], v[14:15], v[18:19]
	v_fma_f64 v[18:19], v[22:23], s[10:11], v[18:19]
	v_add_f64 v[14:15], v[24:25], v[14:15]
	v_add_f64 v[14:15], v[14:15], -v[18:19]
	v_fma_f64 v[18:19], v[22:23], s[8:9], v[14:15]
	v_add_f64 v[14:15], v[26:27], v[18:19]
	v_add_f64 v[24:25], v[14:15], -v[26:27]
	v_add_f64 v[18:19], v[18:19], -v[24:25]
.LBB1_85:
	s_or_b32 exec_lo, exec_lo, s4
	v_div_scale_f64 v[22:23], null, v[8:9], v[8:9], 1.0
	s_mov_b32 s4, 0xd50ae6fb
	s_mov_b32 s5, 0xbfc0db6c
	;; [unrolled: 1-line block ×20, first 2 shown]
	v_rcp_f64_e32 v[24:25], v[22:23]
	s_mov_b32 s26, 0x19e83e5c
	s_mov_b32 s27, 0xbf2a01a0
	;; [unrolled: 1-line block ×8, first 2 shown]
	v_fma_f64 v[26:27], -v[22:23], v[24:25], 1.0
	v_fma_f64 v[24:25], v[24:25], v[26:27], v[24:25]
	v_fma_f64 v[26:27], -v[22:23], v[24:25], 1.0
	v_fma_f64 v[24:25], v[24:25], v[26:27], v[24:25]
	v_div_scale_f64 v[26:27], vcc_lo, 1.0, v[8:9], 1.0
	v_mul_f64 v[28:29], v[26:27], v[24:25]
	v_fma_f64 v[22:23], -v[22:23], v[28:29], v[26:27]
	v_div_fmas_f64 v[22:23], v[22:23], v[24:25], v[28:29]
	v_mul_f64 v[28:29], v[16:17], v[16:17]
	v_div_fixup_f64 v[8:9], v[22:23], v[8:9], 1.0
	v_mul_f64 v[33:34], v[28:29], 0.5
	v_fma_f64 v[48:49], v[28:29], s[10:11], s[8:9]
	v_mul_f64 v[22:23], v[8:9], v[8:9]
	v_add_f64 v[35:36], -v[33:34], 1.0
	v_fma_f64 v[48:49], v[28:29], v[48:49], s[12:13]
	v_fma_f64 v[24:25], v[22:23], 0, s[4:5]
	s_mov_b32 s4, 0x98566852
	s_mov_b32 s5, 0xbfe40bee
	v_add_f64 v[37:38], -v[35:36], 1.0
	v_fma_f64 v[48:49], v[28:29], v[48:49], s[14:15]
	v_fma_f64 v[24:25], v[22:23], v[24:25], s[4:5]
	s_mov_b32 s4, 0xc2f79f7d
	s_mov_b32 s5, 0xbfe62e59
	v_add_f64 v[33:34], v[37:38], -v[33:34]
	v_fma_f64 v[48:49], v[28:29], v[48:49], s[16:17]
	v_mul_f64 v[37:38], v[28:29], v[28:29]
	v_fma_f64 v[24:25], v[22:23], v[24:25], s[4:5]
	s_mov_b32 s4, 0x4bb3f40b
	s_mov_b32 s5, 0xbfd1e7ea
	v_fma_f64 v[33:34], v[16:17], -v[20:21], v[33:34]
	v_fma_f64 v[48:49], v[28:29], v[48:49], s[18:19]
	v_fma_f64 v[24:25], v[22:23], v[24:25], s[4:5]
	s_mov_b32 s4, 0xf47dbd8a
	s_mov_b32 s5, 0xbfa92f6e
	v_fma_f64 v[33:34], v[37:38], v[48:49], v[33:34]
	v_mul_f64 v[37:38], v[16:17], -v[28:29]
	v_mul_f64 v[48:49], v[20:21], 0.5
	v_fma_f64 v[24:25], v[22:23], v[24:25], s[4:5]
	s_mov_b32 s4, 0xc8d9e090
	s_mov_b32 s5, 0xbf70a401
	v_add_f64 v[33:34], v[35:36], v[33:34]
	v_fma_f64 v[35:36], v[28:29], s[22:23], s[20:21]
	v_fma_f64 v[24:25], v[22:23], v[24:25], s[4:5]
	s_mov_b32 s4, 0xaf4b009c
	s_mov_b32 s5, 0xbf24e06e
	v_fma_f64 v[35:36], v[28:29], v[35:36], s[24:25]
	v_fma_f64 v[24:25], v[22:23], v[24:25], s[4:5]
	s_mov_b32 s4, 0x1d42366d
	s_mov_b32 s5, 0xbec74a78
	;; [unrolled: 4-line block ×3, first 2 shown]
	v_fma_f64 v[26:27], v[22:23], 0, s[4:5]
	s_mov_b32 s4, 0x44787b1a
	s_mov_b32 s5, 0x4040575c
	v_fma_f64 v[35:36], v[28:29], v[35:36], s[28:29]
	v_fma_f64 v[26:27], v[22:23], v[26:27], s[4:5]
	s_mov_b32 s4, 0xa3b73410
	s_mov_b32 s5, 0x403abc98
	v_fma_f64 v[35:36], v[37:38], v[35:36], v[48:49]
	v_fma_f64 v[26:27], v[22:23], v[26:27], s[4:5]
	s_mov_b32 s4, 0x2ac99873
	s_mov_b32 s5, 0x40225fc8
	v_fma_f64 v[20:21], v[28:29], v[35:36], -v[20:21]
	v_fma_f64 v[26:27], v[22:23], v[26:27], s[4:5]
	s_mov_b32 s4, 0x39de9319
	s_mov_b32 s5, 0x3ff79acb
	v_fma_f64 v[20:21], v[37:38], s[40:41], v[20:21]
	v_fma_f64 v[26:27], v[22:23], v[26:27], s[4:5]
	s_mov_b32 s4, 0xb4045a2b
	s_mov_b32 s5, 0x3fbd9dac
	v_add_f64 v[16:17], v[16:17], -v[20:21]
	v_and_b32_e32 v20, 1, v31
	v_cmp_eq_u32_e32 vcc_lo, 0, v20
	v_lshlrev_b32_e32 v20, 30, v31
	v_xor_b32_e32 v20, v20, v13
	v_and_b32_e32 v20, 0x80000000, v20
	v_fma_f64 v[26:27], v[22:23], v[26:27], s[4:5]
	s_mov_b32 s4, 0xe03af617
	s_mov_b32 s5, 0x3f7208ca
	v_cndmask_b32_e32 v17, v34, v17, vcc_lo
	v_cndmask_b32_e32 v16, v33, v16, vcc_lo
	v_xor_b32_e32 v17, v17, v20
	v_fma_f64 v[26:27], v[22:23], v[26:27], s[4:5]
	s_mov_b32 s4, 0xaf76e73b
	s_mov_b32 s5, 0x3f13c8d7
	v_fma_f64 v[26:27], v[22:23], v[26:27], s[4:5]
	s_mov_b32 s4, 0xb99518a7
	s_mov_b32 s5, 0x3e9e52b9
	;; [unrolled: 3-line block ×3, first 2 shown]
	v_fma_f64 v[24:25], v[22:23], v[24:25], s[4:5]
	v_cmp_class_f64_e64 s4, v[12:13], 0x1f8
	v_cndmask_b32_e64 v12, 0, v16, s4
	v_cndmask_b32_e64 v13, 0x7ff80000, v17, s4
	v_mul_f64 v[16:17], v[22:23], v[24:25]
	v_div_scale_f64 v[20:21], null, v[26:27], v[26:27], v[16:17]
	v_rcp_f64_e32 v[24:25], v[20:21]
	v_fma_f64 v[28:29], -v[20:21], v[24:25], 1.0
	v_fma_f64 v[24:25], v[24:25], v[28:29], v[24:25]
	v_fma_f64 v[28:29], -v[20:21], v[24:25], 1.0
	v_fma_f64 v[24:25], v[24:25], v[28:29], v[24:25]
	v_div_scale_f64 v[28:29], vcc_lo, v[16:17], v[26:27], v[16:17]
	v_mul_f64 v[33:34], v[28:29], v[24:25]
	v_fma_f64 v[20:21], -v[20:21], v[33:34], v[28:29]
	v_div_fmas_f64 v[20:21], v[20:21], v[24:25], v[33:34]
	v_cmp_gt_f64_e32 vcc_lo, 0x10000000, v[6:7]
	v_div_fixup_f64 v[16:17], v[20:21], v[26:27], v[16:17]
	v_fma_f64 v[20:21], v[22:23], 0, s[42:43]
	s_mov_b32 s42, 0x6437b7
	s_mov_b32 s43, 0x3fd907d5
	v_add_f64 v[16:17], v[16:17], 1.0
	v_fma_f64 v[20:21], v[22:23], v[20:21], s[42:43]
	s_mov_b32 s42, 0x3a2034eb
	s_mov_b32 s43, 0x3ff10d83
	v_fma_f64 v[20:21], v[22:23], v[20:21], s[42:43]
	s_mov_b32 s42, 0xa0ef1acb
	s_mov_b32 s43, 0x3fee0dac
	;; [unrolled: 3-line block ×11, first 2 shown]
	v_mul_f64 v[8:9], v[8:9], v[20:21]
	v_fma_f64 v[24:25], v[22:23], v[24:25], s[42:43]
	s_mov_b32 s42, 0x7ea7dc35
	s_mov_b32 s43, 0x402f211b
	v_fma_f64 v[24:25], v[22:23], v[24:25], s[42:43]
	s_mov_b32 s42, 0x2b79dbce
	s_mov_b32 s43, 0x4015e84e
	;; [unrolled: 3-line block ×8, first 2 shown]
	v_fma_f64 v[22:23], v[22:23], v[24:25], s[42:43]
	v_cndmask_b32_e64 v24, 0, 0x100, vcc_lo
	s_mov_b32 s42, 0x50429b6d
	s_mov_b32 s43, 0x3fe20dd7
	v_ldexp_f64 v[6:7], v[6:7], v24
	v_rsq_f64_e32 v[24:25], v[6:7]
	v_mul_f64 v[26:27], v[6:7], v[24:25]
	v_mul_f64 v[24:25], v[24:25], 0.5
	v_fma_f64 v[28:29], -v[24:25], v[26:27], 0.5
	v_fma_f64 v[26:27], v[26:27], v[28:29], v[26:27]
	v_fma_f64 v[24:25], v[24:25], v[28:29], v[24:25]
	v_fma_f64 v[33:34], -v[26:27], v[26:27], v[6:7]
	v_fma_f64 v[26:27], v[33:34], v[24:25], v[26:27]
	v_fma_f64 v[28:29], -v[26:27], v[26:27], v[6:7]
	v_fma_f64 v[24:25], v[28:29], v[24:25], v[26:27]
	v_cndmask_b32_e64 v26, 0, 0xffffff80, vcc_lo
	v_cmp_class_f64_e64 vcc_lo, v[6:7], 0x260
	v_ldexp_f64 v[24:25], v[24:25], v26
	v_cndmask_b32_e32 v7, v25, v7, vcc_lo
	v_cndmask_b32_e32 v6, v24, v6, vcc_lo
	v_div_scale_f64 v[24:25], null, v[6:7], v[6:7], s[42:43]
	v_rcp_f64_e32 v[26:27], v[24:25]
	v_fma_f64 v[28:29], -v[24:25], v[26:27], 1.0
	v_fma_f64 v[26:27], v[26:27], v[28:29], v[26:27]
	v_fma_f64 v[28:29], -v[24:25], v[26:27], 1.0
	v_fma_f64 v[26:27], v[26:27], v[28:29], v[26:27]
	v_div_scale_f64 v[28:29], vcc_lo, s[42:43], v[6:7], s[42:43]
	v_mul_f64 v[33:34], v[28:29], v[26:27]
	v_fma_f64 v[24:25], -v[24:25], v[33:34], v[28:29]
	v_div_fmas_f64 v[24:25], v[24:25], v[26:27], v[33:34]
	v_div_fixup_f64 v[6:7], v[24:25], v[6:7], s[42:43]
	v_mul_f64 v[24:25], v[14:15], v[14:15]
	v_mul_f64 v[26:27], v[24:25], 0.5
	v_fma_f64 v[35:36], v[24:25], s[10:11], s[8:9]
	v_add_f64 v[28:29], -v[26:27], 1.0
	v_fma_f64 v[35:36], v[24:25], v[35:36], s[12:13]
	v_add_f64 v[33:34], -v[28:29], 1.0
	v_fma_f64 v[35:36], v[24:25], v[35:36], s[14:15]
	v_add_f64 v[26:27], v[33:34], -v[26:27]
	v_fma_f64 v[35:36], v[24:25], v[35:36], s[16:17]
	v_mul_f64 v[33:34], v[24:25], v[24:25]
	v_fma_f64 v[26:27], v[14:15], -v[18:19], v[26:27]
	v_fma_f64 v[35:36], v[24:25], v[35:36], s[18:19]
	v_fma_f64 v[26:27], v[33:34], v[35:36], v[26:27]
	v_mul_f64 v[33:34], v[14:15], -v[24:25]
	v_mul_f64 v[35:36], v[18:19], 0.5
	v_add_f64 v[26:27], v[28:29], v[26:27]
	v_fma_f64 v[28:29], v[24:25], s[22:23], s[20:21]
	v_fma_f64 v[28:29], v[24:25], v[28:29], s[24:25]
	;; [unrolled: 1-line block ×5, first 2 shown]
	v_fma_f64 v[18:19], v[24:25], v[28:29], -v[18:19]
	v_fma_f64 v[18:19], v[33:34], s[40:41], v[18:19]
	v_add_f64 v[14:15], v[14:15], -v[18:19]
	v_and_b32_e32 v18, 1, v30
	v_cmp_eq_u32_e32 vcc_lo, 0, v18
	v_lshlrev_b32_e32 v18, 30, v30
	v_and_b32_e32 v18, 0x80000000, v18
	v_xor_b32_e32 v15, 0x80000000, v15
	v_cndmask_b32_e32 v14, v14, v26, vcc_lo
	v_cndmask_b32_e32 v15, v15, v27, vcc_lo
	v_cndmask_b32_e64 v14, 0, v14, s4
	v_xor_b32_e32 v15, v15, v18
	v_div_scale_f64 v[18:19], null, v[22:23], v[22:23], v[8:9]
	v_cndmask_b32_e64 v15, 0x7ff80000, v15, s4
	v_rcp_f64_e32 v[20:21], v[18:19]
	v_fma_f64 v[24:25], -v[18:19], v[20:21], 1.0
	v_fma_f64 v[20:21], v[20:21], v[24:25], v[20:21]
	v_fma_f64 v[24:25], -v[18:19], v[20:21], 1.0
	v_fma_f64 v[20:21], v[20:21], v[24:25], v[20:21]
	v_div_scale_f64 v[24:25], vcc_lo, v[8:9], v[22:23], v[8:9]
	v_mul_f64 v[26:27], v[24:25], v[20:21]
	v_fma_f64 v[18:19], -v[18:19], v[26:27], v[24:25]
	v_div_fmas_f64 v[18:19], v[18:19], v[20:21], v[26:27]
	v_div_fixup_f64 v[8:9], v[18:19], v[22:23], v[8:9]
	v_mul_f64 v[8:9], v[8:9], v[14:15]
	v_fma_f64 v[8:9], v[16:17], v[12:13], -v[8:9]
	v_mul_f64 v[12:13], v[6:7], v[8:9]
.LBB1_86:
	s_or_b32 exec_lo, exec_lo, s46
.LBB1_87:
	s_or_b32 exec_lo, exec_lo, s45
.LBB1_88:
	s_or_b32 exec_lo, exec_lo, s44
	v_add_co_u32 v0, vcc_lo, v0, s6
	v_add_co_ci_u32_e64 v1, null, s7, v1, vcc_lo
	v_add_co_u32 v0, vcc_lo, v0, v32
	v_add_co_ci_u32_e64 v1, null, 0, v1, vcc_lo
	flat_store_dwordx4 v[0:1], v[2:5]
	flat_store_dwordx4 v[0:1], v[10:13] offset:16
	s_waitcnt lgkmcnt(0)
	s_setpc_b64 s[30:31]
.Lfunc_end1:
	.size	_ZN2at6native25elementwise_kernel_helperILb0EZZZNS0_12_GLOBAL__N_119airy_ai_kernel_cudaERNS_18TensorIteratorBaseEENKUlvE_clEvENKUlvE_clEvEUldE_NS0_6memory8policies10vectorizedILi4ESt5arrayIPcLm2EELi4EEEEEvT0_T1_, .Lfunc_end1-_ZN2at6native25elementwise_kernel_helperILb0EZZZNS0_12_GLOBAL__N_119airy_ai_kernel_cudaERNS_18TensorIteratorBaseEENKUlvE_clEvENKUlvE_clEvEUldE_NS0_6memory8policies10vectorizedILi4ESt5arrayIPcLm2EELi4EEEEEvT0_T1_
                                        ; -- End function
	.set .L_ZN2at6native25elementwise_kernel_helperILb0EZZZNS0_12_GLOBAL__N_119airy_ai_kernel_cudaERNS_18TensorIteratorBaseEENKUlvE_clEvENKUlvE_clEvEUldE_NS0_6memory8policies10vectorizedILi4ESt5arrayIPcLm2EELi4EEEEEvT0_T1_.num_vgpr, 72
	.set .L_ZN2at6native25elementwise_kernel_helperILb0EZZZNS0_12_GLOBAL__N_119airy_ai_kernel_cudaERNS_18TensorIteratorBaseEENKUlvE_clEvENKUlvE_clEvEUldE_NS0_6memory8policies10vectorizedILi4ESt5arrayIPcLm2EELi4EEEEEvT0_T1_.num_agpr, 0
	.set .L_ZN2at6native25elementwise_kernel_helperILb0EZZZNS0_12_GLOBAL__N_119airy_ai_kernel_cudaERNS_18TensorIteratorBaseEENKUlvE_clEvENKUlvE_clEvEUldE_NS0_6memory8policies10vectorizedILi4ESt5arrayIPcLm2EELi4EEEEEvT0_T1_.numbered_sgpr, 47
	.set .L_ZN2at6native25elementwise_kernel_helperILb0EZZZNS0_12_GLOBAL__N_119airy_ai_kernel_cudaERNS_18TensorIteratorBaseEENKUlvE_clEvENKUlvE_clEvEUldE_NS0_6memory8policies10vectorizedILi4ESt5arrayIPcLm2EELi4EEEEEvT0_T1_.num_named_barrier, 0
	.set .L_ZN2at6native25elementwise_kernel_helperILb0EZZZNS0_12_GLOBAL__N_119airy_ai_kernel_cudaERNS_18TensorIteratorBaseEENKUlvE_clEvENKUlvE_clEvEUldE_NS0_6memory8policies10vectorizedILi4ESt5arrayIPcLm2EELi4EEEEEvT0_T1_.private_seg_size, 0
	.set .L_ZN2at6native25elementwise_kernel_helperILb0EZZZNS0_12_GLOBAL__N_119airy_ai_kernel_cudaERNS_18TensorIteratorBaseEENKUlvE_clEvENKUlvE_clEvEUldE_NS0_6memory8policies10vectorizedILi4ESt5arrayIPcLm2EELi4EEEEEvT0_T1_.uses_vcc, 1
	.set .L_ZN2at6native25elementwise_kernel_helperILb0EZZZNS0_12_GLOBAL__N_119airy_ai_kernel_cudaERNS_18TensorIteratorBaseEENKUlvE_clEvENKUlvE_clEvEUldE_NS0_6memory8policies10vectorizedILi4ESt5arrayIPcLm2EELi4EEEEEvT0_T1_.uses_flat_scratch, 1
	.set .L_ZN2at6native25elementwise_kernel_helperILb0EZZZNS0_12_GLOBAL__N_119airy_ai_kernel_cudaERNS_18TensorIteratorBaseEENKUlvE_clEvENKUlvE_clEvEUldE_NS0_6memory8policies10vectorizedILi4ESt5arrayIPcLm2EELi4EEEEEvT0_T1_.has_dyn_sized_stack, 0
	.set .L_ZN2at6native25elementwise_kernel_helperILb0EZZZNS0_12_GLOBAL__N_119airy_ai_kernel_cudaERNS_18TensorIteratorBaseEENKUlvE_clEvENKUlvE_clEvEUldE_NS0_6memory8policies10vectorizedILi4ESt5arrayIPcLm2EELi4EEEEEvT0_T1_.has_recursion, 0
	.set .L_ZN2at6native25elementwise_kernel_helperILb0EZZZNS0_12_GLOBAL__N_119airy_ai_kernel_cudaERNS_18TensorIteratorBaseEENKUlvE_clEvENKUlvE_clEvEUldE_NS0_6memory8policies10vectorizedILi4ESt5arrayIPcLm2EELi4EEEEEvT0_T1_.has_indirect_call, 0
	.section	.AMDGPU.csdata,"",@progbits
; Function info:
; codeLenInByte = 25696
; TotalNumSgprs: 49
; NumVgprs: 72
; ScratchSize: 0
; MemoryBound: 0
	.section	.text._ZN2at6native29vectorized_elementwise_kernelILi16EZZZNS0_12_GLOBAL__N_119airy_ai_kernel_cudaERNS_18TensorIteratorBaseEENKUlvE_clEvENKUlvE_clEvEUldE_St5arrayIPcLm2EEEEviT0_T1_,"axG",@progbits,_ZN2at6native29vectorized_elementwise_kernelILi16EZZZNS0_12_GLOBAL__N_119airy_ai_kernel_cudaERNS_18TensorIteratorBaseEENKUlvE_clEvENKUlvE_clEvEUldE_St5arrayIPcLm2EEEEviT0_T1_,comdat
	.globl	_ZN2at6native29vectorized_elementwise_kernelILi16EZZZNS0_12_GLOBAL__N_119airy_ai_kernel_cudaERNS_18TensorIteratorBaseEENKUlvE_clEvENKUlvE_clEvEUldE_St5arrayIPcLm2EEEEviT0_T1_ ; -- Begin function _ZN2at6native29vectorized_elementwise_kernelILi16EZZZNS0_12_GLOBAL__N_119airy_ai_kernel_cudaERNS_18TensorIteratorBaseEENKUlvE_clEvENKUlvE_clEvEUldE_St5arrayIPcLm2EEEEviT0_T1_
	.p2align	8
	.type	_ZN2at6native29vectorized_elementwise_kernelILi16EZZZNS0_12_GLOBAL__N_119airy_ai_kernel_cudaERNS_18TensorIteratorBaseEENKUlvE_clEvENKUlvE_clEvEUldE_St5arrayIPcLm2EEEEviT0_T1_,@function
_ZN2at6native29vectorized_elementwise_kernelILi16EZZZNS0_12_GLOBAL__N_119airy_ai_kernel_cudaERNS_18TensorIteratorBaseEENKUlvE_clEvENKUlvE_clEvEUldE_St5arrayIPcLm2EEEEviT0_T1_: ; @_ZN2at6native29vectorized_elementwise_kernelILi16EZZZNS0_12_GLOBAL__N_119airy_ai_kernel_cudaERNS_18TensorIteratorBaseEENKUlvE_clEvENKUlvE_clEvEUldE_St5arrayIPcLm2EEEEviT0_T1_
; %bb.0:
	s_mov_b32 s33, s6
	s_clause 0x1
	s_load_dword s6, s[4:5], 0x0
	s_load_dwordx4 s[36:39], s[4:5], 0x8
	s_add_u32 s0, s0, s7
	s_addc_u32 s1, s1, 0
	s_lshl_b32 s4, s33, 10
	v_mov_b32_e32 v40, v0
	s_mov_b32 s32, 0
	s_waitcnt lgkmcnt(0)
	s_sub_i32 s34, s6, s4
	s_mov_b32 s4, -1
	s_cmpk_gt_i32 s34, 0x3ff
	s_cbranch_scc1 .LBB2_3
; %bb.1:
	s_andn2_b32 vcc_lo, exec_lo, s4
	s_cbranch_vccz .LBB2_4
.LBB2_2:
	s_endpgm
.LBB2_3:
	v_mov_b32_e32 v31, v40
	v_mov_b32_e32 v0, s36
	;; [unrolled: 1-line block ×5, first 2 shown]
	s_getpc_b64 s[4:5]
	s_add_u32 s4, s4, _ZN2at6native25elementwise_kernel_helperILb0EZZZNS0_12_GLOBAL__N_119airy_ai_kernel_cudaERNS_18TensorIteratorBaseEENKUlvE_clEvENKUlvE_clEvEUldE_NS0_6memory8policies10vectorizedILi4ESt5arrayIPcLm2EELi4EEEEEvT0_T1_@rel32@lo+4
	s_addc_u32 s5, s5, _ZN2at6native25elementwise_kernel_helperILb0EZZZNS0_12_GLOBAL__N_119airy_ai_kernel_cudaERNS_18TensorIteratorBaseEENKUlvE_clEvENKUlvE_clEvEUldE_NS0_6memory8policies10vectorizedILi4ESt5arrayIPcLm2EELi4EEEEEvT0_T1_@rel32@hi+12
	s_mov_b32 s12, s33
	s_swappc_b64 s[30:31], s[4:5]
	s_cbranch_execnz .LBB2_2
.LBB2_4:
	v_mov_b32_e32 v31, v40
	v_mov_b32_e32 v0, s36
	;; [unrolled: 1-line block ×6, first 2 shown]
	s_getpc_b64 s[4:5]
	s_add_u32 s4, s4, _ZN2at6native25elementwise_kernel_helperILb0EZZZNS0_12_GLOBAL__N_119airy_ai_kernel_cudaERNS_18TensorIteratorBaseEENKUlvE_clEvENKUlvE_clEvEUldE_NS0_6memory8policies11unroll_baseILi256ESt5arrayIPcLm2EE23TrivialOffsetCalculatorILi1EjESF_NS8_15LoadWithoutCastENS8_16StoreWithoutCastELi4ELi1EEEEEvT0_T1_@rel32@lo+4
	s_addc_u32 s5, s5, _ZN2at6native25elementwise_kernel_helperILb0EZZZNS0_12_GLOBAL__N_119airy_ai_kernel_cudaERNS_18TensorIteratorBaseEENKUlvE_clEvENKUlvE_clEvEUldE_NS0_6memory8policies11unroll_baseILi256ESt5arrayIPcLm2EE23TrivialOffsetCalculatorILi1EjESF_NS8_15LoadWithoutCastENS8_16StoreWithoutCastELi4ELi1EEEEEvT0_T1_@rel32@hi+12
	s_mov_b32 s12, s33
	s_swappc_b64 s[30:31], s[4:5]
	s_endpgm
	.section	.rodata,"a",@progbits
	.p2align	6, 0x0
	.amdhsa_kernel _ZN2at6native29vectorized_elementwise_kernelILi16EZZZNS0_12_GLOBAL__N_119airy_ai_kernel_cudaERNS_18TensorIteratorBaseEENKUlvE_clEvENKUlvE_clEvEUldE_St5arrayIPcLm2EEEEviT0_T1_
		.amdhsa_group_segment_fixed_size 0
		.amdhsa_private_segment_fixed_size 0
		.amdhsa_kernarg_size 24
		.amdhsa_user_sgpr_count 6
		.amdhsa_user_sgpr_private_segment_buffer 1
		.amdhsa_user_sgpr_dispatch_ptr 0
		.amdhsa_user_sgpr_queue_ptr 0
		.amdhsa_user_sgpr_kernarg_segment_ptr 1
		.amdhsa_user_sgpr_dispatch_id 0
		.amdhsa_user_sgpr_flat_scratch_init 0
		.amdhsa_user_sgpr_private_segment_size 0
		.amdhsa_wavefront_size32 1
		.amdhsa_uses_dynamic_stack 0
		.amdhsa_system_sgpr_private_segment_wavefront_offset 0
		.amdhsa_system_sgpr_workgroup_id_x 1
		.amdhsa_system_sgpr_workgroup_id_y 0
		.amdhsa_system_sgpr_workgroup_id_z 0
		.amdhsa_system_sgpr_workgroup_info 0
		.amdhsa_system_vgpr_workitem_id 0
		.amdhsa_next_free_vgpr 86
		.amdhsa_next_free_sgpr 47
		.amdhsa_reserve_vcc 1
		.amdhsa_reserve_flat_scratch 1
		.amdhsa_float_round_mode_32 0
		.amdhsa_float_round_mode_16_64 0
		.amdhsa_float_denorm_mode_32 3
		.amdhsa_float_denorm_mode_16_64 3
		.amdhsa_dx10_clamp 1
		.amdhsa_ieee_mode 1
		.amdhsa_fp16_overflow 0
		.amdhsa_workgroup_processor_mode 1
		.amdhsa_memory_ordered 1
		.amdhsa_forward_progress 1
		.amdhsa_shared_vgpr_count 0
		.amdhsa_exception_fp_ieee_invalid_op 0
		.amdhsa_exception_fp_denorm_src 0
		.amdhsa_exception_fp_ieee_div_zero 0
		.amdhsa_exception_fp_ieee_overflow 0
		.amdhsa_exception_fp_ieee_underflow 0
		.amdhsa_exception_fp_ieee_inexact 0
		.amdhsa_exception_int_div_zero 0
	.end_amdhsa_kernel
	.section	.text._ZN2at6native29vectorized_elementwise_kernelILi16EZZZNS0_12_GLOBAL__N_119airy_ai_kernel_cudaERNS_18TensorIteratorBaseEENKUlvE_clEvENKUlvE_clEvEUldE_St5arrayIPcLm2EEEEviT0_T1_,"axG",@progbits,_ZN2at6native29vectorized_elementwise_kernelILi16EZZZNS0_12_GLOBAL__N_119airy_ai_kernel_cudaERNS_18TensorIteratorBaseEENKUlvE_clEvENKUlvE_clEvEUldE_St5arrayIPcLm2EEEEviT0_T1_,comdat
.Lfunc_end2:
	.size	_ZN2at6native29vectorized_elementwise_kernelILi16EZZZNS0_12_GLOBAL__N_119airy_ai_kernel_cudaERNS_18TensorIteratorBaseEENKUlvE_clEvENKUlvE_clEvEUldE_St5arrayIPcLm2EEEEviT0_T1_, .Lfunc_end2-_ZN2at6native29vectorized_elementwise_kernelILi16EZZZNS0_12_GLOBAL__N_119airy_ai_kernel_cudaERNS_18TensorIteratorBaseEENKUlvE_clEvENKUlvE_clEvEUldE_St5arrayIPcLm2EEEEviT0_T1_
                                        ; -- End function
	.set _ZN2at6native29vectorized_elementwise_kernelILi16EZZZNS0_12_GLOBAL__N_119airy_ai_kernel_cudaERNS_18TensorIteratorBaseEENKUlvE_clEvENKUlvE_clEvEUldE_St5arrayIPcLm2EEEEviT0_T1_.num_vgpr, max(41, .L_ZN2at6native25elementwise_kernel_helperILb0EZZZNS0_12_GLOBAL__N_119airy_ai_kernel_cudaERNS_18TensorIteratorBaseEENKUlvE_clEvENKUlvE_clEvEUldE_NS0_6memory8policies10vectorizedILi4ESt5arrayIPcLm2EELi4EEEEEvT0_T1_.num_vgpr, .L_ZN2at6native25elementwise_kernel_helperILb0EZZZNS0_12_GLOBAL__N_119airy_ai_kernel_cudaERNS_18TensorIteratorBaseEENKUlvE_clEvENKUlvE_clEvEUldE_NS0_6memory8policies11unroll_baseILi256ESt5arrayIPcLm2EE23TrivialOffsetCalculatorILi1EjESF_NS8_15LoadWithoutCastENS8_16StoreWithoutCastELi4ELi1EEEEEvT0_T1_.num_vgpr)
	.set _ZN2at6native29vectorized_elementwise_kernelILi16EZZZNS0_12_GLOBAL__N_119airy_ai_kernel_cudaERNS_18TensorIteratorBaseEENKUlvE_clEvENKUlvE_clEvEUldE_St5arrayIPcLm2EEEEviT0_T1_.num_agpr, max(0, .L_ZN2at6native25elementwise_kernel_helperILb0EZZZNS0_12_GLOBAL__N_119airy_ai_kernel_cudaERNS_18TensorIteratorBaseEENKUlvE_clEvENKUlvE_clEvEUldE_NS0_6memory8policies10vectorizedILi4ESt5arrayIPcLm2EELi4EEEEEvT0_T1_.num_agpr, .L_ZN2at6native25elementwise_kernel_helperILb0EZZZNS0_12_GLOBAL__N_119airy_ai_kernel_cudaERNS_18TensorIteratorBaseEENKUlvE_clEvENKUlvE_clEvEUldE_NS0_6memory8policies11unroll_baseILi256ESt5arrayIPcLm2EE23TrivialOffsetCalculatorILi1EjESF_NS8_15LoadWithoutCastENS8_16StoreWithoutCastELi4ELi1EEEEEvT0_T1_.num_agpr)
	.set _ZN2at6native29vectorized_elementwise_kernelILi16EZZZNS0_12_GLOBAL__N_119airy_ai_kernel_cudaERNS_18TensorIteratorBaseEENKUlvE_clEvENKUlvE_clEvEUldE_St5arrayIPcLm2EEEEviT0_T1_.numbered_sgpr, max(40, .L_ZN2at6native25elementwise_kernel_helperILb0EZZZNS0_12_GLOBAL__N_119airy_ai_kernel_cudaERNS_18TensorIteratorBaseEENKUlvE_clEvENKUlvE_clEvEUldE_NS0_6memory8policies10vectorizedILi4ESt5arrayIPcLm2EELi4EEEEEvT0_T1_.numbered_sgpr, .L_ZN2at6native25elementwise_kernel_helperILb0EZZZNS0_12_GLOBAL__N_119airy_ai_kernel_cudaERNS_18TensorIteratorBaseEENKUlvE_clEvENKUlvE_clEvEUldE_NS0_6memory8policies11unroll_baseILi256ESt5arrayIPcLm2EE23TrivialOffsetCalculatorILi1EjESF_NS8_15LoadWithoutCastENS8_16StoreWithoutCastELi4ELi1EEEEEvT0_T1_.numbered_sgpr)
	.set _ZN2at6native29vectorized_elementwise_kernelILi16EZZZNS0_12_GLOBAL__N_119airy_ai_kernel_cudaERNS_18TensorIteratorBaseEENKUlvE_clEvENKUlvE_clEvEUldE_St5arrayIPcLm2EEEEviT0_T1_.num_named_barrier, max(0, .L_ZN2at6native25elementwise_kernel_helperILb0EZZZNS0_12_GLOBAL__N_119airy_ai_kernel_cudaERNS_18TensorIteratorBaseEENKUlvE_clEvENKUlvE_clEvEUldE_NS0_6memory8policies10vectorizedILi4ESt5arrayIPcLm2EELi4EEEEEvT0_T1_.num_named_barrier, .L_ZN2at6native25elementwise_kernel_helperILb0EZZZNS0_12_GLOBAL__N_119airy_ai_kernel_cudaERNS_18TensorIteratorBaseEENKUlvE_clEvENKUlvE_clEvEUldE_NS0_6memory8policies11unroll_baseILi256ESt5arrayIPcLm2EE23TrivialOffsetCalculatorILi1EjESF_NS8_15LoadWithoutCastENS8_16StoreWithoutCastELi4ELi1EEEEEvT0_T1_.num_named_barrier)
	.set _ZN2at6native29vectorized_elementwise_kernelILi16EZZZNS0_12_GLOBAL__N_119airy_ai_kernel_cudaERNS_18TensorIteratorBaseEENKUlvE_clEvENKUlvE_clEvEUldE_St5arrayIPcLm2EEEEviT0_T1_.private_seg_size, 0+max(.L_ZN2at6native25elementwise_kernel_helperILb0EZZZNS0_12_GLOBAL__N_119airy_ai_kernel_cudaERNS_18TensorIteratorBaseEENKUlvE_clEvENKUlvE_clEvEUldE_NS0_6memory8policies10vectorizedILi4ESt5arrayIPcLm2EELi4EEEEEvT0_T1_.private_seg_size, .L_ZN2at6native25elementwise_kernel_helperILb0EZZZNS0_12_GLOBAL__N_119airy_ai_kernel_cudaERNS_18TensorIteratorBaseEENKUlvE_clEvENKUlvE_clEvEUldE_NS0_6memory8policies11unroll_baseILi256ESt5arrayIPcLm2EE23TrivialOffsetCalculatorILi1EjESF_NS8_15LoadWithoutCastENS8_16StoreWithoutCastELi4ELi1EEEEEvT0_T1_.private_seg_size)
	.set _ZN2at6native29vectorized_elementwise_kernelILi16EZZZNS0_12_GLOBAL__N_119airy_ai_kernel_cudaERNS_18TensorIteratorBaseEENKUlvE_clEvENKUlvE_clEvEUldE_St5arrayIPcLm2EEEEviT0_T1_.uses_vcc, or(1, .L_ZN2at6native25elementwise_kernel_helperILb0EZZZNS0_12_GLOBAL__N_119airy_ai_kernel_cudaERNS_18TensorIteratorBaseEENKUlvE_clEvENKUlvE_clEvEUldE_NS0_6memory8policies10vectorizedILi4ESt5arrayIPcLm2EELi4EEEEEvT0_T1_.uses_vcc, .L_ZN2at6native25elementwise_kernel_helperILb0EZZZNS0_12_GLOBAL__N_119airy_ai_kernel_cudaERNS_18TensorIteratorBaseEENKUlvE_clEvENKUlvE_clEvEUldE_NS0_6memory8policies11unroll_baseILi256ESt5arrayIPcLm2EE23TrivialOffsetCalculatorILi1EjESF_NS8_15LoadWithoutCastENS8_16StoreWithoutCastELi4ELi1EEEEEvT0_T1_.uses_vcc)
	.set _ZN2at6native29vectorized_elementwise_kernelILi16EZZZNS0_12_GLOBAL__N_119airy_ai_kernel_cudaERNS_18TensorIteratorBaseEENKUlvE_clEvENKUlvE_clEvEUldE_St5arrayIPcLm2EEEEviT0_T1_.uses_flat_scratch, or(0, .L_ZN2at6native25elementwise_kernel_helperILb0EZZZNS0_12_GLOBAL__N_119airy_ai_kernel_cudaERNS_18TensorIteratorBaseEENKUlvE_clEvENKUlvE_clEvEUldE_NS0_6memory8policies10vectorizedILi4ESt5arrayIPcLm2EELi4EEEEEvT0_T1_.uses_flat_scratch, .L_ZN2at6native25elementwise_kernel_helperILb0EZZZNS0_12_GLOBAL__N_119airy_ai_kernel_cudaERNS_18TensorIteratorBaseEENKUlvE_clEvENKUlvE_clEvEUldE_NS0_6memory8policies11unroll_baseILi256ESt5arrayIPcLm2EE23TrivialOffsetCalculatorILi1EjESF_NS8_15LoadWithoutCastENS8_16StoreWithoutCastELi4ELi1EEEEEvT0_T1_.uses_flat_scratch)
	.set _ZN2at6native29vectorized_elementwise_kernelILi16EZZZNS0_12_GLOBAL__N_119airy_ai_kernel_cudaERNS_18TensorIteratorBaseEENKUlvE_clEvENKUlvE_clEvEUldE_St5arrayIPcLm2EEEEviT0_T1_.has_dyn_sized_stack, or(0, .L_ZN2at6native25elementwise_kernel_helperILb0EZZZNS0_12_GLOBAL__N_119airy_ai_kernel_cudaERNS_18TensorIteratorBaseEENKUlvE_clEvENKUlvE_clEvEUldE_NS0_6memory8policies10vectorizedILi4ESt5arrayIPcLm2EELi4EEEEEvT0_T1_.has_dyn_sized_stack, .L_ZN2at6native25elementwise_kernel_helperILb0EZZZNS0_12_GLOBAL__N_119airy_ai_kernel_cudaERNS_18TensorIteratorBaseEENKUlvE_clEvENKUlvE_clEvEUldE_NS0_6memory8policies11unroll_baseILi256ESt5arrayIPcLm2EE23TrivialOffsetCalculatorILi1EjESF_NS8_15LoadWithoutCastENS8_16StoreWithoutCastELi4ELi1EEEEEvT0_T1_.has_dyn_sized_stack)
	.set _ZN2at6native29vectorized_elementwise_kernelILi16EZZZNS0_12_GLOBAL__N_119airy_ai_kernel_cudaERNS_18TensorIteratorBaseEENKUlvE_clEvENKUlvE_clEvEUldE_St5arrayIPcLm2EEEEviT0_T1_.has_recursion, or(0, .L_ZN2at6native25elementwise_kernel_helperILb0EZZZNS0_12_GLOBAL__N_119airy_ai_kernel_cudaERNS_18TensorIteratorBaseEENKUlvE_clEvENKUlvE_clEvEUldE_NS0_6memory8policies10vectorizedILi4ESt5arrayIPcLm2EELi4EEEEEvT0_T1_.has_recursion, .L_ZN2at6native25elementwise_kernel_helperILb0EZZZNS0_12_GLOBAL__N_119airy_ai_kernel_cudaERNS_18TensorIteratorBaseEENKUlvE_clEvENKUlvE_clEvEUldE_NS0_6memory8policies11unroll_baseILi256ESt5arrayIPcLm2EE23TrivialOffsetCalculatorILi1EjESF_NS8_15LoadWithoutCastENS8_16StoreWithoutCastELi4ELi1EEEEEvT0_T1_.has_recursion)
	.set _ZN2at6native29vectorized_elementwise_kernelILi16EZZZNS0_12_GLOBAL__N_119airy_ai_kernel_cudaERNS_18TensorIteratorBaseEENKUlvE_clEvENKUlvE_clEvEUldE_St5arrayIPcLm2EEEEviT0_T1_.has_indirect_call, or(0, .L_ZN2at6native25elementwise_kernel_helperILb0EZZZNS0_12_GLOBAL__N_119airy_ai_kernel_cudaERNS_18TensorIteratorBaseEENKUlvE_clEvENKUlvE_clEvEUldE_NS0_6memory8policies10vectorizedILi4ESt5arrayIPcLm2EELi4EEEEEvT0_T1_.has_indirect_call, .L_ZN2at6native25elementwise_kernel_helperILb0EZZZNS0_12_GLOBAL__N_119airy_ai_kernel_cudaERNS_18TensorIteratorBaseEENKUlvE_clEvENKUlvE_clEvEUldE_NS0_6memory8policies11unroll_baseILi256ESt5arrayIPcLm2EE23TrivialOffsetCalculatorILi1EjESF_NS8_15LoadWithoutCastENS8_16StoreWithoutCastELi4ELi1EEEEEvT0_T1_.has_indirect_call)
	.section	.AMDGPU.csdata,"",@progbits
; Kernel info:
; codeLenInByte = 184
; TotalNumSgprs: 49
; NumVgprs: 86
; ScratchSize: 0
; MemoryBound: 0
; FloatMode: 240
; IeeeMode: 1
; LDSByteSize: 0 bytes/workgroup (compile time only)
; SGPRBlocks: 0
; VGPRBlocks: 10
; NumSGPRsForWavesPerEU: 49
; NumVGPRsForWavesPerEU: 86
; Occupancy: 10
; WaveLimiterHint : 0
; COMPUTE_PGM_RSRC2:SCRATCH_EN: 0
; COMPUTE_PGM_RSRC2:USER_SGPR: 6
; COMPUTE_PGM_RSRC2:TRAP_HANDLER: 0
; COMPUTE_PGM_RSRC2:TGID_X_EN: 1
; COMPUTE_PGM_RSRC2:TGID_Y_EN: 0
; COMPUTE_PGM_RSRC2:TGID_Z_EN: 0
; COMPUTE_PGM_RSRC2:TIDIG_COMP_CNT: 0
	.section	.text._ZN2at6native29vectorized_elementwise_kernelILi8EZZZNS0_12_GLOBAL__N_119airy_ai_kernel_cudaERNS_18TensorIteratorBaseEENKUlvE_clEvENKUlvE_clEvEUldE_St5arrayIPcLm2EEEEviT0_T1_,"axG",@progbits,_ZN2at6native29vectorized_elementwise_kernelILi8EZZZNS0_12_GLOBAL__N_119airy_ai_kernel_cudaERNS_18TensorIteratorBaseEENKUlvE_clEvENKUlvE_clEvEUldE_St5arrayIPcLm2EEEEviT0_T1_,comdat
	.globl	_ZN2at6native29vectorized_elementwise_kernelILi8EZZZNS0_12_GLOBAL__N_119airy_ai_kernel_cudaERNS_18TensorIteratorBaseEENKUlvE_clEvENKUlvE_clEvEUldE_St5arrayIPcLm2EEEEviT0_T1_ ; -- Begin function _ZN2at6native29vectorized_elementwise_kernelILi8EZZZNS0_12_GLOBAL__N_119airy_ai_kernel_cudaERNS_18TensorIteratorBaseEENKUlvE_clEvENKUlvE_clEvEUldE_St5arrayIPcLm2EEEEviT0_T1_
	.p2align	8
	.type	_ZN2at6native29vectorized_elementwise_kernelILi8EZZZNS0_12_GLOBAL__N_119airy_ai_kernel_cudaERNS_18TensorIteratorBaseEENKUlvE_clEvENKUlvE_clEvEUldE_St5arrayIPcLm2EEEEviT0_T1_,@function
_ZN2at6native29vectorized_elementwise_kernelILi8EZZZNS0_12_GLOBAL__N_119airy_ai_kernel_cudaERNS_18TensorIteratorBaseEENKUlvE_clEvENKUlvE_clEvEUldE_St5arrayIPcLm2EEEEviT0_T1_: ; @_ZN2at6native29vectorized_elementwise_kernelILi8EZZZNS0_12_GLOBAL__N_119airy_ai_kernel_cudaERNS_18TensorIteratorBaseEENKUlvE_clEvENKUlvE_clEvEUldE_St5arrayIPcLm2EEEEviT0_T1_
; %bb.0:
	s_mov_b32 s33, s6
	s_clause 0x1
	s_load_dword s6, s[4:5], 0x0
	s_load_dwordx4 s[36:39], s[4:5], 0x8
	s_add_u32 s0, s0, s7
	s_addc_u32 s1, s1, 0
	s_lshl_b32 s4, s33, 10
	v_mov_b32_e32 v40, v0
	s_mov_b32 s32, 0
	s_waitcnt lgkmcnt(0)
	s_sub_i32 s34, s6, s4
	s_mov_b32 s4, -1
	s_cmpk_gt_i32 s34, 0x3ff
	s_cbranch_scc1 .LBB3_3
; %bb.1:
	s_andn2_b32 vcc_lo, exec_lo, s4
	s_cbranch_vccz .LBB3_4
.LBB3_2:
	s_endpgm
.LBB3_3:
	v_mov_b32_e32 v31, v40
	v_mov_b32_e32 v0, s36
	v_mov_b32_e32 v1, s37
	v_mov_b32_e32 v2, s38
	v_mov_b32_e32 v3, s39
	s_getpc_b64 s[4:5]
	s_add_u32 s4, s4, _ZN2at6native25elementwise_kernel_helperILb0EZZZNS0_12_GLOBAL__N_119airy_ai_kernel_cudaERNS_18TensorIteratorBaseEENKUlvE_clEvENKUlvE_clEvEUldE_NS0_6memory8policies10vectorizedILi4ESt5arrayIPcLm2EELi4EEEEEvT0_T1_@rel32@lo+4
	s_addc_u32 s5, s5, _ZN2at6native25elementwise_kernel_helperILb0EZZZNS0_12_GLOBAL__N_119airy_ai_kernel_cudaERNS_18TensorIteratorBaseEENKUlvE_clEvENKUlvE_clEvEUldE_NS0_6memory8policies10vectorizedILi4ESt5arrayIPcLm2EELi4EEEEEvT0_T1_@rel32@hi+12
	s_mov_b32 s12, s33
	s_swappc_b64 s[30:31], s[4:5]
	s_cbranch_execnz .LBB3_2
.LBB3_4:
	v_mov_b32_e32 v31, v40
	v_mov_b32_e32 v0, s36
	;; [unrolled: 1-line block ×6, first 2 shown]
	s_getpc_b64 s[4:5]
	s_add_u32 s4, s4, _ZN2at6native25elementwise_kernel_helperILb0EZZZNS0_12_GLOBAL__N_119airy_ai_kernel_cudaERNS_18TensorIteratorBaseEENKUlvE_clEvENKUlvE_clEvEUldE_NS0_6memory8policies11unroll_baseILi256ESt5arrayIPcLm2EE23TrivialOffsetCalculatorILi1EjESF_NS8_15LoadWithoutCastENS8_16StoreWithoutCastELi4ELi1EEEEEvT0_T1_@rel32@lo+4
	s_addc_u32 s5, s5, _ZN2at6native25elementwise_kernel_helperILb0EZZZNS0_12_GLOBAL__N_119airy_ai_kernel_cudaERNS_18TensorIteratorBaseEENKUlvE_clEvENKUlvE_clEvEUldE_NS0_6memory8policies11unroll_baseILi256ESt5arrayIPcLm2EE23TrivialOffsetCalculatorILi1EjESF_NS8_15LoadWithoutCastENS8_16StoreWithoutCastELi4ELi1EEEEEvT0_T1_@rel32@hi+12
	s_mov_b32 s12, s33
	s_swappc_b64 s[30:31], s[4:5]
	s_endpgm
	.section	.rodata,"a",@progbits
	.p2align	6, 0x0
	.amdhsa_kernel _ZN2at6native29vectorized_elementwise_kernelILi8EZZZNS0_12_GLOBAL__N_119airy_ai_kernel_cudaERNS_18TensorIteratorBaseEENKUlvE_clEvENKUlvE_clEvEUldE_St5arrayIPcLm2EEEEviT0_T1_
		.amdhsa_group_segment_fixed_size 0
		.amdhsa_private_segment_fixed_size 0
		.amdhsa_kernarg_size 24
		.amdhsa_user_sgpr_count 6
		.amdhsa_user_sgpr_private_segment_buffer 1
		.amdhsa_user_sgpr_dispatch_ptr 0
		.amdhsa_user_sgpr_queue_ptr 0
		.amdhsa_user_sgpr_kernarg_segment_ptr 1
		.amdhsa_user_sgpr_dispatch_id 0
		.amdhsa_user_sgpr_flat_scratch_init 0
		.amdhsa_user_sgpr_private_segment_size 0
		.amdhsa_wavefront_size32 1
		.amdhsa_uses_dynamic_stack 0
		.amdhsa_system_sgpr_private_segment_wavefront_offset 0
		.amdhsa_system_sgpr_workgroup_id_x 1
		.amdhsa_system_sgpr_workgroup_id_y 0
		.amdhsa_system_sgpr_workgroup_id_z 0
		.amdhsa_system_sgpr_workgroup_info 0
		.amdhsa_system_vgpr_workitem_id 0
		.amdhsa_next_free_vgpr 86
		.amdhsa_next_free_sgpr 47
		.amdhsa_reserve_vcc 1
		.amdhsa_reserve_flat_scratch 1
		.amdhsa_float_round_mode_32 0
		.amdhsa_float_round_mode_16_64 0
		.amdhsa_float_denorm_mode_32 3
		.amdhsa_float_denorm_mode_16_64 3
		.amdhsa_dx10_clamp 1
		.amdhsa_ieee_mode 1
		.amdhsa_fp16_overflow 0
		.amdhsa_workgroup_processor_mode 1
		.amdhsa_memory_ordered 1
		.amdhsa_forward_progress 1
		.amdhsa_shared_vgpr_count 0
		.amdhsa_exception_fp_ieee_invalid_op 0
		.amdhsa_exception_fp_denorm_src 0
		.amdhsa_exception_fp_ieee_div_zero 0
		.amdhsa_exception_fp_ieee_overflow 0
		.amdhsa_exception_fp_ieee_underflow 0
		.amdhsa_exception_fp_ieee_inexact 0
		.amdhsa_exception_int_div_zero 0
	.end_amdhsa_kernel
	.section	.text._ZN2at6native29vectorized_elementwise_kernelILi8EZZZNS0_12_GLOBAL__N_119airy_ai_kernel_cudaERNS_18TensorIteratorBaseEENKUlvE_clEvENKUlvE_clEvEUldE_St5arrayIPcLm2EEEEviT0_T1_,"axG",@progbits,_ZN2at6native29vectorized_elementwise_kernelILi8EZZZNS0_12_GLOBAL__N_119airy_ai_kernel_cudaERNS_18TensorIteratorBaseEENKUlvE_clEvENKUlvE_clEvEUldE_St5arrayIPcLm2EEEEviT0_T1_,comdat
.Lfunc_end3:
	.size	_ZN2at6native29vectorized_elementwise_kernelILi8EZZZNS0_12_GLOBAL__N_119airy_ai_kernel_cudaERNS_18TensorIteratorBaseEENKUlvE_clEvENKUlvE_clEvEUldE_St5arrayIPcLm2EEEEviT0_T1_, .Lfunc_end3-_ZN2at6native29vectorized_elementwise_kernelILi8EZZZNS0_12_GLOBAL__N_119airy_ai_kernel_cudaERNS_18TensorIteratorBaseEENKUlvE_clEvENKUlvE_clEvEUldE_St5arrayIPcLm2EEEEviT0_T1_
                                        ; -- End function
	.set _ZN2at6native29vectorized_elementwise_kernelILi8EZZZNS0_12_GLOBAL__N_119airy_ai_kernel_cudaERNS_18TensorIteratorBaseEENKUlvE_clEvENKUlvE_clEvEUldE_St5arrayIPcLm2EEEEviT0_T1_.num_vgpr, max(41, .L_ZN2at6native25elementwise_kernel_helperILb0EZZZNS0_12_GLOBAL__N_119airy_ai_kernel_cudaERNS_18TensorIteratorBaseEENKUlvE_clEvENKUlvE_clEvEUldE_NS0_6memory8policies10vectorizedILi4ESt5arrayIPcLm2EELi4EEEEEvT0_T1_.num_vgpr, .L_ZN2at6native25elementwise_kernel_helperILb0EZZZNS0_12_GLOBAL__N_119airy_ai_kernel_cudaERNS_18TensorIteratorBaseEENKUlvE_clEvENKUlvE_clEvEUldE_NS0_6memory8policies11unroll_baseILi256ESt5arrayIPcLm2EE23TrivialOffsetCalculatorILi1EjESF_NS8_15LoadWithoutCastENS8_16StoreWithoutCastELi4ELi1EEEEEvT0_T1_.num_vgpr)
	.set _ZN2at6native29vectorized_elementwise_kernelILi8EZZZNS0_12_GLOBAL__N_119airy_ai_kernel_cudaERNS_18TensorIteratorBaseEENKUlvE_clEvENKUlvE_clEvEUldE_St5arrayIPcLm2EEEEviT0_T1_.num_agpr, max(0, .L_ZN2at6native25elementwise_kernel_helperILb0EZZZNS0_12_GLOBAL__N_119airy_ai_kernel_cudaERNS_18TensorIteratorBaseEENKUlvE_clEvENKUlvE_clEvEUldE_NS0_6memory8policies10vectorizedILi4ESt5arrayIPcLm2EELi4EEEEEvT0_T1_.num_agpr, .L_ZN2at6native25elementwise_kernel_helperILb0EZZZNS0_12_GLOBAL__N_119airy_ai_kernel_cudaERNS_18TensorIteratorBaseEENKUlvE_clEvENKUlvE_clEvEUldE_NS0_6memory8policies11unroll_baseILi256ESt5arrayIPcLm2EE23TrivialOffsetCalculatorILi1EjESF_NS8_15LoadWithoutCastENS8_16StoreWithoutCastELi4ELi1EEEEEvT0_T1_.num_agpr)
	.set _ZN2at6native29vectorized_elementwise_kernelILi8EZZZNS0_12_GLOBAL__N_119airy_ai_kernel_cudaERNS_18TensorIteratorBaseEENKUlvE_clEvENKUlvE_clEvEUldE_St5arrayIPcLm2EEEEviT0_T1_.numbered_sgpr, max(40, .L_ZN2at6native25elementwise_kernel_helperILb0EZZZNS0_12_GLOBAL__N_119airy_ai_kernel_cudaERNS_18TensorIteratorBaseEENKUlvE_clEvENKUlvE_clEvEUldE_NS0_6memory8policies10vectorizedILi4ESt5arrayIPcLm2EELi4EEEEEvT0_T1_.numbered_sgpr, .L_ZN2at6native25elementwise_kernel_helperILb0EZZZNS0_12_GLOBAL__N_119airy_ai_kernel_cudaERNS_18TensorIteratorBaseEENKUlvE_clEvENKUlvE_clEvEUldE_NS0_6memory8policies11unroll_baseILi256ESt5arrayIPcLm2EE23TrivialOffsetCalculatorILi1EjESF_NS8_15LoadWithoutCastENS8_16StoreWithoutCastELi4ELi1EEEEEvT0_T1_.numbered_sgpr)
	.set _ZN2at6native29vectorized_elementwise_kernelILi8EZZZNS0_12_GLOBAL__N_119airy_ai_kernel_cudaERNS_18TensorIteratorBaseEENKUlvE_clEvENKUlvE_clEvEUldE_St5arrayIPcLm2EEEEviT0_T1_.num_named_barrier, max(0, .L_ZN2at6native25elementwise_kernel_helperILb0EZZZNS0_12_GLOBAL__N_119airy_ai_kernel_cudaERNS_18TensorIteratorBaseEENKUlvE_clEvENKUlvE_clEvEUldE_NS0_6memory8policies10vectorizedILi4ESt5arrayIPcLm2EELi4EEEEEvT0_T1_.num_named_barrier, .L_ZN2at6native25elementwise_kernel_helperILb0EZZZNS0_12_GLOBAL__N_119airy_ai_kernel_cudaERNS_18TensorIteratorBaseEENKUlvE_clEvENKUlvE_clEvEUldE_NS0_6memory8policies11unroll_baseILi256ESt5arrayIPcLm2EE23TrivialOffsetCalculatorILi1EjESF_NS8_15LoadWithoutCastENS8_16StoreWithoutCastELi4ELi1EEEEEvT0_T1_.num_named_barrier)
	.set _ZN2at6native29vectorized_elementwise_kernelILi8EZZZNS0_12_GLOBAL__N_119airy_ai_kernel_cudaERNS_18TensorIteratorBaseEENKUlvE_clEvENKUlvE_clEvEUldE_St5arrayIPcLm2EEEEviT0_T1_.private_seg_size, 0+max(.L_ZN2at6native25elementwise_kernel_helperILb0EZZZNS0_12_GLOBAL__N_119airy_ai_kernel_cudaERNS_18TensorIteratorBaseEENKUlvE_clEvENKUlvE_clEvEUldE_NS0_6memory8policies10vectorizedILi4ESt5arrayIPcLm2EELi4EEEEEvT0_T1_.private_seg_size, .L_ZN2at6native25elementwise_kernel_helperILb0EZZZNS0_12_GLOBAL__N_119airy_ai_kernel_cudaERNS_18TensorIteratorBaseEENKUlvE_clEvENKUlvE_clEvEUldE_NS0_6memory8policies11unroll_baseILi256ESt5arrayIPcLm2EE23TrivialOffsetCalculatorILi1EjESF_NS8_15LoadWithoutCastENS8_16StoreWithoutCastELi4ELi1EEEEEvT0_T1_.private_seg_size)
	.set _ZN2at6native29vectorized_elementwise_kernelILi8EZZZNS0_12_GLOBAL__N_119airy_ai_kernel_cudaERNS_18TensorIteratorBaseEENKUlvE_clEvENKUlvE_clEvEUldE_St5arrayIPcLm2EEEEviT0_T1_.uses_vcc, or(1, .L_ZN2at6native25elementwise_kernel_helperILb0EZZZNS0_12_GLOBAL__N_119airy_ai_kernel_cudaERNS_18TensorIteratorBaseEENKUlvE_clEvENKUlvE_clEvEUldE_NS0_6memory8policies10vectorizedILi4ESt5arrayIPcLm2EELi4EEEEEvT0_T1_.uses_vcc, .L_ZN2at6native25elementwise_kernel_helperILb0EZZZNS0_12_GLOBAL__N_119airy_ai_kernel_cudaERNS_18TensorIteratorBaseEENKUlvE_clEvENKUlvE_clEvEUldE_NS0_6memory8policies11unroll_baseILi256ESt5arrayIPcLm2EE23TrivialOffsetCalculatorILi1EjESF_NS8_15LoadWithoutCastENS8_16StoreWithoutCastELi4ELi1EEEEEvT0_T1_.uses_vcc)
	.set _ZN2at6native29vectorized_elementwise_kernelILi8EZZZNS0_12_GLOBAL__N_119airy_ai_kernel_cudaERNS_18TensorIteratorBaseEENKUlvE_clEvENKUlvE_clEvEUldE_St5arrayIPcLm2EEEEviT0_T1_.uses_flat_scratch, or(0, .L_ZN2at6native25elementwise_kernel_helperILb0EZZZNS0_12_GLOBAL__N_119airy_ai_kernel_cudaERNS_18TensorIteratorBaseEENKUlvE_clEvENKUlvE_clEvEUldE_NS0_6memory8policies10vectorizedILi4ESt5arrayIPcLm2EELi4EEEEEvT0_T1_.uses_flat_scratch, .L_ZN2at6native25elementwise_kernel_helperILb0EZZZNS0_12_GLOBAL__N_119airy_ai_kernel_cudaERNS_18TensorIteratorBaseEENKUlvE_clEvENKUlvE_clEvEUldE_NS0_6memory8policies11unroll_baseILi256ESt5arrayIPcLm2EE23TrivialOffsetCalculatorILi1EjESF_NS8_15LoadWithoutCastENS8_16StoreWithoutCastELi4ELi1EEEEEvT0_T1_.uses_flat_scratch)
	.set _ZN2at6native29vectorized_elementwise_kernelILi8EZZZNS0_12_GLOBAL__N_119airy_ai_kernel_cudaERNS_18TensorIteratorBaseEENKUlvE_clEvENKUlvE_clEvEUldE_St5arrayIPcLm2EEEEviT0_T1_.has_dyn_sized_stack, or(0, .L_ZN2at6native25elementwise_kernel_helperILb0EZZZNS0_12_GLOBAL__N_119airy_ai_kernel_cudaERNS_18TensorIteratorBaseEENKUlvE_clEvENKUlvE_clEvEUldE_NS0_6memory8policies10vectorizedILi4ESt5arrayIPcLm2EELi4EEEEEvT0_T1_.has_dyn_sized_stack, .L_ZN2at6native25elementwise_kernel_helperILb0EZZZNS0_12_GLOBAL__N_119airy_ai_kernel_cudaERNS_18TensorIteratorBaseEENKUlvE_clEvENKUlvE_clEvEUldE_NS0_6memory8policies11unroll_baseILi256ESt5arrayIPcLm2EE23TrivialOffsetCalculatorILi1EjESF_NS8_15LoadWithoutCastENS8_16StoreWithoutCastELi4ELi1EEEEEvT0_T1_.has_dyn_sized_stack)
	.set _ZN2at6native29vectorized_elementwise_kernelILi8EZZZNS0_12_GLOBAL__N_119airy_ai_kernel_cudaERNS_18TensorIteratorBaseEENKUlvE_clEvENKUlvE_clEvEUldE_St5arrayIPcLm2EEEEviT0_T1_.has_recursion, or(0, .L_ZN2at6native25elementwise_kernel_helperILb0EZZZNS0_12_GLOBAL__N_119airy_ai_kernel_cudaERNS_18TensorIteratorBaseEENKUlvE_clEvENKUlvE_clEvEUldE_NS0_6memory8policies10vectorizedILi4ESt5arrayIPcLm2EELi4EEEEEvT0_T1_.has_recursion, .L_ZN2at6native25elementwise_kernel_helperILb0EZZZNS0_12_GLOBAL__N_119airy_ai_kernel_cudaERNS_18TensorIteratorBaseEENKUlvE_clEvENKUlvE_clEvEUldE_NS0_6memory8policies11unroll_baseILi256ESt5arrayIPcLm2EE23TrivialOffsetCalculatorILi1EjESF_NS8_15LoadWithoutCastENS8_16StoreWithoutCastELi4ELi1EEEEEvT0_T1_.has_recursion)
	.set _ZN2at6native29vectorized_elementwise_kernelILi8EZZZNS0_12_GLOBAL__N_119airy_ai_kernel_cudaERNS_18TensorIteratorBaseEENKUlvE_clEvENKUlvE_clEvEUldE_St5arrayIPcLm2EEEEviT0_T1_.has_indirect_call, or(0, .L_ZN2at6native25elementwise_kernel_helperILb0EZZZNS0_12_GLOBAL__N_119airy_ai_kernel_cudaERNS_18TensorIteratorBaseEENKUlvE_clEvENKUlvE_clEvEUldE_NS0_6memory8policies10vectorizedILi4ESt5arrayIPcLm2EELi4EEEEEvT0_T1_.has_indirect_call, .L_ZN2at6native25elementwise_kernel_helperILb0EZZZNS0_12_GLOBAL__N_119airy_ai_kernel_cudaERNS_18TensorIteratorBaseEENKUlvE_clEvENKUlvE_clEvEUldE_NS0_6memory8policies11unroll_baseILi256ESt5arrayIPcLm2EE23TrivialOffsetCalculatorILi1EjESF_NS8_15LoadWithoutCastENS8_16StoreWithoutCastELi4ELi1EEEEEvT0_T1_.has_indirect_call)
	.section	.AMDGPU.csdata,"",@progbits
; Kernel info:
; codeLenInByte = 184
; TotalNumSgprs: 49
; NumVgprs: 86
; ScratchSize: 0
; MemoryBound: 0
; FloatMode: 240
; IeeeMode: 1
; LDSByteSize: 0 bytes/workgroup (compile time only)
; SGPRBlocks: 0
; VGPRBlocks: 10
; NumSGPRsForWavesPerEU: 49
; NumVGPRsForWavesPerEU: 86
; Occupancy: 10
; WaveLimiterHint : 0
; COMPUTE_PGM_RSRC2:SCRATCH_EN: 0
; COMPUTE_PGM_RSRC2:USER_SGPR: 6
; COMPUTE_PGM_RSRC2:TRAP_HANDLER: 0
; COMPUTE_PGM_RSRC2:TGID_X_EN: 1
; COMPUTE_PGM_RSRC2:TGID_Y_EN: 0
; COMPUTE_PGM_RSRC2:TGID_Z_EN: 0
; COMPUTE_PGM_RSRC2:TIDIG_COMP_CNT: 0
	.section	.text._ZN2at6native29vectorized_elementwise_kernelILi4EZZZNS0_12_GLOBAL__N_119airy_ai_kernel_cudaERNS_18TensorIteratorBaseEENKUlvE_clEvENKUlvE_clEvEUldE_St5arrayIPcLm2EEEEviT0_T1_,"axG",@progbits,_ZN2at6native29vectorized_elementwise_kernelILi4EZZZNS0_12_GLOBAL__N_119airy_ai_kernel_cudaERNS_18TensorIteratorBaseEENKUlvE_clEvENKUlvE_clEvEUldE_St5arrayIPcLm2EEEEviT0_T1_,comdat
	.globl	_ZN2at6native29vectorized_elementwise_kernelILi4EZZZNS0_12_GLOBAL__N_119airy_ai_kernel_cudaERNS_18TensorIteratorBaseEENKUlvE_clEvENKUlvE_clEvEUldE_St5arrayIPcLm2EEEEviT0_T1_ ; -- Begin function _ZN2at6native29vectorized_elementwise_kernelILi4EZZZNS0_12_GLOBAL__N_119airy_ai_kernel_cudaERNS_18TensorIteratorBaseEENKUlvE_clEvENKUlvE_clEvEUldE_St5arrayIPcLm2EEEEviT0_T1_
	.p2align	8
	.type	_ZN2at6native29vectorized_elementwise_kernelILi4EZZZNS0_12_GLOBAL__N_119airy_ai_kernel_cudaERNS_18TensorIteratorBaseEENKUlvE_clEvENKUlvE_clEvEUldE_St5arrayIPcLm2EEEEviT0_T1_,@function
_ZN2at6native29vectorized_elementwise_kernelILi4EZZZNS0_12_GLOBAL__N_119airy_ai_kernel_cudaERNS_18TensorIteratorBaseEENKUlvE_clEvENKUlvE_clEvEUldE_St5arrayIPcLm2EEEEviT0_T1_: ; @_ZN2at6native29vectorized_elementwise_kernelILi4EZZZNS0_12_GLOBAL__N_119airy_ai_kernel_cudaERNS_18TensorIteratorBaseEENKUlvE_clEvENKUlvE_clEvEUldE_St5arrayIPcLm2EEEEviT0_T1_
; %bb.0:
	s_mov_b32 s33, s6
	s_clause 0x1
	s_load_dword s6, s[4:5], 0x0
	s_load_dwordx4 s[36:39], s[4:5], 0x8
	s_add_u32 s0, s0, s7
	s_addc_u32 s1, s1, 0
	s_lshl_b32 s4, s33, 10
	v_mov_b32_e32 v40, v0
	s_mov_b32 s32, 0
	s_waitcnt lgkmcnt(0)
	s_sub_i32 s34, s6, s4
	s_mov_b32 s4, -1
	s_cmpk_gt_i32 s34, 0x3ff
	s_cbranch_scc1 .LBB4_3
; %bb.1:
	s_andn2_b32 vcc_lo, exec_lo, s4
	s_cbranch_vccz .LBB4_4
.LBB4_2:
	s_endpgm
.LBB4_3:
	v_mov_b32_e32 v31, v40
	v_mov_b32_e32 v0, s36
	;; [unrolled: 1-line block ×5, first 2 shown]
	s_getpc_b64 s[4:5]
	s_add_u32 s4, s4, _ZN2at6native25elementwise_kernel_helperILb0EZZZNS0_12_GLOBAL__N_119airy_ai_kernel_cudaERNS_18TensorIteratorBaseEENKUlvE_clEvENKUlvE_clEvEUldE_NS0_6memory8policies10vectorizedILi4ESt5arrayIPcLm2EELi4EEEEEvT0_T1_@rel32@lo+4
	s_addc_u32 s5, s5, _ZN2at6native25elementwise_kernel_helperILb0EZZZNS0_12_GLOBAL__N_119airy_ai_kernel_cudaERNS_18TensorIteratorBaseEENKUlvE_clEvENKUlvE_clEvEUldE_NS0_6memory8policies10vectorizedILi4ESt5arrayIPcLm2EELi4EEEEEvT0_T1_@rel32@hi+12
	s_mov_b32 s12, s33
	s_swappc_b64 s[30:31], s[4:5]
	s_cbranch_execnz .LBB4_2
.LBB4_4:
	v_mov_b32_e32 v31, v40
	v_mov_b32_e32 v0, s36
	;; [unrolled: 1-line block ×6, first 2 shown]
	s_getpc_b64 s[4:5]
	s_add_u32 s4, s4, _ZN2at6native25elementwise_kernel_helperILb0EZZZNS0_12_GLOBAL__N_119airy_ai_kernel_cudaERNS_18TensorIteratorBaseEENKUlvE_clEvENKUlvE_clEvEUldE_NS0_6memory8policies11unroll_baseILi256ESt5arrayIPcLm2EE23TrivialOffsetCalculatorILi1EjESF_NS8_15LoadWithoutCastENS8_16StoreWithoutCastELi4ELi1EEEEEvT0_T1_@rel32@lo+4
	s_addc_u32 s5, s5, _ZN2at6native25elementwise_kernel_helperILb0EZZZNS0_12_GLOBAL__N_119airy_ai_kernel_cudaERNS_18TensorIteratorBaseEENKUlvE_clEvENKUlvE_clEvEUldE_NS0_6memory8policies11unroll_baseILi256ESt5arrayIPcLm2EE23TrivialOffsetCalculatorILi1EjESF_NS8_15LoadWithoutCastENS8_16StoreWithoutCastELi4ELi1EEEEEvT0_T1_@rel32@hi+12
	s_mov_b32 s12, s33
	s_swappc_b64 s[30:31], s[4:5]
	s_endpgm
	.section	.rodata,"a",@progbits
	.p2align	6, 0x0
	.amdhsa_kernel _ZN2at6native29vectorized_elementwise_kernelILi4EZZZNS0_12_GLOBAL__N_119airy_ai_kernel_cudaERNS_18TensorIteratorBaseEENKUlvE_clEvENKUlvE_clEvEUldE_St5arrayIPcLm2EEEEviT0_T1_
		.amdhsa_group_segment_fixed_size 0
		.amdhsa_private_segment_fixed_size 0
		.amdhsa_kernarg_size 24
		.amdhsa_user_sgpr_count 6
		.amdhsa_user_sgpr_private_segment_buffer 1
		.amdhsa_user_sgpr_dispatch_ptr 0
		.amdhsa_user_sgpr_queue_ptr 0
		.amdhsa_user_sgpr_kernarg_segment_ptr 1
		.amdhsa_user_sgpr_dispatch_id 0
		.amdhsa_user_sgpr_flat_scratch_init 0
		.amdhsa_user_sgpr_private_segment_size 0
		.amdhsa_wavefront_size32 1
		.amdhsa_uses_dynamic_stack 0
		.amdhsa_system_sgpr_private_segment_wavefront_offset 0
		.amdhsa_system_sgpr_workgroup_id_x 1
		.amdhsa_system_sgpr_workgroup_id_y 0
		.amdhsa_system_sgpr_workgroup_id_z 0
		.amdhsa_system_sgpr_workgroup_info 0
		.amdhsa_system_vgpr_workitem_id 0
		.amdhsa_next_free_vgpr 86
		.amdhsa_next_free_sgpr 47
		.amdhsa_reserve_vcc 1
		.amdhsa_reserve_flat_scratch 1
		.amdhsa_float_round_mode_32 0
		.amdhsa_float_round_mode_16_64 0
		.amdhsa_float_denorm_mode_32 3
		.amdhsa_float_denorm_mode_16_64 3
		.amdhsa_dx10_clamp 1
		.amdhsa_ieee_mode 1
		.amdhsa_fp16_overflow 0
		.amdhsa_workgroup_processor_mode 1
		.amdhsa_memory_ordered 1
		.amdhsa_forward_progress 1
		.amdhsa_shared_vgpr_count 0
		.amdhsa_exception_fp_ieee_invalid_op 0
		.amdhsa_exception_fp_denorm_src 0
		.amdhsa_exception_fp_ieee_div_zero 0
		.amdhsa_exception_fp_ieee_overflow 0
		.amdhsa_exception_fp_ieee_underflow 0
		.amdhsa_exception_fp_ieee_inexact 0
		.amdhsa_exception_int_div_zero 0
	.end_amdhsa_kernel
	.section	.text._ZN2at6native29vectorized_elementwise_kernelILi4EZZZNS0_12_GLOBAL__N_119airy_ai_kernel_cudaERNS_18TensorIteratorBaseEENKUlvE_clEvENKUlvE_clEvEUldE_St5arrayIPcLm2EEEEviT0_T1_,"axG",@progbits,_ZN2at6native29vectorized_elementwise_kernelILi4EZZZNS0_12_GLOBAL__N_119airy_ai_kernel_cudaERNS_18TensorIteratorBaseEENKUlvE_clEvENKUlvE_clEvEUldE_St5arrayIPcLm2EEEEviT0_T1_,comdat
.Lfunc_end4:
	.size	_ZN2at6native29vectorized_elementwise_kernelILi4EZZZNS0_12_GLOBAL__N_119airy_ai_kernel_cudaERNS_18TensorIteratorBaseEENKUlvE_clEvENKUlvE_clEvEUldE_St5arrayIPcLm2EEEEviT0_T1_, .Lfunc_end4-_ZN2at6native29vectorized_elementwise_kernelILi4EZZZNS0_12_GLOBAL__N_119airy_ai_kernel_cudaERNS_18TensorIteratorBaseEENKUlvE_clEvENKUlvE_clEvEUldE_St5arrayIPcLm2EEEEviT0_T1_
                                        ; -- End function
	.set _ZN2at6native29vectorized_elementwise_kernelILi4EZZZNS0_12_GLOBAL__N_119airy_ai_kernel_cudaERNS_18TensorIteratorBaseEENKUlvE_clEvENKUlvE_clEvEUldE_St5arrayIPcLm2EEEEviT0_T1_.num_vgpr, max(41, .L_ZN2at6native25elementwise_kernel_helperILb0EZZZNS0_12_GLOBAL__N_119airy_ai_kernel_cudaERNS_18TensorIteratorBaseEENKUlvE_clEvENKUlvE_clEvEUldE_NS0_6memory8policies10vectorizedILi4ESt5arrayIPcLm2EELi4EEEEEvT0_T1_.num_vgpr, .L_ZN2at6native25elementwise_kernel_helperILb0EZZZNS0_12_GLOBAL__N_119airy_ai_kernel_cudaERNS_18TensorIteratorBaseEENKUlvE_clEvENKUlvE_clEvEUldE_NS0_6memory8policies11unroll_baseILi256ESt5arrayIPcLm2EE23TrivialOffsetCalculatorILi1EjESF_NS8_15LoadWithoutCastENS8_16StoreWithoutCastELi4ELi1EEEEEvT0_T1_.num_vgpr)
	.set _ZN2at6native29vectorized_elementwise_kernelILi4EZZZNS0_12_GLOBAL__N_119airy_ai_kernel_cudaERNS_18TensorIteratorBaseEENKUlvE_clEvENKUlvE_clEvEUldE_St5arrayIPcLm2EEEEviT0_T1_.num_agpr, max(0, .L_ZN2at6native25elementwise_kernel_helperILb0EZZZNS0_12_GLOBAL__N_119airy_ai_kernel_cudaERNS_18TensorIteratorBaseEENKUlvE_clEvENKUlvE_clEvEUldE_NS0_6memory8policies10vectorizedILi4ESt5arrayIPcLm2EELi4EEEEEvT0_T1_.num_agpr, .L_ZN2at6native25elementwise_kernel_helperILb0EZZZNS0_12_GLOBAL__N_119airy_ai_kernel_cudaERNS_18TensorIteratorBaseEENKUlvE_clEvENKUlvE_clEvEUldE_NS0_6memory8policies11unroll_baseILi256ESt5arrayIPcLm2EE23TrivialOffsetCalculatorILi1EjESF_NS8_15LoadWithoutCastENS8_16StoreWithoutCastELi4ELi1EEEEEvT0_T1_.num_agpr)
	.set _ZN2at6native29vectorized_elementwise_kernelILi4EZZZNS0_12_GLOBAL__N_119airy_ai_kernel_cudaERNS_18TensorIteratorBaseEENKUlvE_clEvENKUlvE_clEvEUldE_St5arrayIPcLm2EEEEviT0_T1_.numbered_sgpr, max(40, .L_ZN2at6native25elementwise_kernel_helperILb0EZZZNS0_12_GLOBAL__N_119airy_ai_kernel_cudaERNS_18TensorIteratorBaseEENKUlvE_clEvENKUlvE_clEvEUldE_NS0_6memory8policies10vectorizedILi4ESt5arrayIPcLm2EELi4EEEEEvT0_T1_.numbered_sgpr, .L_ZN2at6native25elementwise_kernel_helperILb0EZZZNS0_12_GLOBAL__N_119airy_ai_kernel_cudaERNS_18TensorIteratorBaseEENKUlvE_clEvENKUlvE_clEvEUldE_NS0_6memory8policies11unroll_baseILi256ESt5arrayIPcLm2EE23TrivialOffsetCalculatorILi1EjESF_NS8_15LoadWithoutCastENS8_16StoreWithoutCastELi4ELi1EEEEEvT0_T1_.numbered_sgpr)
	.set _ZN2at6native29vectorized_elementwise_kernelILi4EZZZNS0_12_GLOBAL__N_119airy_ai_kernel_cudaERNS_18TensorIteratorBaseEENKUlvE_clEvENKUlvE_clEvEUldE_St5arrayIPcLm2EEEEviT0_T1_.num_named_barrier, max(0, .L_ZN2at6native25elementwise_kernel_helperILb0EZZZNS0_12_GLOBAL__N_119airy_ai_kernel_cudaERNS_18TensorIteratorBaseEENKUlvE_clEvENKUlvE_clEvEUldE_NS0_6memory8policies10vectorizedILi4ESt5arrayIPcLm2EELi4EEEEEvT0_T1_.num_named_barrier, .L_ZN2at6native25elementwise_kernel_helperILb0EZZZNS0_12_GLOBAL__N_119airy_ai_kernel_cudaERNS_18TensorIteratorBaseEENKUlvE_clEvENKUlvE_clEvEUldE_NS0_6memory8policies11unroll_baseILi256ESt5arrayIPcLm2EE23TrivialOffsetCalculatorILi1EjESF_NS8_15LoadWithoutCastENS8_16StoreWithoutCastELi4ELi1EEEEEvT0_T1_.num_named_barrier)
	.set _ZN2at6native29vectorized_elementwise_kernelILi4EZZZNS0_12_GLOBAL__N_119airy_ai_kernel_cudaERNS_18TensorIteratorBaseEENKUlvE_clEvENKUlvE_clEvEUldE_St5arrayIPcLm2EEEEviT0_T1_.private_seg_size, 0+max(.L_ZN2at6native25elementwise_kernel_helperILb0EZZZNS0_12_GLOBAL__N_119airy_ai_kernel_cudaERNS_18TensorIteratorBaseEENKUlvE_clEvENKUlvE_clEvEUldE_NS0_6memory8policies10vectorizedILi4ESt5arrayIPcLm2EELi4EEEEEvT0_T1_.private_seg_size, .L_ZN2at6native25elementwise_kernel_helperILb0EZZZNS0_12_GLOBAL__N_119airy_ai_kernel_cudaERNS_18TensorIteratorBaseEENKUlvE_clEvENKUlvE_clEvEUldE_NS0_6memory8policies11unroll_baseILi256ESt5arrayIPcLm2EE23TrivialOffsetCalculatorILi1EjESF_NS8_15LoadWithoutCastENS8_16StoreWithoutCastELi4ELi1EEEEEvT0_T1_.private_seg_size)
	.set _ZN2at6native29vectorized_elementwise_kernelILi4EZZZNS0_12_GLOBAL__N_119airy_ai_kernel_cudaERNS_18TensorIteratorBaseEENKUlvE_clEvENKUlvE_clEvEUldE_St5arrayIPcLm2EEEEviT0_T1_.uses_vcc, or(1, .L_ZN2at6native25elementwise_kernel_helperILb0EZZZNS0_12_GLOBAL__N_119airy_ai_kernel_cudaERNS_18TensorIteratorBaseEENKUlvE_clEvENKUlvE_clEvEUldE_NS0_6memory8policies10vectorizedILi4ESt5arrayIPcLm2EELi4EEEEEvT0_T1_.uses_vcc, .L_ZN2at6native25elementwise_kernel_helperILb0EZZZNS0_12_GLOBAL__N_119airy_ai_kernel_cudaERNS_18TensorIteratorBaseEENKUlvE_clEvENKUlvE_clEvEUldE_NS0_6memory8policies11unroll_baseILi256ESt5arrayIPcLm2EE23TrivialOffsetCalculatorILi1EjESF_NS8_15LoadWithoutCastENS8_16StoreWithoutCastELi4ELi1EEEEEvT0_T1_.uses_vcc)
	.set _ZN2at6native29vectorized_elementwise_kernelILi4EZZZNS0_12_GLOBAL__N_119airy_ai_kernel_cudaERNS_18TensorIteratorBaseEENKUlvE_clEvENKUlvE_clEvEUldE_St5arrayIPcLm2EEEEviT0_T1_.uses_flat_scratch, or(0, .L_ZN2at6native25elementwise_kernel_helperILb0EZZZNS0_12_GLOBAL__N_119airy_ai_kernel_cudaERNS_18TensorIteratorBaseEENKUlvE_clEvENKUlvE_clEvEUldE_NS0_6memory8policies10vectorizedILi4ESt5arrayIPcLm2EELi4EEEEEvT0_T1_.uses_flat_scratch, .L_ZN2at6native25elementwise_kernel_helperILb0EZZZNS0_12_GLOBAL__N_119airy_ai_kernel_cudaERNS_18TensorIteratorBaseEENKUlvE_clEvENKUlvE_clEvEUldE_NS0_6memory8policies11unroll_baseILi256ESt5arrayIPcLm2EE23TrivialOffsetCalculatorILi1EjESF_NS8_15LoadWithoutCastENS8_16StoreWithoutCastELi4ELi1EEEEEvT0_T1_.uses_flat_scratch)
	.set _ZN2at6native29vectorized_elementwise_kernelILi4EZZZNS0_12_GLOBAL__N_119airy_ai_kernel_cudaERNS_18TensorIteratorBaseEENKUlvE_clEvENKUlvE_clEvEUldE_St5arrayIPcLm2EEEEviT0_T1_.has_dyn_sized_stack, or(0, .L_ZN2at6native25elementwise_kernel_helperILb0EZZZNS0_12_GLOBAL__N_119airy_ai_kernel_cudaERNS_18TensorIteratorBaseEENKUlvE_clEvENKUlvE_clEvEUldE_NS0_6memory8policies10vectorizedILi4ESt5arrayIPcLm2EELi4EEEEEvT0_T1_.has_dyn_sized_stack, .L_ZN2at6native25elementwise_kernel_helperILb0EZZZNS0_12_GLOBAL__N_119airy_ai_kernel_cudaERNS_18TensorIteratorBaseEENKUlvE_clEvENKUlvE_clEvEUldE_NS0_6memory8policies11unroll_baseILi256ESt5arrayIPcLm2EE23TrivialOffsetCalculatorILi1EjESF_NS8_15LoadWithoutCastENS8_16StoreWithoutCastELi4ELi1EEEEEvT0_T1_.has_dyn_sized_stack)
	.set _ZN2at6native29vectorized_elementwise_kernelILi4EZZZNS0_12_GLOBAL__N_119airy_ai_kernel_cudaERNS_18TensorIteratorBaseEENKUlvE_clEvENKUlvE_clEvEUldE_St5arrayIPcLm2EEEEviT0_T1_.has_recursion, or(0, .L_ZN2at6native25elementwise_kernel_helperILb0EZZZNS0_12_GLOBAL__N_119airy_ai_kernel_cudaERNS_18TensorIteratorBaseEENKUlvE_clEvENKUlvE_clEvEUldE_NS0_6memory8policies10vectorizedILi4ESt5arrayIPcLm2EELi4EEEEEvT0_T1_.has_recursion, .L_ZN2at6native25elementwise_kernel_helperILb0EZZZNS0_12_GLOBAL__N_119airy_ai_kernel_cudaERNS_18TensorIteratorBaseEENKUlvE_clEvENKUlvE_clEvEUldE_NS0_6memory8policies11unroll_baseILi256ESt5arrayIPcLm2EE23TrivialOffsetCalculatorILi1EjESF_NS8_15LoadWithoutCastENS8_16StoreWithoutCastELi4ELi1EEEEEvT0_T1_.has_recursion)
	.set _ZN2at6native29vectorized_elementwise_kernelILi4EZZZNS0_12_GLOBAL__N_119airy_ai_kernel_cudaERNS_18TensorIteratorBaseEENKUlvE_clEvENKUlvE_clEvEUldE_St5arrayIPcLm2EEEEviT0_T1_.has_indirect_call, or(0, .L_ZN2at6native25elementwise_kernel_helperILb0EZZZNS0_12_GLOBAL__N_119airy_ai_kernel_cudaERNS_18TensorIteratorBaseEENKUlvE_clEvENKUlvE_clEvEUldE_NS0_6memory8policies10vectorizedILi4ESt5arrayIPcLm2EELi4EEEEEvT0_T1_.has_indirect_call, .L_ZN2at6native25elementwise_kernel_helperILb0EZZZNS0_12_GLOBAL__N_119airy_ai_kernel_cudaERNS_18TensorIteratorBaseEENKUlvE_clEvENKUlvE_clEvEUldE_NS0_6memory8policies11unroll_baseILi256ESt5arrayIPcLm2EE23TrivialOffsetCalculatorILi1EjESF_NS8_15LoadWithoutCastENS8_16StoreWithoutCastELi4ELi1EEEEEvT0_T1_.has_indirect_call)
	.section	.AMDGPU.csdata,"",@progbits
; Kernel info:
; codeLenInByte = 184
; TotalNumSgprs: 49
; NumVgprs: 86
; ScratchSize: 0
; MemoryBound: 0
; FloatMode: 240
; IeeeMode: 1
; LDSByteSize: 0 bytes/workgroup (compile time only)
; SGPRBlocks: 0
; VGPRBlocks: 10
; NumSGPRsForWavesPerEU: 49
; NumVGPRsForWavesPerEU: 86
; Occupancy: 10
; WaveLimiterHint : 0
; COMPUTE_PGM_RSRC2:SCRATCH_EN: 0
; COMPUTE_PGM_RSRC2:USER_SGPR: 6
; COMPUTE_PGM_RSRC2:TRAP_HANDLER: 0
; COMPUTE_PGM_RSRC2:TGID_X_EN: 1
; COMPUTE_PGM_RSRC2:TGID_Y_EN: 0
; COMPUTE_PGM_RSRC2:TGID_Z_EN: 0
; COMPUTE_PGM_RSRC2:TIDIG_COMP_CNT: 0
	.section	.text._ZN2at6native29vectorized_elementwise_kernelILi2EZZZNS0_12_GLOBAL__N_119airy_ai_kernel_cudaERNS_18TensorIteratorBaseEENKUlvE_clEvENKUlvE_clEvEUldE_St5arrayIPcLm2EEEEviT0_T1_,"axG",@progbits,_ZN2at6native29vectorized_elementwise_kernelILi2EZZZNS0_12_GLOBAL__N_119airy_ai_kernel_cudaERNS_18TensorIteratorBaseEENKUlvE_clEvENKUlvE_clEvEUldE_St5arrayIPcLm2EEEEviT0_T1_,comdat
	.globl	_ZN2at6native29vectorized_elementwise_kernelILi2EZZZNS0_12_GLOBAL__N_119airy_ai_kernel_cudaERNS_18TensorIteratorBaseEENKUlvE_clEvENKUlvE_clEvEUldE_St5arrayIPcLm2EEEEviT0_T1_ ; -- Begin function _ZN2at6native29vectorized_elementwise_kernelILi2EZZZNS0_12_GLOBAL__N_119airy_ai_kernel_cudaERNS_18TensorIteratorBaseEENKUlvE_clEvENKUlvE_clEvEUldE_St5arrayIPcLm2EEEEviT0_T1_
	.p2align	8
	.type	_ZN2at6native29vectorized_elementwise_kernelILi2EZZZNS0_12_GLOBAL__N_119airy_ai_kernel_cudaERNS_18TensorIteratorBaseEENKUlvE_clEvENKUlvE_clEvEUldE_St5arrayIPcLm2EEEEviT0_T1_,@function
_ZN2at6native29vectorized_elementwise_kernelILi2EZZZNS0_12_GLOBAL__N_119airy_ai_kernel_cudaERNS_18TensorIteratorBaseEENKUlvE_clEvENKUlvE_clEvEUldE_St5arrayIPcLm2EEEEviT0_T1_: ; @_ZN2at6native29vectorized_elementwise_kernelILi2EZZZNS0_12_GLOBAL__N_119airy_ai_kernel_cudaERNS_18TensorIteratorBaseEENKUlvE_clEvENKUlvE_clEvEUldE_St5arrayIPcLm2EEEEviT0_T1_
; %bb.0:
	s_add_u32 s0, s0, s7
	s_clause 0x1
	s_load_dword s7, s[4:5], 0x0
	s_load_dwordx4 s[8:11], s[4:5], 0x8
	s_addc_u32 s1, s1, 0
	s_lshl_b32 s4, s6, 10
	s_mov_b32 s5, -1
	s_mov_b32 s32, 0
	s_waitcnt lgkmcnt(0)
	s_sub_i32 s7, s7, s4
	s_cmpk_gt_i32 s7, 0x3ff
	s_cbranch_scc0 .LBB5_14
; %bb.1:
	s_ashr_i32 s5, s4, 31
	v_lshlrev_b32_e32 v31, 4, v0
	s_lshl_b64 s[12:13], s[4:5], 3
	v_mov_b32_e32 v3, 0
	s_add_u32 s4, s10, s12
	s_addc_u32 s5, s11, s13
	v_mov_b32_e32 v4, 0x7ff80000
	global_load_dwordx4 v[9:12], v31, s[4:5]
	v_add_co_u32 v1, s4, s4, v31
	v_add_co_ci_u32_e64 v2, null, s5, 0, s4
	s_mov_b32 s16, exec_lo
	v_add_co_u32 v1, vcc_lo, 0x1000, v1
	v_add_co_ci_u32_e64 v2, null, 0, v2, vcc_lo
	global_load_dwordx4 v[5:8], v[1:2], off
	v_mov_b32_e32 v1, 0
	v_mov_b32_e32 v2, 0x7ff80000
	s_waitcnt vmcnt(1)
	v_cmpx_neq_f64_e64 0x7ff00000, |v[9:10]|
	s_cbranch_execz .LBB5_25
; %bb.2:
	v_mov_b32_e32 v1, 0
	v_mov_b32_e32 v2, 0
	s_mov_b32 s4, 0x872b020c
	s_mov_b32 s5, 0x4059f916
	s_mov_b32 s17, exec_lo
	v_cmpx_nlt_f64_e32 s[4:5], v[9:10]
	s_cbranch_execz .LBB5_24
; %bb.3:
	s_mov_b32 s5, 0xc000b851
	s_mov_b32 s4, 0xeb851eb8
	v_cmp_ngt_f64_e32 vcc_lo, s[4:5], v[9:10]
	s_and_saveexec_b32 s5, vcc_lo
	s_xor_b32 s14, exec_lo, s5
	s_cbranch_execz .LBB5_11
; %bb.4:
	s_mov_b32 s5, 0x4000b851
	v_mov_b32_e32 v1, 0
	v_cmp_nle_f64_e64 s15, s[4:5], v[9:10]
	v_cmp_le_f64_e32 vcc_lo, s[4:5], v[9:10]
	v_mov_b32_e32 v2, 0
	s_mov_b32 s4, s15
	s_and_saveexec_b32 s18, vcc_lo
	s_cbranch_execz .LBB5_6
; %bb.5:
	v_cmp_gt_f64_e32 vcc_lo, 0x10000000, v[9:10]
	s_mov_b32 s4, 0x2537b658
	s_mov_b32 s20, 0x2624d31
	;; [unrolled: 1-line block ×4, first 2 shown]
	v_cndmask_b32_e64 v1, 0, 0x100, vcc_lo
	v_ldexp_f64 v[1:2], v[9:10], v1
	v_rsq_f64_e32 v[13:14], v[1:2]
	v_mul_f64 v[15:16], v[1:2], v[13:14]
	v_mul_f64 v[13:14], v[13:14], 0.5
	v_fma_f64 v[17:18], -v[13:14], v[15:16], 0.5
	v_fma_f64 v[15:16], v[15:16], v[17:18], v[15:16]
	v_fma_f64 v[13:14], v[13:14], v[17:18], v[13:14]
	v_fma_f64 v[17:18], -v[15:16], v[15:16], v[1:2]
	v_fma_f64 v[15:16], v[17:18], v[13:14], v[15:16]
	v_fma_f64 v[17:18], -v[15:16], v[15:16], v[1:2]
	v_fma_f64 v[13:14], v[17:18], v[13:14], v[15:16]
	v_cndmask_b32_e64 v15, 0, 0xffffff80, vcc_lo
	v_cmp_class_f64_e64 vcc_lo, v[1:2], 0x260
	v_ldexp_f64 v[13:14], v[13:14], v15
	v_add_f64 v[15:16], v[9:10], v[9:10]
	v_cndmask_b32_e32 v2, v14, v2, vcc_lo
	v_cndmask_b32_e32 v1, v13, v1, vcc_lo
	v_mul_f64 v[13:14], v[15:16], v[1:2]
	v_div_scale_f64 v[15:16], null, 0x40080000, 0x40080000, v[13:14]
	v_div_scale_f64 v[21:22], vcc_lo, v[13:14], 0x40080000, v[13:14]
	v_rcp_f64_e32 v[17:18], v[15:16]
	v_fma_f64 v[19:20], -v[15:16], v[17:18], 1.0
	v_fma_f64 v[17:18], v[17:18], v[19:20], v[17:18]
	v_fma_f64 v[19:20], -v[15:16], v[17:18], 1.0
	v_fma_f64 v[17:18], v[17:18], v[19:20], v[17:18]
	v_mul_f64 v[19:20], v[21:22], v[17:18]
	v_fma_f64 v[15:16], -v[15:16], v[19:20], v[21:22]
	v_div_fmas_f64 v[15:16], v[15:16], v[17:18], v[19:20]
	v_div_fixup_f64 v[13:14], v[15:16], 0x40080000, v[13:14]
	v_div_scale_f64 v[15:16], null, v[13:14], v[13:14], 1.0
	v_div_scale_f64 v[21:22], vcc_lo, 1.0, v[13:14], 1.0
	v_rcp_f64_e32 v[17:18], v[15:16]
	v_fma_f64 v[19:20], -v[15:16], v[17:18], 1.0
	v_fma_f64 v[17:18], v[17:18], v[19:20], v[17:18]
	v_fma_f64 v[19:20], -v[15:16], v[17:18], 1.0
	v_fma_f64 v[17:18], v[17:18], v[19:20], v[17:18]
	v_mul_f64 v[19:20], v[21:22], v[17:18]
	v_fma_f64 v[15:16], -v[15:16], v[19:20], v[21:22]
	v_div_fmas_f64 v[15:16], v[15:16], v[17:18], v[19:20]
	v_cmp_gt_f64_e32 vcc_lo, 0x10000000, v[1:2]
	v_div_fixup_f64 v[15:16], v[15:16], v[13:14], 1.0
	v_cndmask_b32_e64 v27, 0, 0x100, vcc_lo
	v_ldexp_f64 v[1:2], v[1:2], v27
	v_fma_f64 v[17:18], v[15:16], 0, s[20:21]
	v_fma_f64 v[19:20], v[15:16], 0, s[4:5]
	s_mov_b32 s4, 0x652b82fe
	s_mov_b32 s5, 0x3ff71547
	;; [unrolled: 1-line block ×3, first 2 shown]
	v_mul_f64 v[21:22], v[13:14], s[4:5]
	s_mov_b32 s4, 0x871a9067
	s_mov_b32 s5, 0x402803e3
	;; [unrolled: 1-line block ×3, first 2 shown]
	v_fma_f64 v[17:18], v[15:16], v[17:18], s[20:21]
	v_fma_f64 v[19:20], v[15:16], v[19:20], s[4:5]
	s_mov_b32 s4, 0xde2e1e3
	s_mov_b32 s20, 0xb04d51a0
	;; [unrolled: 1-line block ×3, first 2 shown]
	v_rndne_f64_e32 v[21:22], v[21:22]
	s_mov_b32 s21, 0x405520e3
	v_fma_f64 v[17:18], v[15:16], v[17:18], s[20:21]
	v_fma_f64 v[19:20], v[15:16], v[19:20], s[4:5]
	s_mov_b32 s4, 0xfefa39ef
	s_mov_b32 s5, 0xbfe62e42
	;; [unrolled: 1-line block ×3, first 2 shown]
	v_fma_f64 v[23:24], v[21:22], s[4:5], v[13:14]
	s_mov_b32 s4, 0xee40073c
	s_mov_b32 s5, 0x406502da
	;; [unrolled: 1-line block ×3, first 2 shown]
	v_fma_f64 v[17:18], v[15:16], v[17:18], s[20:21]
	v_fma_f64 v[19:20], v[15:16], v[19:20], s[4:5]
	s_mov_b32 s4, 0x3b39803f
	s_mov_b32 s5, 0xbc7abc9e
	;; [unrolled: 1-line block ×3, first 2 shown]
	v_fma_f64 v[23:24], v[21:22], s[4:5], v[23:24]
	s_mov_b32 s4, 0x5ba1fddf
	s_mov_b32 s5, 0x4063f834
	;; [unrolled: 1-line block ×3, first 2 shown]
	v_fma_f64 v[17:18], v[15:16], v[17:18], s[20:21]
	v_fma_f64 v[19:20], v[15:16], v[19:20], s[4:5]
	s_mov_b32 s4, 0xfca7ab0c
	s_mov_b32 s20, 0x6a5dcb37
	;; [unrolled: 1-line block ×4, first 2 shown]
	v_fma_f64 v[25:26], v[23:24], s[20:21], s[4:5]
	s_mov_b32 s4, 0x4f4cea4f
	s_mov_b32 s20, 0xee91d35f
	;; [unrolled: 1-line block ×4, first 2 shown]
	v_fma_f64 v[17:18], v[15:16], v[17:18], s[20:21]
	v_fma_f64 v[19:20], v[15:16], v[19:20], s[4:5]
	s_mov_b32 s4, 0x623fde64
	s_mov_b32 s5, 0x3ec71dee
	;; [unrolled: 1-line block ×4, first 2 shown]
	v_fma_f64 v[25:26], v[23:24], v[25:26], s[4:5]
	s_mov_b32 s4, 0x5c2a0f4d
	s_mov_b32 s5, 0x402c0d8d
	v_fma_f64 v[17:18], v[15:16], v[17:18], s[20:21]
	v_fma_f64 v[19:20], v[15:16], v[19:20], s[4:5]
	s_mov_b32 s4, 0x7c89e6b0
	s_mov_b32 s5, 0x3efa0199
	v_fma_f64 v[25:26], v[23:24], v[25:26], s[4:5]
	s_mov_b32 s4, 0x14761f6e
	s_mov_b32 s5, 0x3f2a01a0
	v_fma_f64 v[17:18], v[15:16], v[17:18], 1.0
	v_fma_f64 v[15:16], v[15:16], v[19:20], 1.0
	v_rsq_f64_e32 v[19:20], v[1:2]
	v_fma_f64 v[25:26], v[23:24], v[25:26], s[4:5]
	s_mov_b32 s4, 0x1852b7b0
	s_mov_b32 s5, 0x3f56c16c
	v_div_scale_f64 v[27:28], null, v[17:18], v[17:18], v[15:16]
	v_mul_f64 v[29:30], v[1:2], v[19:20]
	v_mul_f64 v[19:20], v[19:20], 0.5
	v_fma_f64 v[25:26], v[23:24], v[25:26], s[4:5]
	s_mov_b32 s4, 0x11122322
	s_mov_b32 s5, 0x3f811111
	v_rcp_f64_e32 v[32:33], v[27:28]
	v_fma_f64 v[34:35], -v[19:20], v[29:30], 0.5
	v_fma_f64 v[25:26], v[23:24], v[25:26], s[4:5]
	s_mov_b32 s4, 0x555502a1
	s_mov_b32 s5, 0x3fa55555
	v_fma_f64 v[36:37], -v[27:28], v[32:33], 1.0
	v_fma_f64 v[29:30], v[29:30], v[34:35], v[29:30]
	v_fma_f64 v[19:20], v[19:20], v[34:35], v[19:20]
	;; [unrolled: 1-line block ×3, first 2 shown]
	s_mov_b32 s4, 0x55555511
	s_mov_b32 s5, 0x3fc55555
	v_fma_f64 v[32:33], v[32:33], v[36:37], v[32:33]
	v_fma_f64 v[34:35], -v[29:30], v[29:30], v[1:2]
	v_fma_f64 v[25:26], v[23:24], v[25:26], s[4:5]
	s_mov_b32 s4, 11
	s_mov_b32 s5, 0x3fe00000
	v_fma_f64 v[36:37], -v[27:28], v[32:33], 1.0
	v_fma_f64 v[29:30], v[34:35], v[19:20], v[29:30]
	v_fma_f64 v[25:26], v[23:24], v[25:26], s[4:5]
	v_div_scale_f64 v[34:35], s4, v[15:16], v[17:18], v[15:16]
	v_cmp_class_f64_e64 s5, v[1:2], 0x260
	v_fma_f64 v[32:33], v[32:33], v[36:37], v[32:33]
	v_fma_f64 v[36:37], -v[29:30], v[29:30], v[1:2]
	v_fma_f64 v[25:26], v[23:24], v[25:26], 1.0
	v_mul_f64 v[38:39], v[34:35], v[32:33]
	v_fma_f64 v[19:20], v[36:37], v[19:20], v[29:30]
	v_cvt_i32_f64_e32 v29, v[21:22]
	v_fma_f64 v[21:22], v[23:24], v[25:26], 1.0
	v_cndmask_b32_e64 v25, 0, 0xffffff80, vcc_lo
	s_mov_b32 vcc_lo, s4
	v_cmp_ngt_f64_e64 s4, 0xc090cc00, v[13:14]
	v_fma_f64 v[23:24], -v[27:28], v[38:39], v[34:35]
	v_ldexp_f64 v[19:20], v[19:20], v25
	v_ldexp_f64 v[21:22], v[21:22], v29
	v_div_fmas_f64 v[23:24], v[23:24], v[32:33], v[38:39]
	v_cmp_nlt_f64_e32 vcc_lo, 0x40900000, v[13:14]
	v_cndmask_b32_e64 v2, v20, v2, s5
	v_cndmask_b32_e64 v1, v19, v1, s5
	v_add_f64 v[1:2], v[1:2], v[1:2]
	v_div_fixup_f64 v[13:14], v[23:24], v[17:18], v[15:16]
	v_cndmask_b32_e32 v20, 0x7ff00000, v22, vcc_lo
	s_and_b32 vcc_lo, s4, vcc_lo
	v_cndmask_b32_e32 v15, 0, v21, vcc_lo
	v_cndmask_b32_e64 v16, 0, v20, s4
	s_mov_b32 s4, 0x50429b6d
	s_mov_b32 s5, 0x3fe20dd7
	v_mul_f64 v[1:2], v[1:2], v[15:16]
	v_mul_f64 v[13:14], v[13:14], s[4:5]
	s_mov_b32 s4, 0xfd0a823a
	s_mov_b32 s5, 0x4020a402
	v_div_scale_f64 v[15:16], null, v[1:2], v[1:2], v[13:14]
	v_rcp_f64_e32 v[17:18], v[15:16]
	v_fma_f64 v[19:20], -v[15:16], v[17:18], 1.0
	v_fma_f64 v[17:18], v[17:18], v[19:20], v[17:18]
	v_fma_f64 v[19:20], -v[15:16], v[17:18], 1.0
	v_fma_f64 v[17:18], v[17:18], v[19:20], v[17:18]
	v_div_scale_f64 v[19:20], vcc_lo, v[13:14], v[1:2], v[13:14]
	v_mul_f64 v[21:22], v[19:20], v[17:18]
	v_fma_f64 v[15:16], -v[15:16], v[21:22], v[19:20]
	v_div_fmas_f64 v[15:16], v[15:16], v[17:18], v[21:22]
	v_cmp_nlt_f64_e32 vcc_lo, s[4:5], v[9:10]
	s_andn2_b32 s4, s15, exec_lo
	v_div_fixup_f64 v[1:2], v[15:16], v[1:2], v[13:14]
	s_and_b32 s5, vcc_lo, exec_lo
	s_or_b32 s4, s4, s5
.LBB5_6:
	s_or_b32 exec_lo, exec_lo, s18
	s_and_saveexec_b32 s5, s4
	s_cbranch_execz .LBB5_10
; %bb.7:
	v_mul_f64 v[13:14], v[9:10], v[9:10]
	v_mov_b32_e32 v19, 0
	v_mov_b32_e32 v21, 0
	;; [unrolled: 1-line block ×6, first 2 shown]
	s_mov_b32 s18, 0
	v_mul_f64 v[15:16], v[9:10], v[13:14]
	v_mov_b32_e32 v13, 0
	v_mov_b32_e32 v14, 0x3ff00000
.LBB5_8:                                ; =>This Inner Loop Header: Depth=1
	v_mul_f64 v[19:20], v[15:16], v[19:20]
	v_add_f64 v[21:22], v[21:22], 1.0
	v_mul_f64 v[9:10], v[15:16], v[9:10]
	v_div_scale_f64 v[23:24], null, v[21:22], v[21:22], v[19:20]
	v_div_scale_f64 v[29:30], vcc_lo, v[19:20], v[21:22], v[19:20]
	v_rcp_f64_e32 v[25:26], v[23:24]
	v_fma_f64 v[27:28], -v[23:24], v[25:26], 1.0
	v_fma_f64 v[25:26], v[25:26], v[27:28], v[25:26]
	v_fma_f64 v[27:28], -v[23:24], v[25:26], 1.0
	v_fma_f64 v[25:26], v[25:26], v[27:28], v[25:26]
	v_mul_f64 v[27:28], v[29:30], v[25:26]
	v_fma_f64 v[23:24], -v[23:24], v[27:28], v[29:30]
	v_div_fmas_f64 v[23:24], v[23:24], v[25:26], v[27:28]
	v_add_f64 v[25:26], v[21:22], 1.0
	v_div_fixup_f64 v[19:20], v[23:24], v[21:22], v[19:20]
	v_div_scale_f64 v[21:22], null, v[25:26], v[25:26], v[9:10]
	v_div_scale_f64 v[36:37], vcc_lo, v[9:10], v[25:26], v[9:10]
	v_div_scale_f64 v[23:24], null, v[25:26], v[25:26], v[19:20]
	v_rcp_f64_e32 v[27:28], v[21:22]
	v_rcp_f64_e32 v[29:30], v[23:24]
	v_fma_f64 v[32:33], -v[21:22], v[27:28], 1.0
	v_fma_f64 v[34:35], -v[23:24], v[29:30], 1.0
	v_fma_f64 v[27:28], v[27:28], v[32:33], v[27:28]
	v_fma_f64 v[29:30], v[29:30], v[34:35], v[29:30]
	v_fma_f64 v[32:33], -v[21:22], v[27:28], 1.0
	v_fma_f64 v[34:35], -v[23:24], v[29:30], 1.0
	v_fma_f64 v[27:28], v[27:28], v[32:33], v[27:28]
	v_div_scale_f64 v[32:33], s4, v[19:20], v[25:26], v[19:20]
	v_fma_f64 v[29:30], v[29:30], v[34:35], v[29:30]
	v_mul_f64 v[34:35], v[36:37], v[27:28]
	v_mul_f64 v[38:39], v[32:33], v[29:30]
	v_fma_f64 v[21:22], -v[21:22], v[34:35], v[36:37]
	v_fma_f64 v[23:24], -v[23:24], v[38:39], v[32:33]
	v_div_fmas_f64 v[27:28], v[21:22], v[27:28], v[34:35]
	s_mov_b32 vcc_lo, s4
	v_div_fmas_f64 v[21:22], v[23:24], v[29:30], v[38:39]
	v_div_fixup_f64 v[9:10], v[27:28], v[25:26], v[9:10]
	v_div_fixup_f64 v[19:20], v[21:22], v[25:26], v[19:20]
	v_add_f64 v[21:22], v[25:26], 1.0
	v_add_f64 v[13:14], v[13:14], v[19:20]
	v_div_scale_f64 v[23:24], null, v[21:22], v[21:22], v[9:10]
	v_div_scale_f64 v[36:37], vcc_lo, v[9:10], v[21:22], v[9:10]
	v_div_scale_f64 v[25:26], null, v[13:14], v[13:14], v[19:20]
	v_rcp_f64_e32 v[27:28], v[23:24]
	v_rcp_f64_e32 v[29:30], v[25:26]
	v_fma_f64 v[32:33], -v[23:24], v[27:28], 1.0
	v_fma_f64 v[34:35], -v[25:26], v[29:30], 1.0
	v_fma_f64 v[27:28], v[27:28], v[32:33], v[27:28]
	v_fma_f64 v[29:30], v[29:30], v[34:35], v[29:30]
	v_fma_f64 v[32:33], -v[23:24], v[27:28], 1.0
	v_fma_f64 v[34:35], -v[25:26], v[29:30], 1.0
	v_fma_f64 v[27:28], v[27:28], v[32:33], v[27:28]
	v_div_scale_f64 v[32:33], s4, v[19:20], v[13:14], v[19:20]
	v_fma_f64 v[29:30], v[29:30], v[34:35], v[29:30]
	v_mul_f64 v[34:35], v[36:37], v[27:28]
	v_mul_f64 v[38:39], v[32:33], v[29:30]
	v_fma_f64 v[23:24], -v[23:24], v[34:35], v[36:37]
	v_fma_f64 v[25:26], -v[25:26], v[38:39], v[32:33]
	v_div_fmas_f64 v[23:24], v[23:24], v[27:28], v[34:35]
	s_mov_b32 vcc_lo, s4
	v_div_fmas_f64 v[25:26], v[25:26], v[29:30], v[38:39]
	v_div_fixup_f64 v[9:10], v[23:24], v[21:22], v[9:10]
	v_div_fixup_f64 v[25:26], v[25:26], v[13:14], v[19:20]
	v_add_f64 v[17:18], v[17:18], v[9:10]
	v_cmp_nlt_f64_e64 s4, 0x3cb00000, |v[25:26]|
	s_or_b32 s18, s4, s18
	s_andn2_b32 exec_lo, exec_lo, s18
	s_cbranch_execnz .LBB5_8
; %bb.9:
	s_or_b32 exec_lo, exec_lo, s18
	s_mov_b32 s18, 0x42b70f8b
	s_mov_b32 s19, 0xbfd0907f
	v_mul_f64 v[9:10], v[17:18], s[18:19]
	s_mov_b32 s18, 0x962715b8
	s_mov_b32 s19, 0x3fd6b8c7
	v_fma_f64 v[9:10], v[13:14], s[18:19], v[9:10]
	v_cndmask_b32_e64 v2, v2, v10, s15
	v_cndmask_b32_e64 v1, v1, v9, s15
.LBB5_10:
	s_or_b32 exec_lo, exec_lo, s5
.LBB5_11:
	s_andn2_saveexec_b32 s18, s14
	s_cbranch_execz .LBB5_23
; %bb.12:
	v_cmp_lt_f64_e32 vcc_lo, 0x90000000, v[9:10]
	s_mov_b32 s5, 0x3fe921fb
	s_mov_b32 s4, 0x54442d18
                                        ; implicit-def: $vgpr32
	v_cndmask_b32_e64 v1, 0, 0x100, vcc_lo
	v_ldexp_f64 v[1:2], -v[9:10], v1
	v_mul_f64 v[9:10], v[9:10], -2.0
	v_rsq_f64_e32 v[13:14], v[1:2]
	v_mul_f64 v[15:16], v[1:2], v[13:14]
	v_mul_f64 v[13:14], v[13:14], 0.5
	v_fma_f64 v[17:18], -v[13:14], v[15:16], 0.5
	v_fma_f64 v[15:16], v[15:16], v[17:18], v[15:16]
	v_fma_f64 v[13:14], v[13:14], v[17:18], v[13:14]
	v_fma_f64 v[17:18], -v[15:16], v[15:16], v[1:2]
	v_fma_f64 v[15:16], v[17:18], v[13:14], v[15:16]
	v_fma_f64 v[17:18], -v[15:16], v[15:16], v[1:2]
	v_fma_f64 v[13:14], v[17:18], v[13:14], v[15:16]
	v_cndmask_b32_e64 v15, 0, 0xffffff80, vcc_lo
	v_cmp_class_f64_e64 vcc_lo, v[1:2], 0x260
	v_ldexp_f64 v[13:14], v[13:14], v15
	v_cndmask_b32_e32 v20, v14, v2, vcc_lo
	v_cndmask_b32_e32 v19, v13, v1, vcc_lo
	v_mul_f64 v[1:2], v[9:10], v[19:20]
	v_div_scale_f64 v[9:10], null, 0x40080000, 0x40080000, v[1:2]
	v_div_scale_f64 v[17:18], vcc_lo, v[1:2], 0x40080000, v[1:2]
	v_rcp_f64_e32 v[13:14], v[9:10]
	v_fma_f64 v[15:16], -v[9:10], v[13:14], 1.0
	v_fma_f64 v[13:14], v[13:14], v[15:16], v[13:14]
	v_fma_f64 v[15:16], -v[9:10], v[13:14], 1.0
	v_fma_f64 v[13:14], v[13:14], v[15:16], v[13:14]
	v_mul_f64 v[15:16], v[17:18], v[13:14]
	v_fma_f64 v[9:10], -v[9:10], v[15:16], v[17:18]
	v_div_fmas_f64 v[9:10], v[9:10], v[13:14], v[15:16]
                                        ; implicit-def: $vgpr13_vgpr14
	v_div_fixup_f64 v[21:22], v[9:10], 0x40080000, v[1:2]
                                        ; implicit-def: $vgpr9_vgpr10
	v_add_f64 v[1:2], v[21:22], s[4:5]
	v_cmp_ngt_f64_e64 s14, 0x41d00000, |v[1:2]|
	v_trig_preop_f64 v[27:28], |v[1:2]|, 0
	v_trig_preop_f64 v[25:26], |v[1:2]|, 1
	v_ldexp_f64 v[29:30], |v[1:2]|, 0xffffff80
	v_trig_preop_f64 v[23:24], |v[1:2]|, 2
	v_and_b32_e32 v34, 0x7fffffff, v2
	s_and_saveexec_b32 s5, s14
	s_xor_b32 s15, exec_lo, s5
	s_cbranch_execz .LBB5_16
; %bb.13:
	v_cmp_le_f64_e64 vcc_lo, 0x7b000000, |v[1:2]|
	v_mov_b32_e32 v45, 0
	s_mov_b32 s5, 0x3ff921fb
	s_mov_b32 s20, 0x33145c07
	;; [unrolled: 1-line block ×3, first 2 shown]
	v_cndmask_b32_e32 v10, v34, v30, vcc_lo
	v_cndmask_b32_e32 v9, v1, v29, vcc_lo
	v_mul_f64 v[13:14], v[27:28], v[9:10]
	v_mul_f64 v[15:16], v[25:26], v[9:10]
	;; [unrolled: 1-line block ×3, first 2 shown]
	v_fma_f64 v[17:18], v[27:28], v[9:10], -v[13:14]
	v_fma_f64 v[43:44], v[25:26], v[9:10], -v[15:16]
	;; [unrolled: 1-line block ×3, first 2 shown]
	v_add_f64 v[32:33], v[15:16], v[17:18]
	v_add_f64 v[35:36], v[32:33], -v[15:16]
	v_add_f64 v[39:40], v[13:14], v[32:33]
	v_add_f64 v[37:38], v[32:33], -v[35:36]
	v_add_f64 v[17:18], v[17:18], -v[35:36]
	v_ldexp_f64 v[35:36], v[39:40], -2
	v_add_f64 v[13:14], v[39:40], -v[13:14]
	v_add_f64 v[15:16], v[15:16], -v[37:38]
	v_add_f64 v[37:38], v[41:42], v[43:44]
	v_cmp_neq_f64_e64 vcc_lo, 0x7ff00000, |v[35:36]|
	v_add_f64 v[13:14], v[32:33], -v[13:14]
	v_add_f64 v[15:16], v[17:18], v[15:16]
	v_fract_f64_e32 v[17:18], v[35:36]
	v_add_f64 v[32:33], v[37:38], v[15:16]
	v_ldexp_f64 v[17:18], v[17:18], 2
	v_add_f64 v[35:36], v[13:14], v[32:33]
	v_cndmask_b32_e32 v18, 0, v18, vcc_lo
	v_cndmask_b32_e32 v17, 0, v17, vcc_lo
	v_add_f64 v[39:40], v[35:36], v[17:18]
	v_add_f64 v[13:14], v[35:36], -v[13:14]
	v_cmp_gt_f64_e32 vcc_lo, 0, v[39:40]
	v_add_f64 v[39:40], v[37:38], -v[41:42]
	v_add_f64 v[13:14], v[32:33], -v[13:14]
	v_cndmask_b32_e64 v46, 0, 0x40100000, vcc_lo
	v_add_f64 v[50:51], v[37:38], -v[39:40]
	v_add_f64 v[39:40], v[43:44], -v[39:40]
	v_add_f64 v[17:18], v[17:18], v[45:46]
	v_add_f64 v[46:47], v[32:33], -v[37:38]
	v_add_f64 v[43:44], v[41:42], -v[50:51]
	v_add_f64 v[48:49], v[35:36], v[17:18]
	;; [unrolled: 3-line block ×3, first 2 shown]
	v_cvt_i32_f64_e32 v48, v[48:49]
	v_add_f64 v[37:38], v[37:38], -v[52:53]
	v_cvt_f64_i32_e32 v[46:47], v48
	v_add_f64 v[15:16], v[15:16], v[37:38]
	v_add_f64 v[17:18], v[17:18], -v[46:47]
	v_add_f64 v[15:16], v[39:40], v[15:16]
	v_add_f64 v[37:38], v[35:36], v[17:18]
	;; [unrolled: 1-line block ×3, first 2 shown]
	v_add_f64 v[15:16], v[37:38], -v[17:18]
	v_cmp_le_f64_e32 vcc_lo, 0.5, v[37:38]
	v_add_f64 v[9:10], v[13:14], v[9:10]
	v_add_f64 v[13:14], v[35:36], -v[15:16]
	v_cndmask_b32_e64 v46, 0, 0x3ff00000, vcc_lo
	v_add_co_ci_u32_e64 v32, null, 0, v48, vcc_lo
	v_add_f64 v[9:10], v[9:10], v[13:14]
	v_add_f64 v[13:14], v[37:38], -v[45:46]
	v_add_f64 v[15:16], v[13:14], v[9:10]
	v_mul_f64 v[17:18], v[15:16], s[4:5]
	v_add_f64 v[13:14], v[15:16], -v[13:14]
	v_fma_f64 v[35:36], v[15:16], s[4:5], -v[17:18]
	v_add_f64 v[9:10], v[9:10], -v[13:14]
	v_fma_f64 v[13:14], v[15:16], s[20:21], v[35:36]
	v_fma_f64 v[13:14], v[9:10], s[4:5], v[13:14]
	v_add_f64 v[9:10], v[17:18], v[13:14]
	v_add_f64 v[15:16], v[9:10], -v[17:18]
	v_add_f64 v[13:14], v[13:14], -v[15:16]
	s_andn2_saveexec_b32 s4, s15
	s_cbranch_execz .LBB5_18
	s_branch .LBB5_17
.LBB5_14:
	s_and_b32 vcc_lo, exec_lo, s5
	s_cbranch_vccz .LBB5_92
; %bb.15:
	v_mov_b32_e32 v31, v0
	v_mov_b32_e32 v0, s8
	;; [unrolled: 1-line block ×6, first 2 shown]
	s_getpc_b64 s[4:5]
	s_add_u32 s4, s4, _ZN2at6native25elementwise_kernel_helperILb0EZZZNS0_12_GLOBAL__N_119airy_ai_kernel_cudaERNS_18TensorIteratorBaseEENKUlvE_clEvENKUlvE_clEvEUldE_NS0_6memory8policies11unroll_baseILi256ESt5arrayIPcLm2EE23TrivialOffsetCalculatorILi1EjESF_NS8_15LoadWithoutCastENS8_16StoreWithoutCastELi4ELi1EEEEEvT0_T1_@rel32@lo+4
	s_addc_u32 s5, s5, _ZN2at6native25elementwise_kernel_helperILb0EZZZNS0_12_GLOBAL__N_119airy_ai_kernel_cudaERNS_18TensorIteratorBaseEENKUlvE_clEvENKUlvE_clEvEUldE_NS0_6memory8policies11unroll_baseILi256ESt5arrayIPcLm2EE23TrivialOffsetCalculatorILi1EjESF_NS8_15LoadWithoutCastENS8_16StoreWithoutCastELi4ELi1EEEEEvT0_T1_@rel32@hi+12
	s_mov_b32 s12, s6
	s_swappc_b64 s[30:31], s[4:5]
	s_endpgm
.LBB5_16:
	s_andn2_saveexec_b32 s4, s15
	s_cbranch_execz .LBB5_18
.LBB5_17:
	s_mov_b32 s20, 0x6dc9c883
	s_mov_b32 s21, 0x3fe45f30
	;; [unrolled: 1-line block ×3, first 2 shown]
	v_mul_f64 v[9:10], |v[1:2]|, s[20:21]
	s_mov_b32 s20, 0x54442d18
	s_mov_b32 s21, 0xbff921fb
	s_mov_b32 s22, 0x33145c00
	v_rndne_f64_e32 v[15:16], v[9:10]
	v_fma_f64 v[9:10], v[15:16], s[20:21], |v[1:2]|
	v_mul_f64 v[13:14], v[15:16], s[22:23]
	s_mov_b32 s20, 0x252049c0
	s_mov_b32 s21, 0xb97b839a
	v_fma_f64 v[32:33], v[15:16], s[22:23], v[9:10]
	v_add_f64 v[17:18], v[9:10], v[13:14]
	s_mov_b32 s23, 0x3c91a626
	v_add_f64 v[9:10], v[9:10], -v[17:18]
	v_add_f64 v[17:18], v[17:18], -v[32:33]
	v_add_f64 v[9:10], v[9:10], v[13:14]
	v_fma_f64 v[13:14], v[15:16], s[22:23], v[13:14]
	v_add_f64 v[9:10], v[17:18], v[9:10]
	v_add_f64 v[9:10], v[9:10], -v[13:14]
	v_fma_f64 v[13:14], v[15:16], s[20:21], v[9:10]
	v_add_f64 v[9:10], v[32:33], v[13:14]
	v_add_f64 v[17:18], v[9:10], -v[32:33]
	v_cvt_i32_f64_e32 v32, v[15:16]
	v_add_f64 v[13:14], v[13:14], -v[17:18]
.LBB5_18:
	s_or_b32 exec_lo, exec_lo, s4
                                        ; implicit-def: $vgpr33
                                        ; implicit-def: $vgpr15_vgpr16
                                        ; implicit-def: $vgpr17_vgpr18
	s_and_saveexec_b32 s4, s14
	s_xor_b32 s4, exec_lo, s4
	s_cbranch_execz .LBB5_20
; %bb.19:
	v_cmp_le_f64_e64 vcc_lo, 0x7b000000, |v[1:2]|
	v_mov_b32_e32 v43, 0
	s_mov_b32 s14, 0x54442d18
	s_mov_b32 s15, 0x3ff921fb
	;; [unrolled: 1-line block ×4, first 2 shown]
	v_cndmask_b32_e32 v16, v34, v30, vcc_lo
	v_cndmask_b32_e32 v15, v1, v29, vcc_lo
	v_mul_f64 v[17:18], v[27:28], v[15:16]
	v_mul_f64 v[29:30], v[25:26], v[15:16]
	;; [unrolled: 1-line block ×3, first 2 shown]
	v_fma_f64 v[27:28], v[27:28], v[15:16], -v[17:18]
	v_fma_f64 v[25:26], v[25:26], v[15:16], -v[29:30]
	;; [unrolled: 1-line block ×3, first 2 shown]
	v_add_f64 v[33:34], v[29:30], v[27:28]
	v_add_f64 v[35:36], v[33:34], -v[29:30]
	v_add_f64 v[39:40], v[17:18], v[33:34]
	v_add_f64 v[37:38], v[33:34], -v[35:36]
	v_add_f64 v[27:28], v[27:28], -v[35:36]
	v_ldexp_f64 v[35:36], v[39:40], -2
	v_add_f64 v[17:18], v[39:40], -v[17:18]
	v_add_f64 v[29:30], v[29:30], -v[37:38]
	v_add_f64 v[37:38], v[41:42], v[25:26]
	v_cmp_neq_f64_e64 vcc_lo, 0x7ff00000, |v[35:36]|
	v_add_f64 v[17:18], v[33:34], -v[17:18]
	v_add_f64 v[27:28], v[27:28], v[29:30]
	v_fract_f64_e32 v[29:30], v[35:36]
	v_add_f64 v[33:34], v[37:38], v[27:28]
	v_ldexp_f64 v[29:30], v[29:30], 2
	v_add_f64 v[35:36], v[17:18], v[33:34]
	v_cndmask_b32_e32 v30, 0, v30, vcc_lo
	v_cndmask_b32_e32 v29, 0, v29, vcc_lo
	v_add_f64 v[39:40], v[35:36], v[29:30]
	v_add_f64 v[17:18], v[35:36], -v[17:18]
	v_cmp_gt_f64_e32 vcc_lo, 0, v[39:40]
	v_add_f64 v[39:40], v[37:38], -v[41:42]
	v_add_f64 v[17:18], v[33:34], -v[17:18]
	v_cndmask_b32_e64 v44, 0, 0x40100000, vcc_lo
	v_add_f64 v[48:49], v[37:38], -v[39:40]
	v_add_f64 v[25:26], v[25:26], -v[39:40]
	v_add_f64 v[29:30], v[29:30], v[43:44]
	v_add_f64 v[44:45], v[33:34], -v[37:38]
	v_add_f64 v[39:40], v[41:42], -v[48:49]
	v_add_f64 v[46:47], v[35:36], v[29:30]
	;; [unrolled: 3-line block ×3, first 2 shown]
	v_cvt_i32_f64_e32 v46, v[46:47]
	v_add_f64 v[37:38], v[37:38], -v[50:51]
	v_cvt_f64_i32_e32 v[44:45], v46
	v_add_f64 v[27:28], v[27:28], v[37:38]
	v_add_f64 v[29:30], v[29:30], -v[44:45]
	v_add_f64 v[23:24], v[25:26], v[27:28]
	v_add_f64 v[25:26], v[35:36], v[29:30]
	;; [unrolled: 1-line block ×3, first 2 shown]
	v_add_f64 v[23:24], v[25:26], -v[29:30]
	v_cmp_le_f64_e32 vcc_lo, 0.5, v[25:26]
	v_add_f64 v[15:16], v[17:18], v[15:16]
	v_add_f64 v[17:18], v[35:36], -v[23:24]
	v_cndmask_b32_e64 v44, 0, 0x3ff00000, vcc_lo
	v_add_co_ci_u32_e64 v33, null, 0, v46, vcc_lo
	v_add_f64 v[15:16], v[15:16], v[17:18]
	v_add_f64 v[17:18], v[25:26], -v[43:44]
	v_add_f64 v[23:24], v[17:18], v[15:16]
	v_mul_f64 v[25:26], v[23:24], s[14:15]
	v_add_f64 v[17:18], v[23:24], -v[17:18]
	v_fma_f64 v[27:28], v[23:24], s[14:15], -v[25:26]
	v_add_f64 v[15:16], v[15:16], -v[17:18]
	v_fma_f64 v[17:18], v[23:24], s[20:21], v[27:28]
	v_fma_f64 v[17:18], v[15:16], s[14:15], v[17:18]
	v_add_f64 v[15:16], v[25:26], v[17:18]
	v_add_f64 v[23:24], v[15:16], -v[25:26]
	v_add_f64 v[17:18], v[17:18], -v[23:24]
	s_andn2_saveexec_b32 s4, s4
	s_cbranch_execnz .LBB5_21
	s_branch .LBB5_22
.LBB5_20:
	s_andn2_saveexec_b32 s4, s4
	s_cbranch_execz .LBB5_22
.LBB5_21:
	s_mov_b32 s14, 0x6dc9c883
	s_mov_b32 s15, 0x3fe45f30
	s_mov_b32 s21, 0xbc91a626
	v_mul_f64 v[15:16], |v[1:2]|, s[14:15]
	s_mov_b32 s14, 0x54442d18
	s_mov_b32 s15, 0xbff921fb
	;; [unrolled: 1-line block ×3, first 2 shown]
	v_rndne_f64_e32 v[23:24], v[15:16]
	v_fma_f64 v[15:16], v[23:24], s[14:15], |v[1:2]|
	v_mul_f64 v[17:18], v[23:24], s[20:21]
	s_mov_b32 s14, 0x252049c0
	s_mov_b32 s15, 0xb97b839a
	v_cvt_i32_f64_e32 v33, v[23:24]
	v_fma_f64 v[27:28], v[23:24], s[20:21], v[15:16]
	v_add_f64 v[25:26], v[15:16], v[17:18]
	s_mov_b32 s21, 0x3c91a626
	v_add_f64 v[15:16], v[15:16], -v[25:26]
	v_add_f64 v[25:26], v[25:26], -v[27:28]
	v_add_f64 v[15:16], v[15:16], v[17:18]
	v_fma_f64 v[17:18], v[23:24], s[20:21], v[17:18]
	v_add_f64 v[15:16], v[25:26], v[15:16]
	v_add_f64 v[15:16], v[15:16], -v[17:18]
	v_fma_f64 v[17:18], v[23:24], s[14:15], v[15:16]
	v_add_f64 v[15:16], v[27:28], v[17:18]
	v_add_f64 v[25:26], v[15:16], -v[27:28]
	v_add_f64 v[17:18], v[17:18], -v[25:26]
.LBB5_22:
	s_or_b32 exec_lo, exec_lo, s4
	v_div_scale_f64 v[23:24], null, v[21:22], v[21:22], 1.0
	v_div_scale_f64 v[29:30], vcc_lo, 1.0, v[21:22], 1.0
	s_mov_b32 s4, 0xddcfbbde
	s_mov_b32 s5, 0x3f943525
	;; [unrolled: 1-line block ×8, first 2 shown]
	v_mul_f64 v[72:73], v[17:18], 0.5
	v_rcp_f64_e32 v[25:26], v[23:24]
	v_fma_f64 v[27:28], -v[23:24], v[25:26], 1.0
	v_fma_f64 v[25:26], v[25:26], v[27:28], v[25:26]
	v_fma_f64 v[27:28], -v[23:24], v[25:26], 1.0
	v_fma_f64 v[25:26], v[25:26], v[27:28], v[25:26]
	v_mul_f64 v[27:28], v[29:30], v[25:26]
	v_fma_f64 v[23:24], -v[23:24], v[27:28], v[29:30]
	v_div_fmas_f64 v[23:24], v[23:24], v[25:26], v[27:28]
	v_cmp_gt_f64_e32 vcc_lo, 0x10000000, v[19:20]
	v_div_fixup_f64 v[21:22], v[23:24], v[21:22], 1.0
	v_cndmask_b32_e64 v27, 0, 0x100, vcc_lo
	v_ldexp_f64 v[19:20], v[19:20], v27
	v_mul_f64 v[23:24], v[21:22], v[21:22]
	v_rsq_f64_e32 v[34:35], v[19:20]
	v_fma_f64 v[25:26], v[23:24], 0, s[4:5]
	s_mov_b32 s4, 0x6437b7
	s_mov_b32 s5, 0x3fd907d5
	v_mul_f64 v[38:39], v[19:20], v[34:35]
	v_mul_f64 v[34:35], v[34:35], 0.5
	v_fma_f64 v[25:26], v[23:24], v[25:26], s[4:5]
	s_mov_b32 s4, 0xd50ae6fb
	s_mov_b32 s5, 0xbfc0db6c
	v_fma_f64 v[27:28], v[23:24], 0, s[4:5]
	s_mov_b32 s4, 0xf3d56b40
	s_mov_b32 s5, 0x40229e2b
	;; [unrolled: 3-line block ×3, first 2 shown]
	v_fma_f64 v[40:41], -v[34:35], v[38:39], 0.5
	v_fma_f64 v[25:26], v[23:24], v[25:26], s[14:15]
	s_mov_b32 s14, 0x2572edf2
	s_mov_b32 s15, 0x402ab64b
	v_fma_f64 v[36:37], v[23:24], 0, s[14:15]
	v_fma_f64 v[27:28], v[23:24], v[27:28], s[4:5]
	s_mov_b32 s4, 0xc0ef18d4
	s_mov_b32 s5, 0x4033d5d5
	;; [unrolled: 1-line block ×3, first 2 shown]
	v_fma_f64 v[29:30], v[23:24], v[29:30], s[4:5]
	s_mov_b32 s4, 0xc2f79f7d
	s_mov_b32 s5, 0xbfe62e59
	;; [unrolled: 1-line block ×3, first 2 shown]
	v_fma_f64 v[38:39], v[38:39], v[40:41], v[38:39]
	v_fma_f64 v[34:35], v[34:35], v[40:41], v[34:35]
	v_fma_f64 v[25:26], v[23:24], v[25:26], s[20:21]
	s_mov_b32 s20, 0xcea8fe1d
	s_mov_b32 s21, 0x3fd67e69
	v_fma_f64 v[36:37], v[23:24], v[36:37], s[14:15]
	v_fma_f64 v[27:28], v[23:24], v[27:28], s[4:5]
	s_mov_b32 s4, 0x7ea7dc35
	s_mov_b32 s5, 0x402f211b
	;; [unrolled: 1-line block ×3, first 2 shown]
	v_fma_f64 v[29:30], v[23:24], v[29:30], s[4:5]
	s_mov_b32 s4, 0x4bb3f40b
	s_mov_b32 s5, 0xbfd1e7ea
	;; [unrolled: 1-line block ×3, first 2 shown]
	v_fma_f64 v[40:41], -v[38:39], v[38:39], v[19:20]
	v_fma_f64 v[25:26], v[23:24], v[25:26], s[20:21]
	s_mov_b32 s20, 0x21e90978
	s_mov_b32 s21, 0x3fb03a41
	v_fma_f64 v[36:37], v[23:24], v[36:37], s[14:15]
	v_fma_f64 v[27:28], v[23:24], v[27:28], s[4:5]
	s_mov_b32 s4, 0x2b79dbce
	s_mov_b32 s5, 0x4015e84e
	;; [unrolled: 1-line block ×3, first 2 shown]
	v_fma_f64 v[29:30], v[23:24], v[29:30], s[4:5]
	s_mov_b32 s4, 0xf47dbd8a
	s_mov_b32 s5, 0xbfa92f6e
	;; [unrolled: 1-line block ×3, first 2 shown]
	v_fma_f64 v[38:39], v[40:41], v[34:35], v[38:39]
	v_fma_f64 v[25:26], v[23:24], v[25:26], s[20:21]
	s_mov_b32 s20, 0xf12f5043
	s_mov_b32 s21, 0x3f77fe99
	v_fma_f64 v[36:37], v[23:24], v[36:37], s[14:15]
	v_fma_f64 v[27:28], v[23:24], v[27:28], s[4:5]
	s_mov_b32 s4, 0xc195ece3
	s_mov_b32 s5, 0x3fee8992
	;; [unrolled: 1-line block ×3, first 2 shown]
	v_fma_f64 v[29:30], v[23:24], v[29:30], s[4:5]
	s_mov_b32 s4, 0xc8d9e090
	s_mov_b32 s5, 0xbf70a401
	;; [unrolled: 1-line block ×3, first 2 shown]
	v_fma_f64 v[40:41], -v[38:39], v[38:39], v[19:20]
	v_fma_f64 v[25:26], v[23:24], v[25:26], s[20:21]
	s_mov_b32 s20, 0x600e17a2
	s_mov_b32 s21, 0x3f328976
	v_fma_f64 v[36:37], v[23:24], v[36:37], s[14:15]
	v_fma_f64 v[27:28], v[23:24], v[27:28], s[4:5]
	s_mov_b32 s4, 0xed64a9ee
	s_mov_b32 s5, 0x3fb6221d
	;; [unrolled: 1-line block ×3, first 2 shown]
	v_fma_f64 v[29:30], v[23:24], v[29:30], s[4:5]
	s_mov_b32 s4, 0xaf4b009c
	s_mov_b32 s5, 0xbf24e06e
	;; [unrolled: 1-line block ×3, first 2 shown]
	v_fma_f64 v[34:35], v[40:41], v[34:35], v[38:39]
	v_cndmask_b32_e64 v38, 0, 0xffffff80, vcc_lo
	v_cmp_class_f64_e64 vcc_lo, v[19:20], 0x260
	v_mul_f64 v[40:41], v[15:16], v[15:16]
	v_fma_f64 v[25:26], v[23:24], v[25:26], s[20:21]
	s_mov_b32 s20, 0x69f8574e
	s_mov_b32 s21, 0x3edd4f3d
	v_fma_f64 v[36:37], v[23:24], v[36:37], s[14:15]
	v_fma_f64 v[27:28], v[23:24], v[27:28], s[4:5]
	s_mov_b32 s4, 0x6be393bb
	s_mov_b32 s5, 0x3f70e704
	;; [unrolled: 1-line block ×3, first 2 shown]
	v_fma_f64 v[29:30], v[23:24], v[29:30], s[4:5]
	s_mov_b32 s4, 0x1d42366d
	s_mov_b32 s5, 0xbec74a78
	s_mov_b32 s15, 0x3f7208ca
	v_ldexp_f64 v[34:35], v[34:35], v38
	v_mul_f64 v[62:63], v[40:41], 0.5
	v_mul_f64 v[74:75], v[15:16], -v[40:41]
	v_fma_f64 v[25:26], v[23:24], v[25:26], s[20:21]
	s_mov_b32 s20, 0xbbad11c8
	s_mov_b32 s21, 0x3e75ca92
	v_fma_f64 v[36:37], v[23:24], v[36:37], s[14:15]
	v_fma_f64 v[27:28], v[23:24], v[27:28], s[4:5]
	s_mov_b32 s4, 0xd603a5a0
	s_mov_b32 s5, 0x3f1a8b61
	;; [unrolled: 1-line block ×3, first 2 shown]
	v_fma_f64 v[29:30], v[23:24], v[29:30], s[4:5]
	s_mov_b32 s4, 0xaf76e73b
	s_mov_b32 s5, 0x3f13c8d7
	;; [unrolled: 1-line block ×3, first 2 shown]
	v_cndmask_b32_e32 v20, v35, v20, vcc_lo
	v_cndmask_b32_e32 v19, v34, v19, vcc_lo
	v_fma_f64 v[25:26], v[23:24], v[25:26], s[20:21]
	s_mov_b32 s20, 0x7d97ee7a
	s_mov_b32 s21, 0x3df778a4
	v_fma_f64 v[36:37], v[23:24], v[36:37], s[4:5]
	v_fma_f64 v[27:28], v[23:24], v[27:28], s[14:15]
	s_mov_b32 s4, 0xdb0724e8
	s_mov_b32 s5, 0x3eb3a845
	;; [unrolled: 1-line block ×3, first 2 shown]
	v_fma_f64 v[29:30], v[23:24], v[29:30], s[4:5]
	s_mov_b32 s4, 0xb99518a7
	s_mov_b32 s5, 0x3e9e52b9
	;; [unrolled: 1-line block ×3, first 2 shown]
	v_div_scale_f64 v[34:35], null, v[19:20], v[19:20], s[14:15]
	v_fma_f64 v[25:26], v[23:24], v[25:26], s[20:21]
	s_mov_b32 s20, 0xf9a43bb8
	s_mov_b32 s21, 0x3de5e0b2
	v_fma_f64 v[36:37], v[23:24], v[36:37], s[4:5]
	v_mul_f64 v[27:28], v[23:24], v[27:28]
	s_mov_b32 s4, 0x3dd589d4
	s_mov_b32 s5, 0x3e351fc7
	v_fma_f64 v[23:24], v[23:24], v[29:30], s[4:5]
	s_mov_b32 s4, 0xb42fdfa7
	s_mov_b32 s5, 0xbe5ae600
	v_fma_f64 v[50:51], v[40:41], s[20:21], s[4:5]
	v_rcp_f64_e32 v[46:47], v[34:35]
	v_mul_f64 v[21:22], v[21:22], v[25:26]
	v_mul_f64 v[25:26], v[9:10], v[9:10]
	v_div_scale_f64 v[29:30], null, v[36:37], v[36:37], v[27:28]
	v_fma_f64 v[50:51], v[40:41], v[50:51], s[22:23]
	v_fma_f64 v[58:59], -v[34:35], v[46:47], 1.0
	v_div_scale_f64 v[38:39], null, v[23:24], v[23:24], v[21:22]
	v_fma_f64 v[42:43], v[25:26], s[20:21], s[4:5]
	s_mov_b32 s4, 0x9037ab78
	s_mov_b32 s20, 0x46cc5e42
	v_rcp_f64_e32 v[44:45], v[29:30]
	s_mov_b32 s5, 0x3e21eeb6
	s_mov_b32 s21, 0xbda907db
	v_mul_f64 v[54:55], v[25:26], 0.5
	v_fma_f64 v[52:53], v[25:26], s[20:21], s[4:5]
	v_fma_f64 v[64:65], v[40:41], s[20:21], s[4:5]
	s_mov_b32 s4, 0xa17f65f6
	s_mov_b32 s20, 0x19e83e5c
	;; [unrolled: 1-line block ×4, first 2 shown]
	v_fma_f64 v[46:47], v[46:47], v[58:59], v[46:47]
	v_fma_f64 v[50:51], v[40:41], v[50:51], s[20:21]
	v_rcp_f64_e32 v[48:49], v[38:39]
	v_fma_f64 v[42:43], v[25:26], v[42:43], s[22:23]
	v_fma_f64 v[56:57], -v[29:30], v[44:45], 1.0
	v_add_f64 v[66:67], -v[54:55], 1.0
	v_fma_f64 v[52:53], v[25:26], v[52:53], s[4:5]
	v_fma_f64 v[58:59], v[40:41], v[64:65], s[4:5]
	s_mov_b32 s4, 0x11110bb3
	s_mov_b32 s5, 0x3f811111
	v_mul_f64 v[64:65], v[9:10], -v[25:26]
	v_fma_f64 v[76:77], -v[34:35], v[46:47], 1.0
	v_fma_f64 v[50:51], v[40:41], v[50:51], s[4:5]
	v_fma_f64 v[42:43], v[25:26], v[42:43], s[20:21]
	v_fma_f64 v[60:61], -v[38:39], v[48:49], 1.0
	s_mov_b32 s20, 0x19f4ec90
	s_mov_b32 s21, 0x3efa01a0
	v_fma_f64 v[44:45], v[44:45], v[56:57], v[44:45]
	v_add_f64 v[56:57], -v[62:63], 1.0
	v_fma_f64 v[52:53], v[25:26], v[52:53], s[20:21]
	v_add_f64 v[68:69], -v[66:67], 1.0
	v_fma_f64 v[58:59], v[40:41], v[58:59], s[20:21]
	s_mov_b32 s20, 0x16c16967
	s_mov_b32 s21, 0xbf56c16c
	v_fma_f64 v[46:47], v[46:47], v[76:77], v[46:47]
	v_fma_f64 v[50:51], v[74:75], v[50:51], v[72:73]
	v_mul_f64 v[72:73], v[25:26], v[25:26]
	v_fma_f64 v[42:43], v[25:26], v[42:43], s[4:5]
	v_fma_f64 v[48:49], v[48:49], v[60:61], v[48:49]
	v_mul_f64 v[60:61], v[13:14], 0.5
	v_fma_f64 v[70:71], -v[29:30], v[44:45], 1.0
	v_add_f64 v[80:81], -v[56:57], 1.0
	v_fma_f64 v[52:53], v[25:26], v[52:53], s[20:21]
	v_add_f64 v[54:55], v[68:69], -v[54:55]
	v_div_scale_f64 v[68:69], s4, s[14:15], v[19:20], s[14:15]
	v_fma_f64 v[58:59], v[40:41], v[58:59], s[20:21]
	s_mov_b32 s20, 0x55555555
	s_mov_b32 s21, 0x3fa55555
	v_fma_f64 v[50:51], v[40:41], v[50:51], -v[17:18]
	v_fma_f64 v[78:79], -v[38:39], v[48:49], 1.0
	v_fma_f64 v[42:43], v[64:65], v[42:43], v[60:61]
	v_div_scale_f64 v[60:61], vcc_lo, v[27:28], v[36:37], v[27:28]
	v_fma_f64 v[44:45], v[44:45], v[70:71], v[44:45]
	v_div_scale_f64 v[70:71], s5, v[21:22], v[23:24], v[21:22]
	v_add_f64 v[62:63], v[80:81], -v[62:63]
	v_fma_f64 v[52:53], v[25:26], v[52:53], s[20:21]
	v_fma_f64 v[54:55], v[9:10], -v[13:14], v[54:55]
	v_fma_f64 v[58:59], v[40:41], v[58:59], s[20:21]
	v_mul_f64 v[40:41], v[40:41], v[40:41]
	s_mov_b32 s21, 0xbfc55555
	v_fma_f64 v[50:51], v[74:75], s[20:21], v[50:51]
	v_fma_f64 v[48:49], v[48:49], v[78:79], v[48:49]
	v_fma_f64 v[13:14], v[25:26], v[42:43], -v[13:14]
	v_mul_f64 v[42:43], v[68:69], v[46:47]
	v_mul_f64 v[25:26], v[60:61], v[44:45]
	v_fma_f64 v[17:18], v[15:16], -v[17:18], v[62:63]
	v_fma_f64 v[52:53], v[72:73], v[52:53], v[54:55]
	v_add_f64 v[15:16], v[15:16], -v[50:51]
	v_mul_f64 v[76:77], v[70:71], v[48:49]
	v_fma_f64 v[13:14], v[64:65], s[20:21], v[13:14]
	v_fma_f64 v[34:35], -v[34:35], v[42:43], v[68:69]
	v_fma_f64 v[29:30], -v[29:30], v[25:26], v[60:61]
	v_fma_f64 v[17:18], v[40:41], v[58:59], v[17:18]
	v_add_f64 v[40:41], v[66:67], v[52:53]
	v_xor_b32_e32 v16, 0x80000000, v16
	v_fma_f64 v[38:39], -v[38:39], v[76:77], v[70:71]
	v_add_f64 v[9:10], v[9:10], -v[13:14]
	v_div_fmas_f64 v[13:14], v[29:30], v[44:45], v[25:26]
	s_mov_b32 vcc_lo, s4
	v_cmp_class_f64_e64 s4, v[1:2], 0x1f8
	v_div_fmas_f64 v[25:26], v[34:35], v[46:47], v[42:43]
	s_mov_b32 vcc_lo, s5
	v_add_f64 v[17:18], v[56:57], v[17:18]
	v_and_b32_e32 v1, 1, v33
	v_and_b32_e32 v34, 1, v32
	v_cmp_eq_u32_e64 s5, 0, v1
	v_lshlrev_b32_e32 v1, 30, v33
	v_and_b32_e32 v1, 0x80000000, v1
	v_div_fmas_f64 v[29:30], v[38:39], v[48:49], v[76:77]
	v_cmp_eq_u32_e32 vcc_lo, 0, v34
	v_div_fixup_f64 v[13:14], v[13:14], v[36:37], v[27:28]
	v_cndmask_b32_e32 v9, v40, v9, vcc_lo
	v_cndmask_b32_e64 v16, v16, v18, s5
	v_cndmask_b32_e64 v15, v15, v17, s5
	v_xor_b32_e32 v16, v16, v1
	v_cndmask_b32_e64 v15, 0, v15, s4
	v_cndmask_b32_e64 v1, 0, v9, s4
	v_lshlrev_b32_e32 v9, 30, v32
	v_cndmask_b32_e64 v16, 0x7ff80000, v16, s4
	v_xor_b32_e32 v2, v9, v2
	v_div_fixup_f64 v[21:22], v[29:30], v[23:24], v[21:22]
	v_cndmask_b32_e32 v9, v41, v10, vcc_lo
	v_add_f64 v[13:14], v[13:14], 1.0
	v_and_b32_e32 v2, 0x80000000, v2
	v_xor_b32_e32 v2, v9, v2
	v_div_fixup_f64 v[9:10], v[25:26], v[19:20], s[14:15]
	v_cndmask_b32_e64 v2, 0x7ff80000, v2, s4
	v_mul_f64 v[15:16], v[21:22], v[15:16]
	v_fma_f64 v[1:2], v[13:14], v[1:2], -v[15:16]
	v_mul_f64 v[1:2], v[9:10], v[1:2]
.LBB5_23:
	s_or_b32 exec_lo, exec_lo, s18
.LBB5_24:
	s_or_b32 exec_lo, exec_lo, s17
.LBB5_25:
	s_or_b32 exec_lo, exec_lo, s16
	s_mov_b32 s16, exec_lo
	v_cmpx_neq_f64_e64 0x7ff00000, |v[11:12]|
	s_cbranch_execz .LBB5_47
; %bb.26:
	v_mov_b32_e32 v3, 0
	v_mov_b32_e32 v4, 0
	s_mov_b32 s4, 0x872b020c
	s_mov_b32 s5, 0x4059f916
	s_mov_b32 s17, exec_lo
	v_cmpx_nlt_f64_e32 s[4:5], v[11:12]
	s_cbranch_execz .LBB5_46
; %bb.27:
	s_mov_b32 s5, 0xc000b851
	s_mov_b32 s4, 0xeb851eb8
	v_cmp_ngt_f64_e32 vcc_lo, s[4:5], v[11:12]
	s_and_saveexec_b32 s5, vcc_lo
	s_xor_b32 s14, exec_lo, s5
	s_cbranch_execz .LBB5_35
; %bb.28:
	s_mov_b32 s5, 0x4000b851
	v_mov_b32_e32 v3, 0
	v_cmp_nle_f64_e64 s15, s[4:5], v[11:12]
	v_cmp_le_f64_e32 vcc_lo, s[4:5], v[11:12]
	v_mov_b32_e32 v4, 0
	s_mov_b32 s4, s15
	s_and_saveexec_b32 s18, vcc_lo
	s_cbranch_execz .LBB5_30
; %bb.29:
	v_cmp_gt_f64_e32 vcc_lo, 0x10000000, v[11:12]
	s_mov_b32 s4, 0x2537b658
	s_mov_b32 s20, 0x2624d31
	s_mov_b32 s5, 0x3fd62dae
	s_mov_b32 s21, 0x3fe229bc
	v_cndmask_b32_e64 v3, 0, 0x100, vcc_lo
	v_ldexp_f64 v[3:4], v[11:12], v3
	v_rsq_f64_e32 v[9:10], v[3:4]
	v_mul_f64 v[13:14], v[3:4], v[9:10]
	v_mul_f64 v[9:10], v[9:10], 0.5
	v_fma_f64 v[15:16], -v[9:10], v[13:14], 0.5
	v_fma_f64 v[13:14], v[13:14], v[15:16], v[13:14]
	v_fma_f64 v[9:10], v[9:10], v[15:16], v[9:10]
	v_fma_f64 v[15:16], -v[13:14], v[13:14], v[3:4]
	v_fma_f64 v[13:14], v[15:16], v[9:10], v[13:14]
	v_fma_f64 v[15:16], -v[13:14], v[13:14], v[3:4]
	v_fma_f64 v[9:10], v[15:16], v[9:10], v[13:14]
	v_cndmask_b32_e64 v13, 0, 0xffffff80, vcc_lo
	v_cmp_class_f64_e64 vcc_lo, v[3:4], 0x260
	v_ldexp_f64 v[9:10], v[9:10], v13
	v_add_f64 v[13:14], v[11:12], v[11:12]
	v_cndmask_b32_e32 v4, v10, v4, vcc_lo
	v_cndmask_b32_e32 v3, v9, v3, vcc_lo
	v_mul_f64 v[9:10], v[13:14], v[3:4]
	v_div_scale_f64 v[13:14], null, 0x40080000, 0x40080000, v[9:10]
	v_div_scale_f64 v[19:20], vcc_lo, v[9:10], 0x40080000, v[9:10]
	v_rcp_f64_e32 v[15:16], v[13:14]
	v_fma_f64 v[17:18], -v[13:14], v[15:16], 1.0
	v_fma_f64 v[15:16], v[15:16], v[17:18], v[15:16]
	v_fma_f64 v[17:18], -v[13:14], v[15:16], 1.0
	v_fma_f64 v[15:16], v[15:16], v[17:18], v[15:16]
	v_mul_f64 v[17:18], v[19:20], v[15:16]
	v_fma_f64 v[13:14], -v[13:14], v[17:18], v[19:20]
	v_div_fmas_f64 v[13:14], v[13:14], v[15:16], v[17:18]
	v_div_fixup_f64 v[9:10], v[13:14], 0x40080000, v[9:10]
	v_div_scale_f64 v[13:14], null, v[9:10], v[9:10], 1.0
	v_div_scale_f64 v[19:20], vcc_lo, 1.0, v[9:10], 1.0
	v_rcp_f64_e32 v[15:16], v[13:14]
	v_fma_f64 v[17:18], -v[13:14], v[15:16], 1.0
	v_fma_f64 v[15:16], v[15:16], v[17:18], v[15:16]
	v_fma_f64 v[17:18], -v[13:14], v[15:16], 1.0
	v_fma_f64 v[15:16], v[15:16], v[17:18], v[15:16]
	v_mul_f64 v[17:18], v[19:20], v[15:16]
	v_fma_f64 v[13:14], -v[13:14], v[17:18], v[19:20]
	v_div_fmas_f64 v[13:14], v[13:14], v[15:16], v[17:18]
	v_cmp_gt_f64_e32 vcc_lo, 0x10000000, v[3:4]
	v_div_fixup_f64 v[13:14], v[13:14], v[9:10], 1.0
	v_cndmask_b32_e64 v25, 0, 0x100, vcc_lo
	v_ldexp_f64 v[3:4], v[3:4], v25
	v_fma_f64 v[15:16], v[13:14], 0, s[20:21]
	v_fma_f64 v[17:18], v[13:14], 0, s[4:5]
	s_mov_b32 s4, 0x652b82fe
	s_mov_b32 s5, 0x3ff71547
	;; [unrolled: 1-line block ×3, first 2 shown]
	v_mul_f64 v[19:20], v[9:10], s[4:5]
	s_mov_b32 s4, 0x871a9067
	s_mov_b32 s5, 0x402803e3
	;; [unrolled: 1-line block ×3, first 2 shown]
	v_fma_f64 v[15:16], v[13:14], v[15:16], s[20:21]
	v_fma_f64 v[17:18], v[13:14], v[17:18], s[4:5]
	s_mov_b32 s4, 0xde2e1e3
	s_mov_b32 s20, 0xb04d51a0
	;; [unrolled: 1-line block ×3, first 2 shown]
	v_rndne_f64_e32 v[19:20], v[19:20]
	s_mov_b32 s21, 0x405520e3
	v_fma_f64 v[15:16], v[13:14], v[15:16], s[20:21]
	v_fma_f64 v[17:18], v[13:14], v[17:18], s[4:5]
	s_mov_b32 s4, 0xfefa39ef
	s_mov_b32 s5, 0xbfe62e42
	;; [unrolled: 1-line block ×3, first 2 shown]
	v_fma_f64 v[21:22], v[19:20], s[4:5], v[9:10]
	s_mov_b32 s4, 0xee40073c
	s_mov_b32 s5, 0x406502da
	;; [unrolled: 1-line block ×3, first 2 shown]
	v_fma_f64 v[15:16], v[13:14], v[15:16], s[20:21]
	v_fma_f64 v[17:18], v[13:14], v[17:18], s[4:5]
	s_mov_b32 s4, 0x3b39803f
	s_mov_b32 s5, 0xbc7abc9e
	;; [unrolled: 1-line block ×3, first 2 shown]
	v_fma_f64 v[21:22], v[19:20], s[4:5], v[21:22]
	s_mov_b32 s4, 0x5ba1fddf
	s_mov_b32 s5, 0x4063f834
	;; [unrolled: 1-line block ×3, first 2 shown]
	v_fma_f64 v[15:16], v[13:14], v[15:16], s[20:21]
	v_fma_f64 v[17:18], v[13:14], v[17:18], s[4:5]
	s_mov_b32 s4, 0xfca7ab0c
	s_mov_b32 s20, 0x6a5dcb37
	;; [unrolled: 1-line block ×4, first 2 shown]
	v_fma_f64 v[23:24], v[21:22], s[20:21], s[4:5]
	s_mov_b32 s4, 0x4f4cea4f
	s_mov_b32 s20, 0xee91d35f
	s_mov_b32 s5, 0x4051a24f
	s_mov_b32 s21, 0x4051de94
	v_fma_f64 v[15:16], v[13:14], v[15:16], s[20:21]
	v_fma_f64 v[17:18], v[13:14], v[17:18], s[4:5]
	s_mov_b32 s4, 0x623fde64
	s_mov_b32 s5, 0x3ec71dee
	;; [unrolled: 1-line block ×4, first 2 shown]
	v_fma_f64 v[23:24], v[21:22], v[23:24], s[4:5]
	s_mov_b32 s4, 0x5c2a0f4d
	s_mov_b32 s5, 0x402c0d8d
	v_fma_f64 v[15:16], v[13:14], v[15:16], s[20:21]
	v_fma_f64 v[17:18], v[13:14], v[17:18], s[4:5]
	s_mov_b32 s4, 0x7c89e6b0
	s_mov_b32 s5, 0x3efa0199
	v_fma_f64 v[23:24], v[21:22], v[23:24], s[4:5]
	s_mov_b32 s4, 0x14761f6e
	s_mov_b32 s5, 0x3f2a01a0
	v_fma_f64 v[15:16], v[13:14], v[15:16], 1.0
	v_fma_f64 v[13:14], v[13:14], v[17:18], 1.0
	v_rsq_f64_e32 v[17:18], v[3:4]
	v_fma_f64 v[23:24], v[21:22], v[23:24], s[4:5]
	s_mov_b32 s4, 0x1852b7b0
	s_mov_b32 s5, 0x3f56c16c
	v_div_scale_f64 v[25:26], null, v[15:16], v[15:16], v[13:14]
	v_mul_f64 v[27:28], v[3:4], v[17:18]
	v_mul_f64 v[17:18], v[17:18], 0.5
	v_fma_f64 v[23:24], v[21:22], v[23:24], s[4:5]
	s_mov_b32 s4, 0x11122322
	s_mov_b32 s5, 0x3f811111
	v_rcp_f64_e32 v[29:30], v[25:26]
	v_fma_f64 v[32:33], -v[17:18], v[27:28], 0.5
	v_fma_f64 v[23:24], v[21:22], v[23:24], s[4:5]
	s_mov_b32 s4, 0x555502a1
	s_mov_b32 s5, 0x3fa55555
	v_fma_f64 v[34:35], -v[25:26], v[29:30], 1.0
	v_fma_f64 v[27:28], v[27:28], v[32:33], v[27:28]
	v_fma_f64 v[17:18], v[17:18], v[32:33], v[17:18]
	;; [unrolled: 1-line block ×3, first 2 shown]
	s_mov_b32 s4, 0x55555511
	s_mov_b32 s5, 0x3fc55555
	v_fma_f64 v[29:30], v[29:30], v[34:35], v[29:30]
	v_fma_f64 v[32:33], -v[27:28], v[27:28], v[3:4]
	v_fma_f64 v[23:24], v[21:22], v[23:24], s[4:5]
	s_mov_b32 s4, 11
	s_mov_b32 s5, 0x3fe00000
	v_fma_f64 v[34:35], -v[25:26], v[29:30], 1.0
	v_fma_f64 v[27:28], v[32:33], v[17:18], v[27:28]
	v_fma_f64 v[23:24], v[21:22], v[23:24], s[4:5]
	v_div_scale_f64 v[32:33], s4, v[13:14], v[15:16], v[13:14]
	v_cmp_class_f64_e64 s5, v[3:4], 0x260
	v_fma_f64 v[29:30], v[29:30], v[34:35], v[29:30]
	v_fma_f64 v[34:35], -v[27:28], v[27:28], v[3:4]
	v_fma_f64 v[23:24], v[21:22], v[23:24], 1.0
	v_mul_f64 v[36:37], v[32:33], v[29:30]
	v_fma_f64 v[17:18], v[34:35], v[17:18], v[27:28]
	v_cvt_i32_f64_e32 v27, v[19:20]
	v_fma_f64 v[19:20], v[21:22], v[23:24], 1.0
	v_cndmask_b32_e64 v23, 0, 0xffffff80, vcc_lo
	s_mov_b32 vcc_lo, s4
	v_cmp_ngt_f64_e64 s4, 0xc090cc00, v[9:10]
	v_fma_f64 v[21:22], -v[25:26], v[36:37], v[32:33]
	v_ldexp_f64 v[17:18], v[17:18], v23
	v_ldexp_f64 v[19:20], v[19:20], v27
	v_div_fmas_f64 v[21:22], v[21:22], v[29:30], v[36:37]
	v_cmp_nlt_f64_e32 vcc_lo, 0x40900000, v[9:10]
	v_cndmask_b32_e64 v4, v18, v4, s5
	v_cndmask_b32_e64 v3, v17, v3, s5
	v_add_f64 v[3:4], v[3:4], v[3:4]
	v_div_fixup_f64 v[9:10], v[21:22], v[15:16], v[13:14]
	v_cndmask_b32_e32 v18, 0x7ff00000, v20, vcc_lo
	s_and_b32 vcc_lo, s4, vcc_lo
	v_cndmask_b32_e32 v13, 0, v19, vcc_lo
	v_cndmask_b32_e64 v14, 0, v18, s4
	s_mov_b32 s4, 0x50429b6d
	s_mov_b32 s5, 0x3fe20dd7
	v_mul_f64 v[3:4], v[3:4], v[13:14]
	v_mul_f64 v[9:10], v[9:10], s[4:5]
	s_mov_b32 s4, 0xfd0a823a
	s_mov_b32 s5, 0x4020a402
	v_div_scale_f64 v[13:14], null, v[3:4], v[3:4], v[9:10]
	v_rcp_f64_e32 v[15:16], v[13:14]
	v_fma_f64 v[17:18], -v[13:14], v[15:16], 1.0
	v_fma_f64 v[15:16], v[15:16], v[17:18], v[15:16]
	v_fma_f64 v[17:18], -v[13:14], v[15:16], 1.0
	v_fma_f64 v[15:16], v[15:16], v[17:18], v[15:16]
	v_div_scale_f64 v[17:18], vcc_lo, v[9:10], v[3:4], v[9:10]
	v_mul_f64 v[19:20], v[17:18], v[15:16]
	v_fma_f64 v[13:14], -v[13:14], v[19:20], v[17:18]
	v_div_fmas_f64 v[13:14], v[13:14], v[15:16], v[19:20]
	v_cmp_nlt_f64_e32 vcc_lo, s[4:5], v[11:12]
	s_andn2_b32 s4, s15, exec_lo
	v_div_fixup_f64 v[3:4], v[13:14], v[3:4], v[9:10]
	s_and_b32 s5, vcc_lo, exec_lo
	s_or_b32 s4, s4, s5
.LBB5_30:
	s_or_b32 exec_lo, exec_lo, s18
	s_and_saveexec_b32 s5, s4
	s_cbranch_execz .LBB5_34
; %bb.31:
	v_mul_f64 v[9:10], v[11:12], v[11:12]
	v_mov_b32_e32 v17, 0
	v_mov_b32_e32 v19, 0
	;; [unrolled: 1-line block ×6, first 2 shown]
	s_mov_b32 s18, 0
	v_mul_f64 v[13:14], v[11:12], v[9:10]
	v_mov_b32_e32 v9, 0
	v_mov_b32_e32 v10, 0x3ff00000
.LBB5_32:                               ; =>This Inner Loop Header: Depth=1
	v_mul_f64 v[17:18], v[13:14], v[17:18]
	v_add_f64 v[19:20], v[19:20], 1.0
	v_mul_f64 v[11:12], v[13:14], v[11:12]
	v_div_scale_f64 v[21:22], null, v[19:20], v[19:20], v[17:18]
	v_div_scale_f64 v[27:28], vcc_lo, v[17:18], v[19:20], v[17:18]
	v_rcp_f64_e32 v[23:24], v[21:22]
	v_fma_f64 v[25:26], -v[21:22], v[23:24], 1.0
	v_fma_f64 v[23:24], v[23:24], v[25:26], v[23:24]
	v_fma_f64 v[25:26], -v[21:22], v[23:24], 1.0
	v_fma_f64 v[23:24], v[23:24], v[25:26], v[23:24]
	v_mul_f64 v[25:26], v[27:28], v[23:24]
	v_fma_f64 v[21:22], -v[21:22], v[25:26], v[27:28]
	v_div_fmas_f64 v[21:22], v[21:22], v[23:24], v[25:26]
	v_add_f64 v[23:24], v[19:20], 1.0
	v_div_fixup_f64 v[17:18], v[21:22], v[19:20], v[17:18]
	v_div_scale_f64 v[19:20], null, v[23:24], v[23:24], v[11:12]
	v_div_scale_f64 v[34:35], vcc_lo, v[11:12], v[23:24], v[11:12]
	v_div_scale_f64 v[21:22], null, v[23:24], v[23:24], v[17:18]
	v_rcp_f64_e32 v[25:26], v[19:20]
	v_rcp_f64_e32 v[27:28], v[21:22]
	v_fma_f64 v[29:30], -v[19:20], v[25:26], 1.0
	v_fma_f64 v[32:33], -v[21:22], v[27:28], 1.0
	v_fma_f64 v[25:26], v[25:26], v[29:30], v[25:26]
	v_fma_f64 v[27:28], v[27:28], v[32:33], v[27:28]
	v_fma_f64 v[29:30], -v[19:20], v[25:26], 1.0
	v_fma_f64 v[32:33], -v[21:22], v[27:28], 1.0
	v_fma_f64 v[25:26], v[25:26], v[29:30], v[25:26]
	v_div_scale_f64 v[29:30], s4, v[17:18], v[23:24], v[17:18]
	v_fma_f64 v[27:28], v[27:28], v[32:33], v[27:28]
	v_mul_f64 v[32:33], v[34:35], v[25:26]
	v_mul_f64 v[36:37], v[29:30], v[27:28]
	v_fma_f64 v[19:20], -v[19:20], v[32:33], v[34:35]
	v_fma_f64 v[21:22], -v[21:22], v[36:37], v[29:30]
	v_div_fmas_f64 v[25:26], v[19:20], v[25:26], v[32:33]
	s_mov_b32 vcc_lo, s4
	v_div_fmas_f64 v[19:20], v[21:22], v[27:28], v[36:37]
	v_div_fixup_f64 v[11:12], v[25:26], v[23:24], v[11:12]
	v_div_fixup_f64 v[17:18], v[19:20], v[23:24], v[17:18]
	v_add_f64 v[19:20], v[23:24], 1.0
	v_add_f64 v[9:10], v[9:10], v[17:18]
	v_div_scale_f64 v[21:22], null, v[19:20], v[19:20], v[11:12]
	v_div_scale_f64 v[34:35], vcc_lo, v[11:12], v[19:20], v[11:12]
	v_div_scale_f64 v[23:24], null, v[9:10], v[9:10], v[17:18]
	v_rcp_f64_e32 v[25:26], v[21:22]
	v_rcp_f64_e32 v[27:28], v[23:24]
	v_fma_f64 v[29:30], -v[21:22], v[25:26], 1.0
	v_fma_f64 v[32:33], -v[23:24], v[27:28], 1.0
	v_fma_f64 v[25:26], v[25:26], v[29:30], v[25:26]
	v_fma_f64 v[27:28], v[27:28], v[32:33], v[27:28]
	v_fma_f64 v[29:30], -v[21:22], v[25:26], 1.0
	v_fma_f64 v[32:33], -v[23:24], v[27:28], 1.0
	v_fma_f64 v[25:26], v[25:26], v[29:30], v[25:26]
	v_div_scale_f64 v[29:30], s4, v[17:18], v[9:10], v[17:18]
	v_fma_f64 v[27:28], v[27:28], v[32:33], v[27:28]
	v_mul_f64 v[32:33], v[34:35], v[25:26]
	v_mul_f64 v[36:37], v[29:30], v[27:28]
	v_fma_f64 v[21:22], -v[21:22], v[32:33], v[34:35]
	v_fma_f64 v[23:24], -v[23:24], v[36:37], v[29:30]
	v_div_fmas_f64 v[21:22], v[21:22], v[25:26], v[32:33]
	s_mov_b32 vcc_lo, s4
	v_div_fmas_f64 v[23:24], v[23:24], v[27:28], v[36:37]
	v_div_fixup_f64 v[11:12], v[21:22], v[19:20], v[11:12]
	v_div_fixup_f64 v[23:24], v[23:24], v[9:10], v[17:18]
	v_add_f64 v[15:16], v[15:16], v[11:12]
	v_cmp_nlt_f64_e64 s4, 0x3cb00000, |v[23:24]|
	s_or_b32 s18, s4, s18
	s_andn2_b32 exec_lo, exec_lo, s18
	s_cbranch_execnz .LBB5_32
; %bb.33:
	s_or_b32 exec_lo, exec_lo, s18
	s_mov_b32 s18, 0x42b70f8b
	s_mov_b32 s19, 0xbfd0907f
	v_mul_f64 v[11:12], v[15:16], s[18:19]
	s_mov_b32 s18, 0x962715b8
	s_mov_b32 s19, 0x3fd6b8c7
	v_fma_f64 v[9:10], v[9:10], s[18:19], v[11:12]
	v_cndmask_b32_e64 v4, v4, v10, s15
	v_cndmask_b32_e64 v3, v3, v9, s15
.LBB5_34:
	s_or_b32 exec_lo, exec_lo, s5
                                        ; implicit-def: $vgpr11_vgpr12
.LBB5_35:
	s_andn2_saveexec_b32 s18, s14
	s_cbranch_execz .LBB5_45
; %bb.36:
	v_cmp_lt_f64_e32 vcc_lo, 0x90000000, v[11:12]
	s_mov_b32 s5, 0x3fe921fb
	s_mov_b32 s4, 0x54442d18
                                        ; implicit-def: $vgpr29
	v_cndmask_b32_e64 v3, 0, 0x100, vcc_lo
	v_ldexp_f64 v[3:4], -v[11:12], v3
	v_mul_f64 v[11:12], v[11:12], -2.0
	v_rsq_f64_e32 v[9:10], v[3:4]
	v_mul_f64 v[13:14], v[3:4], v[9:10]
	v_mul_f64 v[9:10], v[9:10], 0.5
	v_fma_f64 v[15:16], -v[9:10], v[13:14], 0.5
	v_fma_f64 v[13:14], v[13:14], v[15:16], v[13:14]
	v_fma_f64 v[9:10], v[9:10], v[15:16], v[9:10]
	v_fma_f64 v[15:16], -v[13:14], v[13:14], v[3:4]
	v_fma_f64 v[13:14], v[15:16], v[9:10], v[13:14]
	v_fma_f64 v[15:16], -v[13:14], v[13:14], v[3:4]
	v_fma_f64 v[9:10], v[15:16], v[9:10], v[13:14]
	v_cndmask_b32_e64 v13, 0, 0xffffff80, vcc_lo
	v_cmp_class_f64_e64 vcc_lo, v[3:4], 0x260
	v_ldexp_f64 v[9:10], v[9:10], v13
	v_cndmask_b32_e32 v18, v10, v4, vcc_lo
	v_cndmask_b32_e32 v17, v9, v3, vcc_lo
	v_mul_f64 v[3:4], v[11:12], v[17:18]
	v_div_scale_f64 v[9:10], null, 0x40080000, 0x40080000, v[3:4]
	v_div_scale_f64 v[15:16], vcc_lo, v[3:4], 0x40080000, v[3:4]
	v_rcp_f64_e32 v[11:12], v[9:10]
	v_fma_f64 v[13:14], -v[9:10], v[11:12], 1.0
	v_fma_f64 v[11:12], v[11:12], v[13:14], v[11:12]
	v_fma_f64 v[13:14], -v[9:10], v[11:12], 1.0
	v_fma_f64 v[11:12], v[11:12], v[13:14], v[11:12]
	v_mul_f64 v[13:14], v[15:16], v[11:12]
	v_fma_f64 v[9:10], -v[9:10], v[13:14], v[15:16]
	v_div_fmas_f64 v[9:10], v[9:10], v[11:12], v[13:14]
                                        ; implicit-def: $vgpr11_vgpr12
	v_div_fixup_f64 v[19:20], v[9:10], 0x40080000, v[3:4]
                                        ; implicit-def: $vgpr9_vgpr10
	v_add_f64 v[3:4], v[19:20], s[4:5]
	v_cmp_ngt_f64_e64 s14, 0x41d00000, |v[3:4]|
	v_trig_preop_f64 v[25:26], |v[3:4]|, 0
	v_trig_preop_f64 v[23:24], |v[3:4]|, 1
	v_ldexp_f64 v[27:28], |v[3:4]|, 0xffffff80
	v_trig_preop_f64 v[21:22], |v[3:4]|, 2
	v_and_b32_e32 v32, 0x7fffffff, v4
	s_and_saveexec_b32 s5, s14
	s_xor_b32 s15, exec_lo, s5
	s_cbranch_execz .LBB5_38
; %bb.37:
	v_cmp_le_f64_e64 vcc_lo, 0x7b000000, |v[3:4]|
	v_mov_b32_e32 v43, 0
	s_mov_b32 s5, 0x3ff921fb
	s_mov_b32 s20, 0x33145c07
	;; [unrolled: 1-line block ×3, first 2 shown]
	v_cndmask_b32_e32 v10, v32, v28, vcc_lo
	v_cndmask_b32_e32 v9, v3, v27, vcc_lo
	v_mul_f64 v[11:12], v[25:26], v[9:10]
	v_mul_f64 v[13:14], v[23:24], v[9:10]
	;; [unrolled: 1-line block ×3, first 2 shown]
	v_fma_f64 v[15:16], v[25:26], v[9:10], -v[11:12]
	v_fma_f64 v[41:42], v[23:24], v[9:10], -v[13:14]
	;; [unrolled: 1-line block ×3, first 2 shown]
	v_add_f64 v[29:30], v[13:14], v[15:16]
	v_add_f64 v[33:34], v[29:30], -v[13:14]
	v_add_f64 v[37:38], v[11:12], v[29:30]
	v_add_f64 v[35:36], v[29:30], -v[33:34]
	v_add_f64 v[15:16], v[15:16], -v[33:34]
	v_ldexp_f64 v[33:34], v[37:38], -2
	v_add_f64 v[11:12], v[37:38], -v[11:12]
	v_add_f64 v[13:14], v[13:14], -v[35:36]
	v_add_f64 v[35:36], v[39:40], v[41:42]
	v_cmp_neq_f64_e64 vcc_lo, 0x7ff00000, |v[33:34]|
	v_add_f64 v[11:12], v[29:30], -v[11:12]
	v_add_f64 v[13:14], v[15:16], v[13:14]
	v_fract_f64_e32 v[15:16], v[33:34]
	v_add_f64 v[29:30], v[35:36], v[13:14]
	v_ldexp_f64 v[15:16], v[15:16], 2
	v_add_f64 v[33:34], v[11:12], v[29:30]
	v_cndmask_b32_e32 v16, 0, v16, vcc_lo
	v_cndmask_b32_e32 v15, 0, v15, vcc_lo
	v_add_f64 v[37:38], v[33:34], v[15:16]
	v_add_f64 v[11:12], v[33:34], -v[11:12]
	v_cmp_gt_f64_e32 vcc_lo, 0, v[37:38]
	v_add_f64 v[37:38], v[35:36], -v[39:40]
	v_add_f64 v[11:12], v[29:30], -v[11:12]
	v_cndmask_b32_e64 v44, 0, 0x40100000, vcc_lo
	v_add_f64 v[48:49], v[35:36], -v[37:38]
	v_add_f64 v[37:38], v[41:42], -v[37:38]
	v_add_f64 v[15:16], v[15:16], v[43:44]
	v_add_f64 v[44:45], v[29:30], -v[35:36]
	v_add_f64 v[41:42], v[39:40], -v[48:49]
	v_add_f64 v[46:47], v[33:34], v[15:16]
	;; [unrolled: 3-line block ×3, first 2 shown]
	v_cvt_i32_f64_e32 v46, v[46:47]
	v_add_f64 v[35:36], v[35:36], -v[50:51]
	v_cvt_f64_i32_e32 v[44:45], v46
	v_add_f64 v[13:14], v[13:14], v[35:36]
	v_add_f64 v[15:16], v[15:16], -v[44:45]
	v_add_f64 v[13:14], v[37:38], v[13:14]
	v_add_f64 v[35:36], v[33:34], v[15:16]
	;; [unrolled: 1-line block ×3, first 2 shown]
	v_add_f64 v[13:14], v[35:36], -v[15:16]
	v_cmp_le_f64_e32 vcc_lo, 0.5, v[35:36]
	v_add_f64 v[9:10], v[11:12], v[9:10]
	v_add_f64 v[11:12], v[33:34], -v[13:14]
	v_cndmask_b32_e64 v44, 0, 0x3ff00000, vcc_lo
	v_add_co_ci_u32_e64 v29, null, 0, v46, vcc_lo
	v_add_f64 v[9:10], v[9:10], v[11:12]
	v_add_f64 v[11:12], v[35:36], -v[43:44]
	v_add_f64 v[13:14], v[11:12], v[9:10]
	v_mul_f64 v[15:16], v[13:14], s[4:5]
	v_add_f64 v[11:12], v[13:14], -v[11:12]
	v_fma_f64 v[33:34], v[13:14], s[4:5], -v[15:16]
	v_add_f64 v[9:10], v[9:10], -v[11:12]
	v_fma_f64 v[11:12], v[13:14], s[20:21], v[33:34]
	v_fma_f64 v[11:12], v[9:10], s[4:5], v[11:12]
	v_add_f64 v[9:10], v[15:16], v[11:12]
	v_add_f64 v[13:14], v[9:10], -v[15:16]
	v_add_f64 v[11:12], v[11:12], -v[13:14]
	s_andn2_saveexec_b32 s4, s15
	s_cbranch_execz .LBB5_40
	s_branch .LBB5_39
.LBB5_38:
	s_andn2_saveexec_b32 s4, s15
	s_cbranch_execz .LBB5_40
.LBB5_39:
	s_mov_b32 s20, 0x6dc9c883
	s_mov_b32 s21, 0x3fe45f30
	;; [unrolled: 1-line block ×3, first 2 shown]
	v_mul_f64 v[9:10], |v[3:4]|, s[20:21]
	s_mov_b32 s20, 0x54442d18
	s_mov_b32 s21, 0xbff921fb
	;; [unrolled: 1-line block ×3, first 2 shown]
	v_rndne_f64_e32 v[13:14], v[9:10]
	v_fma_f64 v[9:10], v[13:14], s[20:21], |v[3:4]|
	v_mul_f64 v[11:12], v[13:14], s[22:23]
	s_mov_b32 s20, 0x252049c0
	s_mov_b32 s21, 0xb97b839a
	v_fma_f64 v[29:30], v[13:14], s[22:23], v[9:10]
	v_add_f64 v[15:16], v[9:10], v[11:12]
	s_mov_b32 s23, 0x3c91a626
	v_add_f64 v[9:10], v[9:10], -v[15:16]
	v_add_f64 v[15:16], v[15:16], -v[29:30]
	v_add_f64 v[9:10], v[9:10], v[11:12]
	v_fma_f64 v[11:12], v[13:14], s[22:23], v[11:12]
	v_add_f64 v[9:10], v[15:16], v[9:10]
	v_add_f64 v[9:10], v[9:10], -v[11:12]
	v_fma_f64 v[11:12], v[13:14], s[20:21], v[9:10]
	v_add_f64 v[9:10], v[29:30], v[11:12]
	v_add_f64 v[15:16], v[9:10], -v[29:30]
	v_cvt_i32_f64_e32 v29, v[13:14]
	v_add_f64 v[11:12], v[11:12], -v[15:16]
.LBB5_40:
	s_or_b32 exec_lo, exec_lo, s4
                                        ; implicit-def: $vgpr30
                                        ; implicit-def: $vgpr13_vgpr14
                                        ; implicit-def: $vgpr15_vgpr16
	s_and_saveexec_b32 s4, s14
	s_xor_b32 s4, exec_lo, s4
	s_cbranch_execz .LBB5_42
; %bb.41:
	v_cmp_le_f64_e64 vcc_lo, 0x7b000000, |v[3:4]|
	v_mov_b32_e32 v42, 0
	s_mov_b32 s14, 0x54442d18
	s_mov_b32 s15, 0x3ff921fb
	;; [unrolled: 1-line block ×4, first 2 shown]
	v_cndmask_b32_e32 v14, v32, v28, vcc_lo
	v_cndmask_b32_e32 v13, v3, v27, vcc_lo
	v_mul_f64 v[15:16], v[25:26], v[13:14]
	v_mul_f64 v[27:28], v[23:24], v[13:14]
	;; [unrolled: 1-line block ×3, first 2 shown]
	v_fma_f64 v[25:26], v[25:26], v[13:14], -v[15:16]
	v_fma_f64 v[23:24], v[23:24], v[13:14], -v[27:28]
	;; [unrolled: 1-line block ×3, first 2 shown]
	v_add_f64 v[32:33], v[27:28], v[25:26]
	v_add_f64 v[34:35], v[32:33], -v[27:28]
	v_add_f64 v[38:39], v[15:16], v[32:33]
	v_add_f64 v[36:37], v[32:33], -v[34:35]
	v_add_f64 v[25:26], v[25:26], -v[34:35]
	v_ldexp_f64 v[34:35], v[38:39], -2
	v_add_f64 v[15:16], v[38:39], -v[15:16]
	v_add_f64 v[27:28], v[27:28], -v[36:37]
	v_add_f64 v[36:37], v[40:41], v[23:24]
	v_cmp_neq_f64_e64 vcc_lo, 0x7ff00000, |v[34:35]|
	v_add_f64 v[15:16], v[32:33], -v[15:16]
	v_add_f64 v[25:26], v[25:26], v[27:28]
	v_fract_f64_e32 v[27:28], v[34:35]
	v_add_f64 v[32:33], v[36:37], v[25:26]
	v_ldexp_f64 v[27:28], v[27:28], 2
	v_add_f64 v[34:35], v[15:16], v[32:33]
	v_cndmask_b32_e32 v28, 0, v28, vcc_lo
	v_cndmask_b32_e32 v27, 0, v27, vcc_lo
	v_add_f64 v[38:39], v[34:35], v[27:28]
	v_add_f64 v[15:16], v[34:35], -v[15:16]
	v_cmp_gt_f64_e32 vcc_lo, 0, v[38:39]
	v_add_f64 v[38:39], v[36:37], -v[40:41]
	v_add_f64 v[15:16], v[32:33], -v[15:16]
	v_cndmask_b32_e64 v43, 0, 0x40100000, vcc_lo
	v_add_f64 v[47:48], v[36:37], -v[38:39]
	v_add_f64 v[23:24], v[23:24], -v[38:39]
	v_add_f64 v[27:28], v[27:28], v[42:43]
	v_add_f64 v[43:44], v[32:33], -v[36:37]
	v_add_f64 v[38:39], v[40:41], -v[47:48]
	v_add_f64 v[45:46], v[34:35], v[27:28]
	;; [unrolled: 3-line block ×3, first 2 shown]
	v_cvt_i32_f64_e32 v30, v[45:46]
	v_add_f64 v[36:37], v[36:37], -v[49:50]
	v_cvt_f64_i32_e32 v[43:44], v30
	v_add_f64 v[25:26], v[25:26], v[36:37]
	v_add_f64 v[27:28], v[27:28], -v[43:44]
	v_add_f64 v[21:22], v[23:24], v[25:26]
	v_add_f64 v[23:24], v[34:35], v[27:28]
	;; [unrolled: 1-line block ×3, first 2 shown]
	v_add_f64 v[21:22], v[23:24], -v[27:28]
	v_cmp_le_f64_e32 vcc_lo, 0.5, v[23:24]
	v_add_f64 v[13:14], v[15:16], v[13:14]
	v_add_f64 v[15:16], v[34:35], -v[21:22]
	v_cndmask_b32_e64 v43, 0, 0x3ff00000, vcc_lo
	v_add_co_ci_u32_e64 v30, null, 0, v30, vcc_lo
	v_add_f64 v[13:14], v[13:14], v[15:16]
	v_add_f64 v[15:16], v[23:24], -v[42:43]
	v_add_f64 v[21:22], v[15:16], v[13:14]
	v_mul_f64 v[23:24], v[21:22], s[14:15]
	v_add_f64 v[15:16], v[21:22], -v[15:16]
	v_fma_f64 v[25:26], v[21:22], s[14:15], -v[23:24]
	v_add_f64 v[13:14], v[13:14], -v[15:16]
	v_fma_f64 v[15:16], v[21:22], s[20:21], v[25:26]
	v_fma_f64 v[15:16], v[13:14], s[14:15], v[15:16]
	v_add_f64 v[13:14], v[23:24], v[15:16]
	v_add_f64 v[21:22], v[13:14], -v[23:24]
	v_add_f64 v[15:16], v[15:16], -v[21:22]
	s_andn2_saveexec_b32 s4, s4
	s_cbranch_execnz .LBB5_43
	s_branch .LBB5_44
.LBB5_42:
	s_andn2_saveexec_b32 s4, s4
	s_cbranch_execz .LBB5_44
.LBB5_43:
	s_mov_b32 s14, 0x6dc9c883
	s_mov_b32 s15, 0x3fe45f30
	;; [unrolled: 1-line block ×3, first 2 shown]
	v_mul_f64 v[13:14], |v[3:4]|, s[14:15]
	s_mov_b32 s14, 0x54442d18
	s_mov_b32 s15, 0xbff921fb
	s_mov_b32 s20, 0x33145c00
	v_rndne_f64_e32 v[21:22], v[13:14]
	v_fma_f64 v[13:14], v[21:22], s[14:15], |v[3:4]|
	v_mul_f64 v[15:16], v[21:22], s[20:21]
	s_mov_b32 s14, 0x252049c0
	s_mov_b32 s15, 0xb97b839a
	v_cvt_i32_f64_e32 v30, v[21:22]
	v_fma_f64 v[25:26], v[21:22], s[20:21], v[13:14]
	v_add_f64 v[23:24], v[13:14], v[15:16]
	s_mov_b32 s21, 0x3c91a626
	v_add_f64 v[13:14], v[13:14], -v[23:24]
	v_add_f64 v[23:24], v[23:24], -v[25:26]
	v_add_f64 v[13:14], v[13:14], v[15:16]
	v_fma_f64 v[15:16], v[21:22], s[20:21], v[15:16]
	v_add_f64 v[13:14], v[23:24], v[13:14]
	v_add_f64 v[13:14], v[13:14], -v[15:16]
	v_fma_f64 v[15:16], v[21:22], s[14:15], v[13:14]
	v_add_f64 v[13:14], v[25:26], v[15:16]
	v_add_f64 v[23:24], v[13:14], -v[25:26]
	v_add_f64 v[15:16], v[15:16], -v[23:24]
.LBB5_44:
	s_or_b32 exec_lo, exec_lo, s4
	v_div_scale_f64 v[21:22], null, v[19:20], v[19:20], 1.0
	v_div_scale_f64 v[27:28], vcc_lo, 1.0, v[19:20], 1.0
	s_mov_b32 s4, 0xddcfbbde
	s_mov_b32 s5, 0x3f943525
	s_mov_b32 s14, 0x3a2034eb
	s_mov_b32 s20, 0xf3d56b40
	s_mov_b32 s15, 0x3ff10d83
	s_mov_b32 s21, 0x40229e2b
	s_mov_b32 s22, 0xc0ef18d4
	s_mov_b32 s23, 0x4033d5d5
	v_mul_f64 v[46:47], v[9:10], v[9:10]
	s_mov_b32 s24, 0x9037ab78
	s_mov_b32 s26, 0x46cc5e42
	;; [unrolled: 1-line block ×6, first 2 shown]
	v_rcp_f64_e32 v[23:24], v[21:22]
	v_fma_f64 v[25:26], -v[21:22], v[23:24], 1.0
	v_fma_f64 v[23:24], v[23:24], v[25:26], v[23:24]
	v_fma_f64 v[25:26], -v[21:22], v[23:24], 1.0
	v_fma_f64 v[23:24], v[23:24], v[25:26], v[23:24]
	v_mul_f64 v[25:26], v[27:28], v[23:24]
	v_fma_f64 v[21:22], -v[21:22], v[25:26], v[27:28]
	v_div_fmas_f64 v[21:22], v[21:22], v[23:24], v[25:26]
	v_cmp_gt_f64_e32 vcc_lo, 0x10000000, v[17:18]
	v_div_fixup_f64 v[19:20], v[21:22], v[19:20], 1.0
	v_cndmask_b32_e64 v25, 0, 0x100, vcc_lo
	v_ldexp_f64 v[17:18], v[17:18], v25
	v_mul_f64 v[21:22], v[19:20], v[19:20]
	v_rsq_f64_e32 v[32:33], v[17:18]
	v_fma_f64 v[23:24], v[21:22], 0, s[4:5]
	s_mov_b32 s4, 0x6437b7
	s_mov_b32 s5, 0x3fd907d5
	v_fma_f64 v[27:28], v[21:22], 0, s[20:21]
	s_mov_b32 s20, 0xa0ef1acb
	s_mov_b32 s21, 0x3fee0dac
	v_mul_f64 v[36:37], v[17:18], v[32:33]
	v_mul_f64 v[32:33], v[32:33], 0.5
	v_fma_f64 v[23:24], v[21:22], v[23:24], s[4:5]
	s_mov_b32 s4, 0xd50ae6fb
	s_mov_b32 s5, 0xbfc0db6c
	v_fma_f64 v[27:28], v[21:22], v[27:28], s[22:23]
	v_fma_f64 v[25:26], v[21:22], 0, s[4:5]
	s_mov_b32 s4, 0x98566852
	s_mov_b32 s5, 0xbfe40bee
	;; [unrolled: 1-line block ×4, first 2 shown]
	v_fma_f64 v[38:39], -v[32:33], v[36:37], 0.5
	v_fma_f64 v[23:24], v[21:22], v[23:24], s[14:15]
	s_mov_b32 s14, 0x2572edf2
	s_mov_b32 s15, 0x402ab64b
	v_fma_f64 v[27:28], v[21:22], v[27:28], s[22:23]
	v_fma_f64 v[34:35], v[21:22], 0, s[14:15]
	;; [unrolled: 1-line block ×3, first 2 shown]
	s_mov_b32 s4, 0xc2f79f7d
	s_mov_b32 s14, 0x44787b1a
	;; [unrolled: 1-line block ×6, first 2 shown]
	v_fma_f64 v[36:37], v[36:37], v[38:39], v[36:37]
	v_fma_f64 v[32:33], v[32:33], v[38:39], v[32:33]
	;; [unrolled: 1-line block ×3, first 2 shown]
	s_mov_b32 s20, 0xcea8fe1d
	s_mov_b32 s21, 0x3fd67e69
	v_fma_f64 v[27:28], v[21:22], v[27:28], s[22:23]
	v_fma_f64 v[34:35], v[21:22], v[34:35], s[14:15]
	;; [unrolled: 1-line block ×3, first 2 shown]
	s_mov_b32 s4, 0x4bb3f40b
	s_mov_b32 s14, 0xa3b73410
	;; [unrolled: 1-line block ×6, first 2 shown]
	v_fma_f64 v[38:39], -v[36:37], v[36:37], v[17:18]
	v_fma_f64 v[23:24], v[21:22], v[23:24], s[20:21]
	s_mov_b32 s20, 0x21e90978
	s_mov_b32 s21, 0x3fb03a41
	v_fma_f64 v[27:28], v[21:22], v[27:28], s[22:23]
	v_fma_f64 v[34:35], v[21:22], v[34:35], s[14:15]
	;; [unrolled: 1-line block ×3, first 2 shown]
	s_mov_b32 s4, 0xf47dbd8a
	s_mov_b32 s14, 0x2ac99873
	;; [unrolled: 1-line block ×6, first 2 shown]
	v_fma_f64 v[36:37], v[38:39], v[32:33], v[36:37]
	v_fma_f64 v[23:24], v[21:22], v[23:24], s[20:21]
	s_mov_b32 s20, 0xf12f5043
	s_mov_b32 s21, 0x3f77fe99
	v_fma_f64 v[27:28], v[21:22], v[27:28], s[22:23]
	v_fma_f64 v[34:35], v[21:22], v[34:35], s[14:15]
	;; [unrolled: 1-line block ×3, first 2 shown]
	s_mov_b32 s4, 0xc8d9e090
	s_mov_b32 s14, 0x39de9319
	;; [unrolled: 1-line block ×6, first 2 shown]
	v_fma_f64 v[38:39], -v[36:37], v[36:37], v[17:18]
	v_fma_f64 v[23:24], v[21:22], v[23:24], s[20:21]
	s_mov_b32 s20, 0x600e17a2
	s_mov_b32 s21, 0x3f328976
	v_fma_f64 v[27:28], v[21:22], v[27:28], s[22:23]
	v_fma_f64 v[34:35], v[21:22], v[34:35], s[14:15]
	;; [unrolled: 1-line block ×3, first 2 shown]
	s_mov_b32 s4, 0xaf4b009c
	s_mov_b32 s14, 0xb4045a2b
	;; [unrolled: 1-line block ×6, first 2 shown]
	v_fma_f64 v[32:33], v[38:39], v[32:33], v[36:37]
	v_cndmask_b32_e64 v36, 0, 0xffffff80, vcc_lo
	v_cmp_class_f64_e64 vcc_lo, v[17:18], 0x260
	v_fma_f64 v[23:24], v[21:22], v[23:24], s[20:21]
	s_mov_b32 s20, 0x69f8574e
	s_mov_b32 s21, 0x3edd4f3d
	v_fma_f64 v[27:28], v[21:22], v[27:28], s[22:23]
	v_fma_f64 v[34:35], v[21:22], v[34:35], s[14:15]
	;; [unrolled: 1-line block ×3, first 2 shown]
	s_mov_b32 s4, 0x1d42366d
	s_mov_b32 s14, 0xe03af617
	;; [unrolled: 1-line block ×6, first 2 shown]
	v_ldexp_f64 v[32:33], v[32:33], v36
	v_fma_f64 v[23:24], v[21:22], v[23:24], s[20:21]
	s_mov_b32 s20, 0xbbad11c8
	s_mov_b32 s21, 0x3e75ca92
	v_fma_f64 v[27:28], v[21:22], v[27:28], s[22:23]
	v_fma_f64 v[34:35], v[21:22], v[34:35], s[14:15]
	;; [unrolled: 1-line block ×3, first 2 shown]
	s_mov_b32 s4, 0xaf76e73b
	s_mov_b32 s14, 0xf68ea2d2
	;; [unrolled: 1-line block ×6, first 2 shown]
	v_cndmask_b32_e32 v18, v33, v18, vcc_lo
	v_cndmask_b32_e32 v17, v32, v17, vcc_lo
	v_fma_f64 v[23:24], v[21:22], v[23:24], s[20:21]
	s_mov_b32 s20, 0x7d97ee7a
	s_mov_b32 s21, 0x3df778a4
	v_fma_f64 v[34:35], v[21:22], v[34:35], s[4:5]
	v_fma_f64 v[25:26], v[21:22], v[25:26], s[14:15]
	s_mov_b32 s4, 0xb99518a7
	s_mov_b32 s5, 0x3e9e52b9
	;; [unrolled: 1-line block ×4, first 2 shown]
	v_fma_f64 v[23:24], v[21:22], v[23:24], s[20:21]
	s_mov_b32 s20, 0xf9a43bb8
	s_mov_b32 s21, 0x3de5e0b2
	v_fma_f64 v[34:35], v[21:22], v[34:35], s[4:5]
	v_mul_f64 v[25:26], v[21:22], v[25:26]
	v_fma_f64 v[21:22], v[21:22], v[27:28], s[14:15]
	s_mov_b32 s14, 0x50429b6d
	s_mov_b32 s15, 0x3fe20dd7
	;; [unrolled: 1-line block ×3, first 2 shown]
	v_div_scale_f64 v[32:33], null, v[17:18], v[17:18], s[14:15]
	s_mov_b32 s5, 0xbe5ae600
	v_fma_f64 v[58:59], v[46:47], s[20:21], s[4:5]
	v_mul_f64 v[19:20], v[19:20], v[23:24]
	v_mul_f64 v[23:24], v[13:14], v[13:14]
	v_div_scale_f64 v[27:28], null, v[34:35], v[34:35], v[25:26]
	v_rcp_f64_e32 v[42:43], v[32:33]
	v_div_scale_f64 v[36:37], null, v[21:22], v[21:22], v[19:20]
	v_fma_f64 v[38:39], v[23:24], s[20:21], s[4:5]
	v_mul_f64 v[48:49], v[23:24], 0.5
	v_fma_f64 v[50:51], v[23:24], s[26:27], s[24:25]
	v_rcp_f64_e32 v[40:41], v[27:28]
	s_mov_b32 s4, 0xa17f65f6
	s_mov_b32 s5, 0xbe927e4f
	;; [unrolled: 1-line block ×4, first 2 shown]
	v_mul_f64 v[62:63], v[13:14], -v[23:24]
	v_fma_f64 v[54:55], -v[32:33], v[42:43], 1.0
	v_rcp_f64_e32 v[44:45], v[36:37]
	v_fma_f64 v[38:39], v[23:24], v[38:39], s[22:23]
	v_add_f64 v[60:61], -v[48:49], 1.0
	v_fma_f64 v[50:51], v[23:24], v[50:51], s[4:5]
	v_fma_f64 v[52:53], -v[27:28], v[40:41], 1.0
	v_fma_f64 v[42:43], v[42:43], v[54:55], v[42:43]
	v_mul_f64 v[54:55], v[46:47], 0.5
	v_fma_f64 v[38:39], v[23:24], v[38:39], s[28:29]
	v_fma_f64 v[56:57], -v[36:37], v[44:45], 1.0
	v_add_f64 v[64:65], -v[60:61], 1.0
	v_fma_f64 v[40:41], v[40:41], v[52:53], v[40:41]
	v_fma_f64 v[52:53], v[46:47], s[26:27], s[24:25]
	s_mov_b32 s24, 0x16c16967
	s_mov_b32 s25, 0xbf56c16c
	v_fma_f64 v[68:69], -v[32:33], v[42:43], 1.0
	v_add_f64 v[72:73], -v[54:55], 1.0
	v_fma_f64 v[38:39], v[23:24], v[38:39], s[20:21]
	v_fma_f64 v[44:45], v[44:45], v[56:57], v[44:45]
	;; [unrolled: 1-line block ×3, first 2 shown]
	v_mul_f64 v[58:59], v[15:16], 0.5
	s_mov_b32 s22, 0x19f4ec90
	s_mov_b32 s23, 0x3efa01a0
	v_fma_f64 v[66:67], -v[27:28], v[40:41], 1.0
	v_fma_f64 v[50:51], v[23:24], v[50:51], s[22:23]
	v_fma_f64 v[52:53], v[46:47], v[52:53], s[4:5]
	v_add_f64 v[48:49], v[64:65], -v[48:49]
	v_div_scale_f64 v[64:65], s4, s[14:15], v[17:18], s[14:15]
	v_fma_f64 v[42:43], v[42:43], v[68:69], v[42:43]
	v_mul_f64 v[68:69], v[11:12], 0.5
	v_add_f64 v[74:75], -v[72:73], 1.0
	v_fma_f64 v[70:71], -v[36:37], v[44:45], 1.0
	v_fma_f64 v[56:57], v[46:47], v[56:57], s[28:29]
	v_fma_f64 v[38:39], v[62:63], v[38:39], v[58:59]
	v_div_scale_f64 v[58:59], vcc_lo, v[25:26], v[34:35], v[25:26]
	v_fma_f64 v[40:41], v[40:41], v[66:67], v[40:41]
	v_fma_f64 v[50:51], v[23:24], v[50:51], s[24:25]
	v_div_scale_f64 v[66:67], s5, v[19:20], v[21:22], v[19:20]
	v_fma_f64 v[52:53], v[46:47], v[52:53], s[22:23]
	s_mov_b32 s23, 0xbfc55555
	v_mul_f64 v[76:77], v[64:65], v[42:43]
	v_add_f64 v[54:55], v[74:75], -v[54:55]
	v_fma_f64 v[44:45], v[44:45], v[70:71], v[44:45]
	v_mul_f64 v[70:71], v[9:10], -v[46:47]
	v_fma_f64 v[56:57], v[46:47], v[56:57], s[20:21]
	v_fma_f64 v[38:39], v[23:24], v[38:39], -v[15:16]
	s_mov_b32 s20, 0x55555555
	s_mov_b32 s21, 0x3fa55555
	v_fma_f64 v[15:16], v[13:14], -v[15:16], v[48:49]
	v_fma_f64 v[48:49], v[23:24], v[50:51], s[20:21]
	v_mul_f64 v[23:24], v[23:24], v[23:24]
	v_mul_f64 v[50:51], v[58:59], v[40:41]
	v_fma_f64 v[52:53], v[46:47], v[52:53], s[24:25]
	s_mov_b32 s22, s20
	v_mul_f64 v[78:79], v[66:67], v[44:45]
	v_fma_f64 v[56:57], v[70:71], v[56:57], v[68:69]
	v_fma_f64 v[38:39], v[62:63], s[22:23], v[38:39]
	;; [unrolled: 1-line block ×3, first 2 shown]
	v_fma_f64 v[23:24], -v[27:28], v[50:51], v[58:59]
	v_fma_f64 v[27:28], -v[32:33], v[76:77], v[64:65]
	v_fma_f64 v[48:49], v[46:47], v[52:53], s[20:21]
	v_fma_f64 v[52:53], v[9:10], -v[11:12], v[54:55]
	v_fma_f64 v[32:33], -v[36:37], v[78:79], v[66:67]
	v_mul_f64 v[36:37], v[46:47], v[46:47]
	v_fma_f64 v[11:12], v[46:47], v[56:57], -v[11:12]
	v_add_f64 v[13:14], v[13:14], -v[38:39]
	v_and_b32_e32 v38, 1, v30
	v_add_f64 v[15:16], v[60:61], v[15:16]
	v_div_fmas_f64 v[23:24], v[23:24], v[40:41], v[50:51]
	s_mov_b32 vcc_lo, s4
	v_div_fmas_f64 v[27:28], v[27:28], v[42:43], v[76:77]
	s_mov_b32 vcc_lo, s5
	v_div_fmas_f64 v[32:33], v[32:33], v[44:45], v[78:79]
	v_fma_f64 v[36:37], v[36:37], v[48:49], v[52:53]
	v_fma_f64 v[11:12], v[70:71], s[22:23], v[11:12]
	v_xor_b32_e32 v14, 0x80000000, v14
	v_cmp_eq_u32_e32 vcc_lo, 0, v38
	v_cndmask_b32_e32 v38, v14, v16, vcc_lo
	v_cndmask_b32_e32 v39, v13, v15, vcc_lo
	v_cmp_class_f64_e64 vcc_lo, v[3:4], 0x1f8
	v_div_fixup_f64 v[13:14], v[23:24], v[34:35], v[25:26]
	v_lshlrev_b32_e32 v3, 30, v30
	v_and_b32_e32 v3, 0x80000000, v3
	v_div_fixup_f64 v[15:16], v[32:33], v[21:22], v[19:20]
	v_add_f64 v[19:20], v[72:73], v[36:37]
	v_add_f64 v[9:10], v[9:10], -v[11:12]
	v_xor_b32_e32 v3, v38, v3
	v_and_b32_e32 v21, 1, v29
	v_cmp_eq_u32_e64 s4, 0, v21
	v_cndmask_b32_e32 v11, 0, v39, vcc_lo
	v_cndmask_b32_e32 v12, 0x7ff80000, v3, vcc_lo
	v_lshlrev_b32_e32 v3, 30, v29
	v_add_f64 v[13:14], v[13:14], 1.0
	v_xor_b32_e32 v3, v3, v4
	v_mul_f64 v[11:12], v[15:16], v[11:12]
	v_and_b32_e32 v3, 0x80000000, v3
	v_cndmask_b32_e64 v4, v20, v10, s4
	v_cndmask_b32_e64 v9, v19, v9, s4
	v_xor_b32_e32 v4, v4, v3
	v_cndmask_b32_e32 v3, 0, v9, vcc_lo
	v_div_fixup_f64 v[9:10], v[27:28], v[17:18], s[14:15]
	v_cndmask_b32_e32 v4, 0x7ff80000, v4, vcc_lo
	v_fma_f64 v[3:4], v[13:14], v[3:4], -v[11:12]
	v_mul_f64 v[3:4], v[9:10], v[3:4]
.LBB5_45:
	s_or_b32 exec_lo, exec_lo, s18
.LBB5_46:
	s_or_b32 exec_lo, exec_lo, s17
.LBB5_47:
	s_or_b32 exec_lo, exec_lo, s16
	v_mov_b32_e32 v11, 0
	v_mov_b32_e32 v9, 0
	;; [unrolled: 1-line block ×4, first 2 shown]
	s_mov_b32 s16, exec_lo
	s_waitcnt vmcnt(0)
	v_cmpx_neq_f64_e64 0x7ff00000, |v[5:6]|
	s_cbranch_execz .LBB5_69
; %bb.48:
	v_mov_b32_e32 v9, 0
	v_mov_b32_e32 v10, 0
	s_mov_b32 s4, 0x872b020c
	s_mov_b32 s5, 0x4059f916
	s_mov_b32 s17, exec_lo
	v_cmpx_nlt_f64_e32 s[4:5], v[5:6]
	s_cbranch_execz .LBB5_68
; %bb.49:
	s_mov_b32 s5, 0xc000b851
	s_mov_b32 s4, 0xeb851eb8
	v_cmp_ngt_f64_e32 vcc_lo, s[4:5], v[5:6]
	s_and_saveexec_b32 s5, vcc_lo
	s_xor_b32 s14, exec_lo, s5
	s_cbranch_execz .LBB5_57
; %bb.50:
	s_mov_b32 s5, 0x4000b851
	v_mov_b32_e32 v9, 0
	v_cmp_nle_f64_e64 s15, s[4:5], v[5:6]
	v_cmp_le_f64_e32 vcc_lo, s[4:5], v[5:6]
	v_mov_b32_e32 v10, 0
	s_mov_b32 s4, s15
	s_and_saveexec_b32 s18, vcc_lo
	s_cbranch_execz .LBB5_52
; %bb.51:
	v_cmp_gt_f64_e32 vcc_lo, 0x10000000, v[5:6]
	s_mov_b32 s4, 0x2537b658
	s_mov_b32 s20, 0x2624d31
	;; [unrolled: 1-line block ×4, first 2 shown]
	v_cndmask_b32_e64 v9, 0, 0x100, vcc_lo
	v_ldexp_f64 v[9:10], v[5:6], v9
	v_rsq_f64_e32 v[13:14], v[9:10]
	v_mul_f64 v[15:16], v[9:10], v[13:14]
	v_mul_f64 v[13:14], v[13:14], 0.5
	v_fma_f64 v[17:18], -v[13:14], v[15:16], 0.5
	v_fma_f64 v[15:16], v[15:16], v[17:18], v[15:16]
	v_fma_f64 v[13:14], v[13:14], v[17:18], v[13:14]
	v_fma_f64 v[17:18], -v[15:16], v[15:16], v[9:10]
	v_fma_f64 v[15:16], v[17:18], v[13:14], v[15:16]
	v_fma_f64 v[17:18], -v[15:16], v[15:16], v[9:10]
	v_fma_f64 v[13:14], v[17:18], v[13:14], v[15:16]
	v_cndmask_b32_e64 v15, 0, 0xffffff80, vcc_lo
	v_cmp_class_f64_e64 vcc_lo, v[9:10], 0x260
	v_ldexp_f64 v[13:14], v[13:14], v15
	v_add_f64 v[15:16], v[5:6], v[5:6]
	v_cndmask_b32_e32 v10, v14, v10, vcc_lo
	v_cndmask_b32_e32 v9, v13, v9, vcc_lo
	v_mul_f64 v[13:14], v[15:16], v[9:10]
	v_div_scale_f64 v[15:16], null, 0x40080000, 0x40080000, v[13:14]
	v_div_scale_f64 v[21:22], vcc_lo, v[13:14], 0x40080000, v[13:14]
	v_rcp_f64_e32 v[17:18], v[15:16]
	v_fma_f64 v[19:20], -v[15:16], v[17:18], 1.0
	v_fma_f64 v[17:18], v[17:18], v[19:20], v[17:18]
	v_fma_f64 v[19:20], -v[15:16], v[17:18], 1.0
	v_fma_f64 v[17:18], v[17:18], v[19:20], v[17:18]
	v_mul_f64 v[19:20], v[21:22], v[17:18]
	v_fma_f64 v[15:16], -v[15:16], v[19:20], v[21:22]
	v_div_fmas_f64 v[15:16], v[15:16], v[17:18], v[19:20]
	v_div_fixup_f64 v[13:14], v[15:16], 0x40080000, v[13:14]
	v_div_scale_f64 v[15:16], null, v[13:14], v[13:14], 1.0
	v_div_scale_f64 v[21:22], vcc_lo, 1.0, v[13:14], 1.0
	v_rcp_f64_e32 v[17:18], v[15:16]
	v_fma_f64 v[19:20], -v[15:16], v[17:18], 1.0
	v_fma_f64 v[17:18], v[17:18], v[19:20], v[17:18]
	v_fma_f64 v[19:20], -v[15:16], v[17:18], 1.0
	v_fma_f64 v[17:18], v[17:18], v[19:20], v[17:18]
	v_mul_f64 v[19:20], v[21:22], v[17:18]
	v_fma_f64 v[15:16], -v[15:16], v[19:20], v[21:22]
	v_div_fmas_f64 v[15:16], v[15:16], v[17:18], v[19:20]
	v_cmp_gt_f64_e32 vcc_lo, 0x10000000, v[9:10]
	v_div_fixup_f64 v[15:16], v[15:16], v[13:14], 1.0
	v_cndmask_b32_e64 v27, 0, 0x100, vcc_lo
	v_ldexp_f64 v[9:10], v[9:10], v27
	v_fma_f64 v[17:18], v[15:16], 0, s[20:21]
	v_fma_f64 v[19:20], v[15:16], 0, s[4:5]
	s_mov_b32 s4, 0x652b82fe
	s_mov_b32 s5, 0x3ff71547
	;; [unrolled: 1-line block ×3, first 2 shown]
	v_mul_f64 v[21:22], v[13:14], s[4:5]
	s_mov_b32 s4, 0x871a9067
	s_mov_b32 s5, 0x402803e3
	;; [unrolled: 1-line block ×3, first 2 shown]
	v_fma_f64 v[17:18], v[15:16], v[17:18], s[20:21]
	v_fma_f64 v[19:20], v[15:16], v[19:20], s[4:5]
	s_mov_b32 s4, 0xde2e1e3
	s_mov_b32 s20, 0xb04d51a0
	;; [unrolled: 1-line block ×3, first 2 shown]
	v_rndne_f64_e32 v[21:22], v[21:22]
	s_mov_b32 s21, 0x405520e3
	v_fma_f64 v[17:18], v[15:16], v[17:18], s[20:21]
	v_fma_f64 v[19:20], v[15:16], v[19:20], s[4:5]
	s_mov_b32 s4, 0xfefa39ef
	s_mov_b32 s5, 0xbfe62e42
	;; [unrolled: 1-line block ×3, first 2 shown]
	v_fma_f64 v[23:24], v[21:22], s[4:5], v[13:14]
	s_mov_b32 s4, 0xee40073c
	s_mov_b32 s5, 0x406502da
	;; [unrolled: 1-line block ×3, first 2 shown]
	v_fma_f64 v[17:18], v[15:16], v[17:18], s[20:21]
	v_fma_f64 v[19:20], v[15:16], v[19:20], s[4:5]
	s_mov_b32 s4, 0x3b39803f
	s_mov_b32 s5, 0xbc7abc9e
	;; [unrolled: 1-line block ×3, first 2 shown]
	v_fma_f64 v[23:24], v[21:22], s[4:5], v[23:24]
	s_mov_b32 s4, 0x5ba1fddf
	s_mov_b32 s5, 0x4063f834
	s_mov_b32 s21, 0x40648782
	v_fma_f64 v[17:18], v[15:16], v[17:18], s[20:21]
	v_fma_f64 v[19:20], v[15:16], v[19:20], s[4:5]
	s_mov_b32 s4, 0xfca7ab0c
	s_mov_b32 s20, 0x6a5dcb37
	;; [unrolled: 1-line block ×4, first 2 shown]
	v_fma_f64 v[25:26], v[23:24], s[20:21], s[4:5]
	s_mov_b32 s4, 0x4f4cea4f
	s_mov_b32 s20, 0xee91d35f
	;; [unrolled: 1-line block ×4, first 2 shown]
	v_fma_f64 v[17:18], v[15:16], v[17:18], s[20:21]
	v_fma_f64 v[19:20], v[15:16], v[19:20], s[4:5]
	s_mov_b32 s4, 0x623fde64
	s_mov_b32 s5, 0x3ec71dee
	;; [unrolled: 1-line block ×4, first 2 shown]
	v_fma_f64 v[25:26], v[23:24], v[25:26], s[4:5]
	s_mov_b32 s4, 0x5c2a0f4d
	s_mov_b32 s5, 0x402c0d8d
	v_fma_f64 v[17:18], v[15:16], v[17:18], s[20:21]
	v_fma_f64 v[19:20], v[15:16], v[19:20], s[4:5]
	s_mov_b32 s4, 0x7c89e6b0
	s_mov_b32 s5, 0x3efa0199
	v_fma_f64 v[25:26], v[23:24], v[25:26], s[4:5]
	s_mov_b32 s4, 0x14761f6e
	s_mov_b32 s5, 0x3f2a01a0
	v_fma_f64 v[17:18], v[15:16], v[17:18], 1.0
	v_fma_f64 v[15:16], v[15:16], v[19:20], 1.0
	v_rsq_f64_e32 v[19:20], v[9:10]
	v_fma_f64 v[25:26], v[23:24], v[25:26], s[4:5]
	s_mov_b32 s4, 0x1852b7b0
	s_mov_b32 s5, 0x3f56c16c
	v_div_scale_f64 v[27:28], null, v[17:18], v[17:18], v[15:16]
	v_mul_f64 v[29:30], v[9:10], v[19:20]
	v_mul_f64 v[19:20], v[19:20], 0.5
	v_fma_f64 v[25:26], v[23:24], v[25:26], s[4:5]
	s_mov_b32 s4, 0x11122322
	s_mov_b32 s5, 0x3f811111
	v_rcp_f64_e32 v[32:33], v[27:28]
	v_fma_f64 v[34:35], -v[19:20], v[29:30], 0.5
	v_fma_f64 v[25:26], v[23:24], v[25:26], s[4:5]
	s_mov_b32 s4, 0x555502a1
	s_mov_b32 s5, 0x3fa55555
	v_fma_f64 v[36:37], -v[27:28], v[32:33], 1.0
	v_fma_f64 v[29:30], v[29:30], v[34:35], v[29:30]
	v_fma_f64 v[19:20], v[19:20], v[34:35], v[19:20]
	v_fma_f64 v[25:26], v[23:24], v[25:26], s[4:5]
	s_mov_b32 s4, 0x55555511
	s_mov_b32 s5, 0x3fc55555
	v_fma_f64 v[32:33], v[32:33], v[36:37], v[32:33]
	v_fma_f64 v[34:35], -v[29:30], v[29:30], v[9:10]
	v_fma_f64 v[25:26], v[23:24], v[25:26], s[4:5]
	s_mov_b32 s4, 11
	s_mov_b32 s5, 0x3fe00000
	v_fma_f64 v[36:37], -v[27:28], v[32:33], 1.0
	v_fma_f64 v[29:30], v[34:35], v[19:20], v[29:30]
	v_fma_f64 v[25:26], v[23:24], v[25:26], s[4:5]
	v_div_scale_f64 v[34:35], s4, v[15:16], v[17:18], v[15:16]
	v_cmp_class_f64_e64 s5, v[9:10], 0x260
	v_fma_f64 v[32:33], v[32:33], v[36:37], v[32:33]
	v_fma_f64 v[36:37], -v[29:30], v[29:30], v[9:10]
	v_fma_f64 v[25:26], v[23:24], v[25:26], 1.0
	v_mul_f64 v[38:39], v[34:35], v[32:33]
	v_fma_f64 v[19:20], v[36:37], v[19:20], v[29:30]
	v_cvt_i32_f64_e32 v29, v[21:22]
	v_fma_f64 v[21:22], v[23:24], v[25:26], 1.0
	v_cndmask_b32_e64 v25, 0, 0xffffff80, vcc_lo
	s_mov_b32 vcc_lo, s4
	v_cmp_ngt_f64_e64 s4, 0xc090cc00, v[13:14]
	v_fma_f64 v[23:24], -v[27:28], v[38:39], v[34:35]
	v_ldexp_f64 v[19:20], v[19:20], v25
	v_ldexp_f64 v[21:22], v[21:22], v29
	v_div_fmas_f64 v[23:24], v[23:24], v[32:33], v[38:39]
	v_cmp_nlt_f64_e32 vcc_lo, 0x40900000, v[13:14]
	v_cndmask_b32_e64 v10, v20, v10, s5
	v_cndmask_b32_e64 v9, v19, v9, s5
	v_add_f64 v[9:10], v[9:10], v[9:10]
	v_div_fixup_f64 v[13:14], v[23:24], v[17:18], v[15:16]
	v_cndmask_b32_e32 v20, 0x7ff00000, v22, vcc_lo
	s_and_b32 vcc_lo, s4, vcc_lo
	v_cndmask_b32_e32 v15, 0, v21, vcc_lo
	v_cndmask_b32_e64 v16, 0, v20, s4
	s_mov_b32 s4, 0x50429b6d
	s_mov_b32 s5, 0x3fe20dd7
	v_mul_f64 v[9:10], v[9:10], v[15:16]
	v_mul_f64 v[13:14], v[13:14], s[4:5]
	s_mov_b32 s4, 0xfd0a823a
	s_mov_b32 s5, 0x4020a402
	v_div_scale_f64 v[15:16], null, v[9:10], v[9:10], v[13:14]
	v_rcp_f64_e32 v[17:18], v[15:16]
	v_fma_f64 v[19:20], -v[15:16], v[17:18], 1.0
	v_fma_f64 v[17:18], v[17:18], v[19:20], v[17:18]
	v_fma_f64 v[19:20], -v[15:16], v[17:18], 1.0
	v_fma_f64 v[17:18], v[17:18], v[19:20], v[17:18]
	v_div_scale_f64 v[19:20], vcc_lo, v[13:14], v[9:10], v[13:14]
	v_mul_f64 v[21:22], v[19:20], v[17:18]
	v_fma_f64 v[15:16], -v[15:16], v[21:22], v[19:20]
	v_div_fmas_f64 v[15:16], v[15:16], v[17:18], v[21:22]
	v_cmp_nlt_f64_e32 vcc_lo, s[4:5], v[5:6]
	s_andn2_b32 s4, s15, exec_lo
	v_div_fixup_f64 v[9:10], v[15:16], v[9:10], v[13:14]
	s_and_b32 s5, vcc_lo, exec_lo
	s_or_b32 s4, s4, s5
.LBB5_52:
	s_or_b32 exec_lo, exec_lo, s18
	s_and_saveexec_b32 s5, s4
	s_cbranch_execz .LBB5_56
; %bb.53:
	v_mul_f64 v[13:14], v[5:6], v[5:6]
	v_mov_b32_e32 v19, 0
	v_mov_b32_e32 v21, 0
	;; [unrolled: 1-line block ×6, first 2 shown]
	s_mov_b32 s18, 0
	v_mul_f64 v[15:16], v[5:6], v[13:14]
	v_mov_b32_e32 v13, 0
	v_mov_b32_e32 v14, 0x3ff00000
.LBB5_54:                               ; =>This Inner Loop Header: Depth=1
	v_mul_f64 v[19:20], v[15:16], v[19:20]
	v_add_f64 v[21:22], v[21:22], 1.0
	v_mul_f64 v[5:6], v[15:16], v[5:6]
	v_div_scale_f64 v[23:24], null, v[21:22], v[21:22], v[19:20]
	v_div_scale_f64 v[29:30], vcc_lo, v[19:20], v[21:22], v[19:20]
	v_rcp_f64_e32 v[25:26], v[23:24]
	v_fma_f64 v[27:28], -v[23:24], v[25:26], 1.0
	v_fma_f64 v[25:26], v[25:26], v[27:28], v[25:26]
	v_fma_f64 v[27:28], -v[23:24], v[25:26], 1.0
	v_fma_f64 v[25:26], v[25:26], v[27:28], v[25:26]
	v_mul_f64 v[27:28], v[29:30], v[25:26]
	v_fma_f64 v[23:24], -v[23:24], v[27:28], v[29:30]
	v_div_fmas_f64 v[23:24], v[23:24], v[25:26], v[27:28]
	v_add_f64 v[25:26], v[21:22], 1.0
	v_div_fixup_f64 v[19:20], v[23:24], v[21:22], v[19:20]
	v_div_scale_f64 v[21:22], null, v[25:26], v[25:26], v[5:6]
	v_div_scale_f64 v[36:37], vcc_lo, v[5:6], v[25:26], v[5:6]
	v_div_scale_f64 v[23:24], null, v[25:26], v[25:26], v[19:20]
	v_rcp_f64_e32 v[27:28], v[21:22]
	v_rcp_f64_e32 v[29:30], v[23:24]
	v_fma_f64 v[32:33], -v[21:22], v[27:28], 1.0
	v_fma_f64 v[34:35], -v[23:24], v[29:30], 1.0
	v_fma_f64 v[27:28], v[27:28], v[32:33], v[27:28]
	v_fma_f64 v[29:30], v[29:30], v[34:35], v[29:30]
	v_fma_f64 v[32:33], -v[21:22], v[27:28], 1.0
	v_fma_f64 v[34:35], -v[23:24], v[29:30], 1.0
	v_fma_f64 v[27:28], v[27:28], v[32:33], v[27:28]
	v_div_scale_f64 v[32:33], s4, v[19:20], v[25:26], v[19:20]
	v_fma_f64 v[29:30], v[29:30], v[34:35], v[29:30]
	v_mul_f64 v[34:35], v[36:37], v[27:28]
	v_mul_f64 v[38:39], v[32:33], v[29:30]
	v_fma_f64 v[21:22], -v[21:22], v[34:35], v[36:37]
	v_fma_f64 v[23:24], -v[23:24], v[38:39], v[32:33]
	v_div_fmas_f64 v[27:28], v[21:22], v[27:28], v[34:35]
	s_mov_b32 vcc_lo, s4
	v_div_fmas_f64 v[21:22], v[23:24], v[29:30], v[38:39]
	v_div_fixup_f64 v[5:6], v[27:28], v[25:26], v[5:6]
	v_div_fixup_f64 v[19:20], v[21:22], v[25:26], v[19:20]
	v_add_f64 v[21:22], v[25:26], 1.0
	v_add_f64 v[13:14], v[13:14], v[19:20]
	v_div_scale_f64 v[23:24], null, v[21:22], v[21:22], v[5:6]
	v_div_scale_f64 v[36:37], vcc_lo, v[5:6], v[21:22], v[5:6]
	v_div_scale_f64 v[25:26], null, v[13:14], v[13:14], v[19:20]
	v_rcp_f64_e32 v[27:28], v[23:24]
	v_rcp_f64_e32 v[29:30], v[25:26]
	v_fma_f64 v[32:33], -v[23:24], v[27:28], 1.0
	v_fma_f64 v[34:35], -v[25:26], v[29:30], 1.0
	v_fma_f64 v[27:28], v[27:28], v[32:33], v[27:28]
	v_fma_f64 v[29:30], v[29:30], v[34:35], v[29:30]
	v_fma_f64 v[32:33], -v[23:24], v[27:28], 1.0
	v_fma_f64 v[34:35], -v[25:26], v[29:30], 1.0
	v_fma_f64 v[27:28], v[27:28], v[32:33], v[27:28]
	v_div_scale_f64 v[32:33], s4, v[19:20], v[13:14], v[19:20]
	v_fma_f64 v[29:30], v[29:30], v[34:35], v[29:30]
	v_mul_f64 v[34:35], v[36:37], v[27:28]
	v_mul_f64 v[38:39], v[32:33], v[29:30]
	v_fma_f64 v[23:24], -v[23:24], v[34:35], v[36:37]
	v_fma_f64 v[25:26], -v[25:26], v[38:39], v[32:33]
	v_div_fmas_f64 v[23:24], v[23:24], v[27:28], v[34:35]
	s_mov_b32 vcc_lo, s4
	v_div_fmas_f64 v[25:26], v[25:26], v[29:30], v[38:39]
	v_div_fixup_f64 v[5:6], v[23:24], v[21:22], v[5:6]
	v_div_fixup_f64 v[25:26], v[25:26], v[13:14], v[19:20]
	v_add_f64 v[17:18], v[17:18], v[5:6]
	v_cmp_nlt_f64_e64 s4, 0x3cb00000, |v[25:26]|
	s_or_b32 s18, s4, s18
	s_andn2_b32 exec_lo, exec_lo, s18
	s_cbranch_execnz .LBB5_54
; %bb.55:
	s_or_b32 exec_lo, exec_lo, s18
	s_mov_b32 s18, 0x42b70f8b
	s_mov_b32 s19, 0xbfd0907f
	v_mul_f64 v[5:6], v[17:18], s[18:19]
	s_mov_b32 s18, 0x962715b8
	s_mov_b32 s19, 0x3fd6b8c7
	v_fma_f64 v[5:6], v[13:14], s[18:19], v[5:6]
	v_cndmask_b32_e64 v10, v10, v6, s15
	v_cndmask_b32_e64 v9, v9, v5, s15
.LBB5_56:
	s_or_b32 exec_lo, exec_lo, s5
.LBB5_57:
	s_andn2_saveexec_b32 s18, s14
	s_cbranch_execz .LBB5_67
; %bb.58:
	v_cmp_lt_f64_e32 vcc_lo, 0x90000000, v[5:6]
	s_mov_b32 s5, 0x3fe921fb
	s_mov_b32 s4, 0x54442d18
                                        ; implicit-def: $vgpr32
	v_cndmask_b32_e64 v9, 0, 0x100, vcc_lo
	v_ldexp_f64 v[9:10], -v[5:6], v9
	v_mul_f64 v[5:6], v[5:6], -2.0
	v_rsq_f64_e32 v[13:14], v[9:10]
	v_mul_f64 v[15:16], v[9:10], v[13:14]
	v_mul_f64 v[13:14], v[13:14], 0.5
	v_fma_f64 v[17:18], -v[13:14], v[15:16], 0.5
	v_fma_f64 v[15:16], v[15:16], v[17:18], v[15:16]
	v_fma_f64 v[13:14], v[13:14], v[17:18], v[13:14]
	v_fma_f64 v[17:18], -v[15:16], v[15:16], v[9:10]
	v_fma_f64 v[15:16], v[17:18], v[13:14], v[15:16]
	v_fma_f64 v[17:18], -v[15:16], v[15:16], v[9:10]
	v_fma_f64 v[13:14], v[17:18], v[13:14], v[15:16]
	v_cndmask_b32_e64 v15, 0, 0xffffff80, vcc_lo
	v_cmp_class_f64_e64 vcc_lo, v[9:10], 0x260
	v_ldexp_f64 v[13:14], v[13:14], v15
	v_cndmask_b32_e32 v20, v14, v10, vcc_lo
	v_cndmask_b32_e32 v19, v13, v9, vcc_lo
	v_mul_f64 v[5:6], v[5:6], v[19:20]
	v_div_scale_f64 v[9:10], null, 0x40080000, 0x40080000, v[5:6]
	v_div_scale_f64 v[17:18], vcc_lo, v[5:6], 0x40080000, v[5:6]
	v_rcp_f64_e32 v[13:14], v[9:10]
	v_fma_f64 v[15:16], -v[9:10], v[13:14], 1.0
	v_fma_f64 v[13:14], v[13:14], v[15:16], v[13:14]
	v_fma_f64 v[15:16], -v[9:10], v[13:14], 1.0
	v_fma_f64 v[13:14], v[13:14], v[15:16], v[13:14]
	v_mul_f64 v[15:16], v[17:18], v[13:14]
	v_fma_f64 v[9:10], -v[9:10], v[15:16], v[17:18]
	v_div_fmas_f64 v[9:10], v[9:10], v[13:14], v[15:16]
                                        ; implicit-def: $vgpr13_vgpr14
	v_div_fixup_f64 v[21:22], v[9:10], 0x40080000, v[5:6]
                                        ; implicit-def: $vgpr9_vgpr10
	v_add_f64 v[5:6], v[21:22], s[4:5]
	v_cmp_ngt_f64_e64 s14, 0x41d00000, |v[5:6]|
	v_trig_preop_f64 v[27:28], |v[5:6]|, 0
	v_trig_preop_f64 v[25:26], |v[5:6]|, 1
	v_ldexp_f64 v[29:30], |v[5:6]|, 0xffffff80
	v_trig_preop_f64 v[23:24], |v[5:6]|, 2
	v_and_b32_e32 v34, 0x7fffffff, v6
	s_and_saveexec_b32 s5, s14
	s_xor_b32 s15, exec_lo, s5
	s_cbranch_execz .LBB5_60
; %bb.59:
	v_cmp_le_f64_e64 vcc_lo, 0x7b000000, |v[5:6]|
	v_mov_b32_e32 v45, 0
	s_mov_b32 s5, 0x3ff921fb
	s_mov_b32 s20, 0x33145c07
	s_mov_b32 s21, 0x3c91a626
	v_cndmask_b32_e32 v10, v34, v30, vcc_lo
	v_cndmask_b32_e32 v9, v5, v29, vcc_lo
	v_mul_f64 v[13:14], v[27:28], v[9:10]
	v_mul_f64 v[15:16], v[25:26], v[9:10]
	v_mul_f64 v[41:42], v[23:24], v[9:10]
	v_fma_f64 v[17:18], v[27:28], v[9:10], -v[13:14]
	v_fma_f64 v[43:44], v[25:26], v[9:10], -v[15:16]
	;; [unrolled: 1-line block ×3, first 2 shown]
	v_add_f64 v[32:33], v[15:16], v[17:18]
	v_add_f64 v[35:36], v[32:33], -v[15:16]
	v_add_f64 v[39:40], v[13:14], v[32:33]
	v_add_f64 v[37:38], v[32:33], -v[35:36]
	v_add_f64 v[17:18], v[17:18], -v[35:36]
	v_ldexp_f64 v[35:36], v[39:40], -2
	v_add_f64 v[13:14], v[39:40], -v[13:14]
	v_add_f64 v[15:16], v[15:16], -v[37:38]
	v_add_f64 v[37:38], v[41:42], v[43:44]
	v_cmp_neq_f64_e64 vcc_lo, 0x7ff00000, |v[35:36]|
	v_add_f64 v[13:14], v[32:33], -v[13:14]
	v_add_f64 v[15:16], v[17:18], v[15:16]
	v_fract_f64_e32 v[17:18], v[35:36]
	v_add_f64 v[32:33], v[37:38], v[15:16]
	v_ldexp_f64 v[17:18], v[17:18], 2
	v_add_f64 v[35:36], v[13:14], v[32:33]
	v_cndmask_b32_e32 v18, 0, v18, vcc_lo
	v_cndmask_b32_e32 v17, 0, v17, vcc_lo
	v_add_f64 v[39:40], v[35:36], v[17:18]
	v_add_f64 v[13:14], v[35:36], -v[13:14]
	v_cmp_gt_f64_e32 vcc_lo, 0, v[39:40]
	v_add_f64 v[39:40], v[37:38], -v[41:42]
	v_add_f64 v[13:14], v[32:33], -v[13:14]
	v_cndmask_b32_e64 v46, 0, 0x40100000, vcc_lo
	v_add_f64 v[50:51], v[37:38], -v[39:40]
	v_add_f64 v[39:40], v[43:44], -v[39:40]
	v_add_f64 v[17:18], v[17:18], v[45:46]
	v_add_f64 v[46:47], v[32:33], -v[37:38]
	v_add_f64 v[43:44], v[41:42], -v[50:51]
	v_add_f64 v[48:49], v[35:36], v[17:18]
	;; [unrolled: 3-line block ×3, first 2 shown]
	v_cvt_i32_f64_e32 v48, v[48:49]
	v_add_f64 v[37:38], v[37:38], -v[52:53]
	v_cvt_f64_i32_e32 v[46:47], v48
	v_add_f64 v[15:16], v[15:16], v[37:38]
	v_add_f64 v[17:18], v[17:18], -v[46:47]
	v_add_f64 v[15:16], v[39:40], v[15:16]
	v_add_f64 v[37:38], v[35:36], v[17:18]
	;; [unrolled: 1-line block ×3, first 2 shown]
	v_add_f64 v[15:16], v[37:38], -v[17:18]
	v_cmp_le_f64_e32 vcc_lo, 0.5, v[37:38]
	v_add_f64 v[9:10], v[13:14], v[9:10]
	v_add_f64 v[13:14], v[35:36], -v[15:16]
	v_cndmask_b32_e64 v46, 0, 0x3ff00000, vcc_lo
	v_add_co_ci_u32_e64 v32, null, 0, v48, vcc_lo
	v_add_f64 v[9:10], v[9:10], v[13:14]
	v_add_f64 v[13:14], v[37:38], -v[45:46]
	v_add_f64 v[15:16], v[13:14], v[9:10]
	v_mul_f64 v[17:18], v[15:16], s[4:5]
	v_add_f64 v[13:14], v[15:16], -v[13:14]
	v_fma_f64 v[35:36], v[15:16], s[4:5], -v[17:18]
	v_add_f64 v[9:10], v[9:10], -v[13:14]
	v_fma_f64 v[13:14], v[15:16], s[20:21], v[35:36]
	v_fma_f64 v[13:14], v[9:10], s[4:5], v[13:14]
	v_add_f64 v[9:10], v[17:18], v[13:14]
	v_add_f64 v[15:16], v[9:10], -v[17:18]
	v_add_f64 v[13:14], v[13:14], -v[15:16]
	s_andn2_saveexec_b32 s4, s15
	s_cbranch_execz .LBB5_62
	s_branch .LBB5_61
.LBB5_60:
	s_andn2_saveexec_b32 s4, s15
	s_cbranch_execz .LBB5_62
.LBB5_61:
	s_mov_b32 s20, 0x6dc9c883
	s_mov_b32 s21, 0x3fe45f30
	;; [unrolled: 1-line block ×3, first 2 shown]
	v_mul_f64 v[9:10], |v[5:6]|, s[20:21]
	s_mov_b32 s20, 0x54442d18
	s_mov_b32 s21, 0xbff921fb
	;; [unrolled: 1-line block ×3, first 2 shown]
	v_rndne_f64_e32 v[15:16], v[9:10]
	v_fma_f64 v[9:10], v[15:16], s[20:21], |v[5:6]|
	v_mul_f64 v[13:14], v[15:16], s[22:23]
	s_mov_b32 s20, 0x252049c0
	s_mov_b32 s21, 0xb97b839a
	v_fma_f64 v[32:33], v[15:16], s[22:23], v[9:10]
	v_add_f64 v[17:18], v[9:10], v[13:14]
	s_mov_b32 s23, 0x3c91a626
	v_add_f64 v[9:10], v[9:10], -v[17:18]
	v_add_f64 v[17:18], v[17:18], -v[32:33]
	v_add_f64 v[9:10], v[9:10], v[13:14]
	v_fma_f64 v[13:14], v[15:16], s[22:23], v[13:14]
	v_add_f64 v[9:10], v[17:18], v[9:10]
	v_add_f64 v[9:10], v[9:10], -v[13:14]
	v_fma_f64 v[13:14], v[15:16], s[20:21], v[9:10]
	v_add_f64 v[9:10], v[32:33], v[13:14]
	v_add_f64 v[17:18], v[9:10], -v[32:33]
	v_cvt_i32_f64_e32 v32, v[15:16]
	v_add_f64 v[13:14], v[13:14], -v[17:18]
.LBB5_62:
	s_or_b32 exec_lo, exec_lo, s4
                                        ; implicit-def: $vgpr33
                                        ; implicit-def: $vgpr15_vgpr16
                                        ; implicit-def: $vgpr17_vgpr18
	s_and_saveexec_b32 s4, s14
	s_xor_b32 s4, exec_lo, s4
	s_cbranch_execz .LBB5_64
; %bb.63:
	v_cmp_le_f64_e64 vcc_lo, 0x7b000000, |v[5:6]|
	v_mov_b32_e32 v43, 0
	s_mov_b32 s14, 0x54442d18
	s_mov_b32 s15, 0x3ff921fb
	;; [unrolled: 1-line block ×4, first 2 shown]
	v_cndmask_b32_e32 v16, v34, v30, vcc_lo
	v_cndmask_b32_e32 v15, v5, v29, vcc_lo
	v_mul_f64 v[17:18], v[27:28], v[15:16]
	v_mul_f64 v[29:30], v[25:26], v[15:16]
	;; [unrolled: 1-line block ×3, first 2 shown]
	v_fma_f64 v[27:28], v[27:28], v[15:16], -v[17:18]
	v_fma_f64 v[25:26], v[25:26], v[15:16], -v[29:30]
	;; [unrolled: 1-line block ×3, first 2 shown]
	v_add_f64 v[33:34], v[29:30], v[27:28]
	v_add_f64 v[35:36], v[33:34], -v[29:30]
	v_add_f64 v[39:40], v[17:18], v[33:34]
	v_add_f64 v[37:38], v[33:34], -v[35:36]
	v_add_f64 v[27:28], v[27:28], -v[35:36]
	v_ldexp_f64 v[35:36], v[39:40], -2
	v_add_f64 v[17:18], v[39:40], -v[17:18]
	v_add_f64 v[29:30], v[29:30], -v[37:38]
	v_add_f64 v[37:38], v[41:42], v[25:26]
	v_cmp_neq_f64_e64 vcc_lo, 0x7ff00000, |v[35:36]|
	v_add_f64 v[17:18], v[33:34], -v[17:18]
	v_add_f64 v[27:28], v[27:28], v[29:30]
	v_fract_f64_e32 v[29:30], v[35:36]
	v_add_f64 v[33:34], v[37:38], v[27:28]
	v_ldexp_f64 v[29:30], v[29:30], 2
	v_add_f64 v[35:36], v[17:18], v[33:34]
	v_cndmask_b32_e32 v30, 0, v30, vcc_lo
	v_cndmask_b32_e32 v29, 0, v29, vcc_lo
	v_add_f64 v[39:40], v[35:36], v[29:30]
	v_add_f64 v[17:18], v[35:36], -v[17:18]
	v_cmp_gt_f64_e32 vcc_lo, 0, v[39:40]
	v_add_f64 v[39:40], v[37:38], -v[41:42]
	v_add_f64 v[17:18], v[33:34], -v[17:18]
	v_cndmask_b32_e64 v44, 0, 0x40100000, vcc_lo
	v_add_f64 v[48:49], v[37:38], -v[39:40]
	v_add_f64 v[25:26], v[25:26], -v[39:40]
	v_add_f64 v[29:30], v[29:30], v[43:44]
	v_add_f64 v[44:45], v[33:34], -v[37:38]
	v_add_f64 v[39:40], v[41:42], -v[48:49]
	v_add_f64 v[46:47], v[35:36], v[29:30]
	;; [unrolled: 3-line block ×3, first 2 shown]
	v_cvt_i32_f64_e32 v46, v[46:47]
	v_add_f64 v[37:38], v[37:38], -v[50:51]
	v_cvt_f64_i32_e32 v[44:45], v46
	v_add_f64 v[27:28], v[27:28], v[37:38]
	v_add_f64 v[29:30], v[29:30], -v[44:45]
	v_add_f64 v[23:24], v[25:26], v[27:28]
	v_add_f64 v[25:26], v[35:36], v[29:30]
	;; [unrolled: 1-line block ×3, first 2 shown]
	v_add_f64 v[23:24], v[25:26], -v[29:30]
	v_cmp_le_f64_e32 vcc_lo, 0.5, v[25:26]
	v_add_f64 v[15:16], v[17:18], v[15:16]
	v_add_f64 v[17:18], v[35:36], -v[23:24]
	v_cndmask_b32_e64 v44, 0, 0x3ff00000, vcc_lo
	v_add_co_ci_u32_e64 v33, null, 0, v46, vcc_lo
	v_add_f64 v[15:16], v[15:16], v[17:18]
	v_add_f64 v[17:18], v[25:26], -v[43:44]
	v_add_f64 v[23:24], v[17:18], v[15:16]
	v_mul_f64 v[25:26], v[23:24], s[14:15]
	v_add_f64 v[17:18], v[23:24], -v[17:18]
	v_fma_f64 v[27:28], v[23:24], s[14:15], -v[25:26]
	v_add_f64 v[15:16], v[15:16], -v[17:18]
	v_fma_f64 v[17:18], v[23:24], s[20:21], v[27:28]
	v_fma_f64 v[17:18], v[15:16], s[14:15], v[17:18]
	v_add_f64 v[15:16], v[25:26], v[17:18]
	v_add_f64 v[23:24], v[15:16], -v[25:26]
	v_add_f64 v[17:18], v[17:18], -v[23:24]
	s_andn2_saveexec_b32 s4, s4
	s_cbranch_execnz .LBB5_65
	s_branch .LBB5_66
.LBB5_64:
	s_andn2_saveexec_b32 s4, s4
	s_cbranch_execz .LBB5_66
.LBB5_65:
	s_mov_b32 s14, 0x6dc9c883
	s_mov_b32 s15, 0x3fe45f30
	;; [unrolled: 1-line block ×3, first 2 shown]
	v_mul_f64 v[15:16], |v[5:6]|, s[14:15]
	s_mov_b32 s14, 0x54442d18
	s_mov_b32 s15, 0xbff921fb
	;; [unrolled: 1-line block ×3, first 2 shown]
	v_rndne_f64_e32 v[23:24], v[15:16]
	v_fma_f64 v[15:16], v[23:24], s[14:15], |v[5:6]|
	v_mul_f64 v[17:18], v[23:24], s[20:21]
	s_mov_b32 s14, 0x252049c0
	s_mov_b32 s15, 0xb97b839a
	v_cvt_i32_f64_e32 v33, v[23:24]
	v_fma_f64 v[27:28], v[23:24], s[20:21], v[15:16]
	v_add_f64 v[25:26], v[15:16], v[17:18]
	s_mov_b32 s21, 0x3c91a626
	v_add_f64 v[15:16], v[15:16], -v[25:26]
	v_add_f64 v[25:26], v[25:26], -v[27:28]
	v_add_f64 v[15:16], v[15:16], v[17:18]
	v_fma_f64 v[17:18], v[23:24], s[20:21], v[17:18]
	v_add_f64 v[15:16], v[25:26], v[15:16]
	v_add_f64 v[15:16], v[15:16], -v[17:18]
	v_fma_f64 v[17:18], v[23:24], s[14:15], v[15:16]
	v_add_f64 v[15:16], v[27:28], v[17:18]
	v_add_f64 v[25:26], v[15:16], -v[27:28]
	v_add_f64 v[17:18], v[17:18], -v[25:26]
.LBB5_66:
	s_or_b32 exec_lo, exec_lo, s4
	v_div_scale_f64 v[23:24], null, v[21:22], v[21:22], 1.0
	v_div_scale_f64 v[29:30], vcc_lo, 1.0, v[21:22], 1.0
	s_mov_b32 s4, 0xddcfbbde
	s_mov_b32 s5, 0x3f943525
	;; [unrolled: 1-line block ×8, first 2 shown]
	v_mul_f64 v[48:49], v[9:10], v[9:10]
	s_mov_b32 s24, 0x9037ab78
	s_mov_b32 s26, 0x46cc5e42
	;; [unrolled: 1-line block ×6, first 2 shown]
	v_rcp_f64_e32 v[25:26], v[23:24]
	v_fma_f64 v[27:28], -v[23:24], v[25:26], 1.0
	v_fma_f64 v[25:26], v[25:26], v[27:28], v[25:26]
	v_fma_f64 v[27:28], -v[23:24], v[25:26], 1.0
	v_fma_f64 v[25:26], v[25:26], v[27:28], v[25:26]
	v_mul_f64 v[27:28], v[29:30], v[25:26]
	v_fma_f64 v[23:24], -v[23:24], v[27:28], v[29:30]
	v_div_fmas_f64 v[23:24], v[23:24], v[25:26], v[27:28]
	v_cmp_gt_f64_e32 vcc_lo, 0x10000000, v[19:20]
	v_div_fixup_f64 v[21:22], v[23:24], v[21:22], 1.0
	v_cndmask_b32_e64 v27, 0, 0x100, vcc_lo
	v_ldexp_f64 v[19:20], v[19:20], v27
	v_mul_f64 v[23:24], v[21:22], v[21:22]
	v_rsq_f64_e32 v[34:35], v[19:20]
	v_fma_f64 v[25:26], v[23:24], 0, s[4:5]
	s_mov_b32 s4, 0x6437b7
	s_mov_b32 s5, 0x3fd907d5
	v_fma_f64 v[29:30], v[23:24], 0, s[20:21]
	s_mov_b32 s20, 0xa0ef1acb
	s_mov_b32 s21, 0x3fee0dac
	v_mul_f64 v[38:39], v[19:20], v[34:35]
	v_mul_f64 v[34:35], v[34:35], 0.5
	v_fma_f64 v[25:26], v[23:24], v[25:26], s[4:5]
	s_mov_b32 s4, 0xd50ae6fb
	s_mov_b32 s5, 0xbfc0db6c
	v_fma_f64 v[29:30], v[23:24], v[29:30], s[22:23]
	v_fma_f64 v[27:28], v[23:24], 0, s[4:5]
	s_mov_b32 s4, 0x98566852
	s_mov_b32 s5, 0xbfe40bee
	;; [unrolled: 1-line block ×4, first 2 shown]
	v_fma_f64 v[40:41], -v[34:35], v[38:39], 0.5
	v_fma_f64 v[25:26], v[23:24], v[25:26], s[14:15]
	s_mov_b32 s14, 0x2572edf2
	s_mov_b32 s15, 0x402ab64b
	v_fma_f64 v[29:30], v[23:24], v[29:30], s[22:23]
	v_fma_f64 v[36:37], v[23:24], 0, s[14:15]
	;; [unrolled: 1-line block ×3, first 2 shown]
	s_mov_b32 s4, 0xc2f79f7d
	s_mov_b32 s14, 0x44787b1a
	;; [unrolled: 1-line block ×6, first 2 shown]
	v_fma_f64 v[38:39], v[38:39], v[40:41], v[38:39]
	v_fma_f64 v[34:35], v[34:35], v[40:41], v[34:35]
	;; [unrolled: 1-line block ×3, first 2 shown]
	s_mov_b32 s20, 0xcea8fe1d
	s_mov_b32 s21, 0x3fd67e69
	v_fma_f64 v[29:30], v[23:24], v[29:30], s[22:23]
	v_fma_f64 v[36:37], v[23:24], v[36:37], s[14:15]
	;; [unrolled: 1-line block ×3, first 2 shown]
	s_mov_b32 s4, 0x4bb3f40b
	s_mov_b32 s14, 0xa3b73410
	;; [unrolled: 1-line block ×6, first 2 shown]
	v_fma_f64 v[40:41], -v[38:39], v[38:39], v[19:20]
	v_fma_f64 v[25:26], v[23:24], v[25:26], s[20:21]
	s_mov_b32 s20, 0x21e90978
	s_mov_b32 s21, 0x3fb03a41
	v_fma_f64 v[29:30], v[23:24], v[29:30], s[22:23]
	v_fma_f64 v[36:37], v[23:24], v[36:37], s[14:15]
	;; [unrolled: 1-line block ×3, first 2 shown]
	s_mov_b32 s4, 0xf47dbd8a
	s_mov_b32 s14, 0x2ac99873
	;; [unrolled: 1-line block ×6, first 2 shown]
	v_fma_f64 v[38:39], v[40:41], v[34:35], v[38:39]
	v_fma_f64 v[25:26], v[23:24], v[25:26], s[20:21]
	s_mov_b32 s20, 0xf12f5043
	s_mov_b32 s21, 0x3f77fe99
	v_fma_f64 v[29:30], v[23:24], v[29:30], s[22:23]
	v_fma_f64 v[36:37], v[23:24], v[36:37], s[14:15]
	;; [unrolled: 1-line block ×3, first 2 shown]
	s_mov_b32 s4, 0xc8d9e090
	s_mov_b32 s14, 0x39de9319
	;; [unrolled: 1-line block ×6, first 2 shown]
	v_fma_f64 v[40:41], -v[38:39], v[38:39], v[19:20]
	v_fma_f64 v[25:26], v[23:24], v[25:26], s[20:21]
	s_mov_b32 s20, 0x600e17a2
	s_mov_b32 s21, 0x3f328976
	v_fma_f64 v[29:30], v[23:24], v[29:30], s[22:23]
	v_fma_f64 v[36:37], v[23:24], v[36:37], s[14:15]
	;; [unrolled: 1-line block ×3, first 2 shown]
	s_mov_b32 s4, 0xaf4b009c
	s_mov_b32 s14, 0xb4045a2b
	;; [unrolled: 1-line block ×6, first 2 shown]
	v_fma_f64 v[34:35], v[40:41], v[34:35], v[38:39]
	v_cndmask_b32_e64 v38, 0, 0xffffff80, vcc_lo
	v_cmp_class_f64_e64 vcc_lo, v[19:20], 0x260
	v_fma_f64 v[25:26], v[23:24], v[25:26], s[20:21]
	s_mov_b32 s20, 0x69f8574e
	s_mov_b32 s21, 0x3edd4f3d
	v_fma_f64 v[29:30], v[23:24], v[29:30], s[22:23]
	v_fma_f64 v[36:37], v[23:24], v[36:37], s[14:15]
	;; [unrolled: 1-line block ×3, first 2 shown]
	s_mov_b32 s4, 0x1d42366d
	s_mov_b32 s14, 0xe03af617
	;; [unrolled: 1-line block ×6, first 2 shown]
	v_ldexp_f64 v[34:35], v[34:35], v38
	v_fma_f64 v[25:26], v[23:24], v[25:26], s[20:21]
	s_mov_b32 s20, 0xbbad11c8
	s_mov_b32 s21, 0x3e75ca92
	v_fma_f64 v[29:30], v[23:24], v[29:30], s[22:23]
	v_fma_f64 v[36:37], v[23:24], v[36:37], s[14:15]
	;; [unrolled: 1-line block ×3, first 2 shown]
	s_mov_b32 s4, 0xaf76e73b
	s_mov_b32 s14, 0xf68ea2d2
	;; [unrolled: 1-line block ×6, first 2 shown]
	v_cndmask_b32_e32 v20, v35, v20, vcc_lo
	v_cndmask_b32_e32 v19, v34, v19, vcc_lo
	v_fma_f64 v[25:26], v[23:24], v[25:26], s[20:21]
	s_mov_b32 s20, 0x7d97ee7a
	s_mov_b32 s21, 0x3df778a4
	v_fma_f64 v[36:37], v[23:24], v[36:37], s[4:5]
	v_fma_f64 v[27:28], v[23:24], v[27:28], s[14:15]
	s_mov_b32 s4, 0xb99518a7
	s_mov_b32 s5, 0x3e9e52b9
	;; [unrolled: 1-line block ×4, first 2 shown]
	v_fma_f64 v[25:26], v[23:24], v[25:26], s[20:21]
	s_mov_b32 s20, 0xf9a43bb8
	s_mov_b32 s21, 0x3de5e0b2
	v_fma_f64 v[36:37], v[23:24], v[36:37], s[4:5]
	v_mul_f64 v[27:28], v[23:24], v[27:28]
	v_fma_f64 v[23:24], v[23:24], v[29:30], s[14:15]
	s_mov_b32 s14, 0x50429b6d
	s_mov_b32 s15, 0x3fe20dd7
	;; [unrolled: 1-line block ×3, first 2 shown]
	v_div_scale_f64 v[34:35], null, v[19:20], v[19:20], s[14:15]
	s_mov_b32 s5, 0xbe5ae600
	v_fma_f64 v[60:61], v[48:49], s[20:21], s[4:5]
	v_mul_f64 v[21:22], v[21:22], v[25:26]
	v_mul_f64 v[25:26], v[15:16], v[15:16]
	v_div_scale_f64 v[29:30], null, v[36:37], v[36:37], v[27:28]
	v_rcp_f64_e32 v[44:45], v[34:35]
	v_div_scale_f64 v[38:39], null, v[23:24], v[23:24], v[21:22]
	v_fma_f64 v[40:41], v[25:26], s[20:21], s[4:5]
	v_mul_f64 v[50:51], v[25:26], 0.5
	v_fma_f64 v[52:53], v[25:26], s[26:27], s[24:25]
	v_rcp_f64_e32 v[42:43], v[29:30]
	s_mov_b32 s4, 0xa17f65f6
	s_mov_b32 s5, 0xbe927e4f
	;; [unrolled: 1-line block ×4, first 2 shown]
	v_mul_f64 v[64:65], v[15:16], -v[25:26]
	v_fma_f64 v[56:57], -v[34:35], v[44:45], 1.0
	v_rcp_f64_e32 v[46:47], v[38:39]
	v_fma_f64 v[40:41], v[25:26], v[40:41], s[22:23]
	v_add_f64 v[62:63], -v[50:51], 1.0
	v_fma_f64 v[52:53], v[25:26], v[52:53], s[4:5]
	v_fma_f64 v[54:55], -v[29:30], v[42:43], 1.0
	v_fma_f64 v[44:45], v[44:45], v[56:57], v[44:45]
	v_mul_f64 v[56:57], v[48:49], 0.5
	v_fma_f64 v[40:41], v[25:26], v[40:41], s[28:29]
	v_fma_f64 v[58:59], -v[38:39], v[46:47], 1.0
	v_add_f64 v[66:67], -v[62:63], 1.0
	v_fma_f64 v[42:43], v[42:43], v[54:55], v[42:43]
	v_fma_f64 v[54:55], v[48:49], s[26:27], s[24:25]
	s_mov_b32 s24, 0x16c16967
	s_mov_b32 s25, 0xbf56c16c
	v_fma_f64 v[70:71], -v[34:35], v[44:45], 1.0
	v_add_f64 v[74:75], -v[56:57], 1.0
	v_fma_f64 v[40:41], v[25:26], v[40:41], s[20:21]
	v_fma_f64 v[46:47], v[46:47], v[58:59], v[46:47]
	;; [unrolled: 1-line block ×3, first 2 shown]
	v_mul_f64 v[60:61], v[17:18], 0.5
	s_mov_b32 s22, 0x19f4ec90
	s_mov_b32 s23, 0x3efa01a0
	v_fma_f64 v[68:69], -v[29:30], v[42:43], 1.0
	v_fma_f64 v[52:53], v[25:26], v[52:53], s[22:23]
	v_fma_f64 v[54:55], v[48:49], v[54:55], s[4:5]
	v_add_f64 v[50:51], v[66:67], -v[50:51]
	v_div_scale_f64 v[66:67], s4, s[14:15], v[19:20], s[14:15]
	v_fma_f64 v[44:45], v[44:45], v[70:71], v[44:45]
	v_mul_f64 v[70:71], v[13:14], 0.5
	v_add_f64 v[76:77], -v[74:75], 1.0
	v_fma_f64 v[72:73], -v[38:39], v[46:47], 1.0
	v_fma_f64 v[58:59], v[48:49], v[58:59], s[28:29]
	v_fma_f64 v[40:41], v[64:65], v[40:41], v[60:61]
	v_div_scale_f64 v[60:61], vcc_lo, v[27:28], v[36:37], v[27:28]
	v_fma_f64 v[42:43], v[42:43], v[68:69], v[42:43]
	v_fma_f64 v[52:53], v[25:26], v[52:53], s[24:25]
	v_div_scale_f64 v[68:69], s5, v[21:22], v[23:24], v[21:22]
	v_fma_f64 v[54:55], v[48:49], v[54:55], s[22:23]
	s_mov_b32 s23, 0xbfc55555
	v_mul_f64 v[78:79], v[66:67], v[44:45]
	v_add_f64 v[56:57], v[76:77], -v[56:57]
	v_fma_f64 v[46:47], v[46:47], v[72:73], v[46:47]
	v_mul_f64 v[72:73], v[9:10], -v[48:49]
	v_fma_f64 v[58:59], v[48:49], v[58:59], s[20:21]
	v_fma_f64 v[40:41], v[25:26], v[40:41], -v[17:18]
	s_mov_b32 s20, 0x55555555
	s_mov_b32 s21, 0x3fa55555
	v_fma_f64 v[17:18], v[15:16], -v[17:18], v[50:51]
	v_fma_f64 v[50:51], v[25:26], v[52:53], s[20:21]
	v_mul_f64 v[25:26], v[25:26], v[25:26]
	v_mul_f64 v[52:53], v[60:61], v[42:43]
	v_fma_f64 v[54:55], v[48:49], v[54:55], s[24:25]
	s_mov_b32 s22, s20
	v_mul_f64 v[80:81], v[68:69], v[46:47]
	v_fma_f64 v[58:59], v[72:73], v[58:59], v[70:71]
	v_fma_f64 v[40:41], v[64:65], s[22:23], v[40:41]
	;; [unrolled: 1-line block ×3, first 2 shown]
	v_fma_f64 v[25:26], -v[29:30], v[52:53], v[60:61]
	v_fma_f64 v[29:30], -v[34:35], v[78:79], v[66:67]
	v_fma_f64 v[50:51], v[48:49], v[54:55], s[20:21]
	v_fma_f64 v[54:55], v[9:10], -v[13:14], v[56:57]
	v_fma_f64 v[34:35], -v[38:39], v[80:81], v[68:69]
	v_mul_f64 v[38:39], v[48:49], v[48:49]
	v_fma_f64 v[13:14], v[48:49], v[58:59], -v[13:14]
	v_add_f64 v[15:16], v[15:16], -v[40:41]
	v_and_b32_e32 v40, 1, v33
	v_add_f64 v[17:18], v[62:63], v[17:18]
	v_div_fmas_f64 v[25:26], v[25:26], v[42:43], v[52:53]
	s_mov_b32 vcc_lo, s4
	v_div_fmas_f64 v[29:30], v[29:30], v[44:45], v[78:79]
	s_mov_b32 vcc_lo, s5
	v_div_fmas_f64 v[34:35], v[34:35], v[46:47], v[80:81]
	v_fma_f64 v[38:39], v[38:39], v[50:51], v[54:55]
	v_fma_f64 v[13:14], v[72:73], s[22:23], v[13:14]
	v_xor_b32_e32 v16, 0x80000000, v16
	v_cmp_eq_u32_e32 vcc_lo, 0, v40
	v_cndmask_b32_e32 v40, v16, v18, vcc_lo
	v_cndmask_b32_e32 v41, v15, v17, vcc_lo
	v_cmp_class_f64_e64 vcc_lo, v[5:6], 0x1f8
	v_div_fixup_f64 v[15:16], v[25:26], v[36:37], v[27:28]
	v_lshlrev_b32_e32 v5, 30, v33
	v_and_b32_e32 v5, 0x80000000, v5
	v_div_fixup_f64 v[17:18], v[34:35], v[23:24], v[21:22]
	v_add_f64 v[21:22], v[74:75], v[38:39]
	v_add_f64 v[9:10], v[9:10], -v[13:14]
	v_xor_b32_e32 v5, v40, v5
	v_and_b32_e32 v23, 1, v32
	v_cmp_eq_u32_e64 s4, 0, v23
	v_cndmask_b32_e32 v13, 0, v41, vcc_lo
	v_cndmask_b32_e32 v14, 0x7ff80000, v5, vcc_lo
	v_lshlrev_b32_e32 v5, 30, v32
	v_add_f64 v[15:16], v[15:16], 1.0
	v_xor_b32_e32 v5, v5, v6
	v_mul_f64 v[13:14], v[17:18], v[13:14]
	v_and_b32_e32 v5, 0x80000000, v5
	v_cndmask_b32_e64 v6, v22, v10, s4
	v_cndmask_b32_e64 v9, v21, v9, s4
	v_xor_b32_e32 v6, v6, v5
	v_cndmask_b32_e32 v5, 0, v9, vcc_lo
	v_div_fixup_f64 v[9:10], v[29:30], v[19:20], s[14:15]
	v_cndmask_b32_e32 v6, 0x7ff80000, v6, vcc_lo
	v_fma_f64 v[5:6], v[15:16], v[5:6], -v[13:14]
	v_mul_f64 v[9:10], v[9:10], v[5:6]
.LBB5_67:
	s_or_b32 exec_lo, exec_lo, s18
.LBB5_68:
	s_or_b32 exec_lo, exec_lo, s17
.LBB5_69:
	s_or_b32 exec_lo, exec_lo, s16
	s_mov_b32 s16, exec_lo
	v_cmpx_neq_f64_e64 0x7ff00000, |v[7:8]|
	s_cbranch_execz .LBB5_91
; %bb.70:
	v_mov_b32_e32 v11, 0
	v_mov_b32_e32 v12, 0
	s_mov_b32 s4, 0x872b020c
	s_mov_b32 s5, 0x4059f916
	s_mov_b32 s17, exec_lo
	v_cmpx_nlt_f64_e32 s[4:5], v[7:8]
	s_cbranch_execz .LBB5_90
; %bb.71:
	s_mov_b32 s5, 0xc000b851
	s_mov_b32 s4, 0xeb851eb8
	v_cmp_ngt_f64_e32 vcc_lo, s[4:5], v[7:8]
	s_and_saveexec_b32 s5, vcc_lo
	s_xor_b32 s14, exec_lo, s5
	s_cbranch_execz .LBB5_79
; %bb.72:
	s_mov_b32 s5, 0x4000b851
	v_mov_b32_e32 v11, 0
	v_cmp_nle_f64_e64 s15, s[4:5], v[7:8]
	v_cmp_le_f64_e32 vcc_lo, s[4:5], v[7:8]
	v_mov_b32_e32 v12, 0
	s_mov_b32 s4, s15
	s_and_saveexec_b32 s18, vcc_lo
	s_cbranch_execz .LBB5_74
; %bb.73:
	v_cmp_gt_f64_e32 vcc_lo, 0x10000000, v[7:8]
	s_mov_b32 s4, 0x2537b658
	s_mov_b32 s20, 0x2624d31
	;; [unrolled: 1-line block ×4, first 2 shown]
	v_cndmask_b32_e64 v5, 0, 0x100, vcc_lo
	v_ldexp_f64 v[5:6], v[7:8], v5
	v_rsq_f64_e32 v[11:12], v[5:6]
	v_mul_f64 v[13:14], v[5:6], v[11:12]
	v_mul_f64 v[11:12], v[11:12], 0.5
	v_fma_f64 v[15:16], -v[11:12], v[13:14], 0.5
	v_fma_f64 v[13:14], v[13:14], v[15:16], v[13:14]
	v_fma_f64 v[11:12], v[11:12], v[15:16], v[11:12]
	v_fma_f64 v[15:16], -v[13:14], v[13:14], v[5:6]
	v_fma_f64 v[13:14], v[15:16], v[11:12], v[13:14]
	v_fma_f64 v[15:16], -v[13:14], v[13:14], v[5:6]
	v_fma_f64 v[11:12], v[15:16], v[11:12], v[13:14]
	v_cndmask_b32_e64 v13, 0, 0xffffff80, vcc_lo
	v_cmp_class_f64_e64 vcc_lo, v[5:6], 0x260
	v_ldexp_f64 v[11:12], v[11:12], v13
	v_add_f64 v[13:14], v[7:8], v[7:8]
	v_cndmask_b32_e32 v6, v12, v6, vcc_lo
	v_cndmask_b32_e32 v5, v11, v5, vcc_lo
	v_mul_f64 v[11:12], v[13:14], v[5:6]
	v_div_scale_f64 v[13:14], null, 0x40080000, 0x40080000, v[11:12]
	v_div_scale_f64 v[19:20], vcc_lo, v[11:12], 0x40080000, v[11:12]
	v_rcp_f64_e32 v[15:16], v[13:14]
	v_fma_f64 v[17:18], -v[13:14], v[15:16], 1.0
	v_fma_f64 v[15:16], v[15:16], v[17:18], v[15:16]
	v_fma_f64 v[17:18], -v[13:14], v[15:16], 1.0
	v_fma_f64 v[15:16], v[15:16], v[17:18], v[15:16]
	v_mul_f64 v[17:18], v[19:20], v[15:16]
	v_fma_f64 v[13:14], -v[13:14], v[17:18], v[19:20]
	v_div_fmas_f64 v[13:14], v[13:14], v[15:16], v[17:18]
	v_div_fixup_f64 v[11:12], v[13:14], 0x40080000, v[11:12]
	v_div_scale_f64 v[13:14], null, v[11:12], v[11:12], 1.0
	v_div_scale_f64 v[19:20], vcc_lo, 1.0, v[11:12], 1.0
	v_rcp_f64_e32 v[15:16], v[13:14]
	v_fma_f64 v[17:18], -v[13:14], v[15:16], 1.0
	v_fma_f64 v[15:16], v[15:16], v[17:18], v[15:16]
	v_fma_f64 v[17:18], -v[13:14], v[15:16], 1.0
	v_fma_f64 v[15:16], v[15:16], v[17:18], v[15:16]
	v_mul_f64 v[17:18], v[19:20], v[15:16]
	v_fma_f64 v[13:14], -v[13:14], v[17:18], v[19:20]
	v_div_fmas_f64 v[13:14], v[13:14], v[15:16], v[17:18]
	v_cmp_gt_f64_e32 vcc_lo, 0x10000000, v[5:6]
	v_div_fixup_f64 v[13:14], v[13:14], v[11:12], 1.0
	v_cndmask_b32_e64 v25, 0, 0x100, vcc_lo
	v_ldexp_f64 v[5:6], v[5:6], v25
	v_fma_f64 v[15:16], v[13:14], 0, s[20:21]
	v_fma_f64 v[17:18], v[13:14], 0, s[4:5]
	s_mov_b32 s4, 0x652b82fe
	s_mov_b32 s5, 0x3ff71547
	;; [unrolled: 1-line block ×3, first 2 shown]
	v_mul_f64 v[19:20], v[11:12], s[4:5]
	s_mov_b32 s4, 0x871a9067
	s_mov_b32 s5, 0x402803e3
	;; [unrolled: 1-line block ×3, first 2 shown]
	v_fma_f64 v[15:16], v[13:14], v[15:16], s[20:21]
	v_fma_f64 v[17:18], v[13:14], v[17:18], s[4:5]
	s_mov_b32 s4, 0xde2e1e3
	s_mov_b32 s20, 0xb04d51a0
	;; [unrolled: 1-line block ×3, first 2 shown]
	v_rndne_f64_e32 v[19:20], v[19:20]
	s_mov_b32 s21, 0x405520e3
	v_fma_f64 v[15:16], v[13:14], v[15:16], s[20:21]
	v_fma_f64 v[17:18], v[13:14], v[17:18], s[4:5]
	s_mov_b32 s4, 0xfefa39ef
	s_mov_b32 s5, 0xbfe62e42
	;; [unrolled: 1-line block ×3, first 2 shown]
	v_fma_f64 v[21:22], v[19:20], s[4:5], v[11:12]
	s_mov_b32 s4, 0xee40073c
	s_mov_b32 s5, 0x406502da
	s_mov_b32 s21, 0x40662a2d
	v_fma_f64 v[15:16], v[13:14], v[15:16], s[20:21]
	v_fma_f64 v[17:18], v[13:14], v[17:18], s[4:5]
	s_mov_b32 s4, 0x3b39803f
	s_mov_b32 s5, 0xbc7abc9e
	;; [unrolled: 1-line block ×3, first 2 shown]
	v_fma_f64 v[21:22], v[19:20], s[4:5], v[21:22]
	s_mov_b32 s4, 0x5ba1fddf
	s_mov_b32 s5, 0x4063f834
	;; [unrolled: 1-line block ×3, first 2 shown]
	v_fma_f64 v[15:16], v[13:14], v[15:16], s[20:21]
	v_fma_f64 v[17:18], v[13:14], v[17:18], s[4:5]
	s_mov_b32 s4, 0xfca7ab0c
	s_mov_b32 s20, 0x6a5dcb37
	;; [unrolled: 1-line block ×4, first 2 shown]
	v_fma_f64 v[23:24], v[21:22], s[20:21], s[4:5]
	s_mov_b32 s4, 0x4f4cea4f
	s_mov_b32 s20, 0xee91d35f
	;; [unrolled: 1-line block ×4, first 2 shown]
	v_fma_f64 v[15:16], v[13:14], v[15:16], s[20:21]
	v_fma_f64 v[17:18], v[13:14], v[17:18], s[4:5]
	s_mov_b32 s4, 0x623fde64
	s_mov_b32 s5, 0x3ec71dee
	s_mov_b32 s20, 0x950d9d81
	s_mov_b32 s21, 0x402c311b
	v_fma_f64 v[23:24], v[21:22], v[23:24], s[4:5]
	s_mov_b32 s4, 0x5c2a0f4d
	s_mov_b32 s5, 0x402c0d8d
	v_fma_f64 v[15:16], v[13:14], v[15:16], s[20:21]
	v_fma_f64 v[17:18], v[13:14], v[17:18], s[4:5]
	s_mov_b32 s4, 0x7c89e6b0
	s_mov_b32 s5, 0x3efa0199
	v_fma_f64 v[23:24], v[21:22], v[23:24], s[4:5]
	s_mov_b32 s4, 0x14761f6e
	s_mov_b32 s5, 0x3f2a01a0
	v_fma_f64 v[15:16], v[13:14], v[15:16], 1.0
	v_fma_f64 v[13:14], v[13:14], v[17:18], 1.0
	v_rsq_f64_e32 v[17:18], v[5:6]
	v_fma_f64 v[23:24], v[21:22], v[23:24], s[4:5]
	s_mov_b32 s4, 0x1852b7b0
	s_mov_b32 s5, 0x3f56c16c
	v_div_scale_f64 v[25:26], null, v[15:16], v[15:16], v[13:14]
	v_mul_f64 v[27:28], v[5:6], v[17:18]
	v_mul_f64 v[17:18], v[17:18], 0.5
	v_fma_f64 v[23:24], v[21:22], v[23:24], s[4:5]
	s_mov_b32 s4, 0x11122322
	s_mov_b32 s5, 0x3f811111
	v_rcp_f64_e32 v[29:30], v[25:26]
	v_fma_f64 v[32:33], -v[17:18], v[27:28], 0.5
	v_fma_f64 v[23:24], v[21:22], v[23:24], s[4:5]
	s_mov_b32 s4, 0x555502a1
	s_mov_b32 s5, 0x3fa55555
	v_fma_f64 v[34:35], -v[25:26], v[29:30], 1.0
	v_fma_f64 v[27:28], v[27:28], v[32:33], v[27:28]
	v_fma_f64 v[17:18], v[17:18], v[32:33], v[17:18]
	;; [unrolled: 1-line block ×3, first 2 shown]
	s_mov_b32 s4, 0x55555511
	s_mov_b32 s5, 0x3fc55555
	v_fma_f64 v[29:30], v[29:30], v[34:35], v[29:30]
	v_fma_f64 v[32:33], -v[27:28], v[27:28], v[5:6]
	v_fma_f64 v[23:24], v[21:22], v[23:24], s[4:5]
	s_mov_b32 s4, 11
	s_mov_b32 s5, 0x3fe00000
	v_fma_f64 v[34:35], -v[25:26], v[29:30], 1.0
	v_fma_f64 v[27:28], v[32:33], v[17:18], v[27:28]
	v_fma_f64 v[23:24], v[21:22], v[23:24], s[4:5]
	v_div_scale_f64 v[32:33], s4, v[13:14], v[15:16], v[13:14]
	v_cmp_class_f64_e64 s5, v[5:6], 0x260
	v_fma_f64 v[29:30], v[29:30], v[34:35], v[29:30]
	v_fma_f64 v[34:35], -v[27:28], v[27:28], v[5:6]
	v_fma_f64 v[23:24], v[21:22], v[23:24], 1.0
	v_mul_f64 v[36:37], v[32:33], v[29:30]
	v_fma_f64 v[17:18], v[34:35], v[17:18], v[27:28]
	v_cvt_i32_f64_e32 v27, v[19:20]
	v_fma_f64 v[19:20], v[21:22], v[23:24], 1.0
	v_cndmask_b32_e64 v23, 0, 0xffffff80, vcc_lo
	s_mov_b32 vcc_lo, s4
	v_cmp_ngt_f64_e64 s4, 0xc090cc00, v[11:12]
	v_fma_f64 v[21:22], -v[25:26], v[36:37], v[32:33]
	v_ldexp_f64 v[17:18], v[17:18], v23
	v_ldexp_f64 v[19:20], v[19:20], v27
	v_div_fmas_f64 v[21:22], v[21:22], v[29:30], v[36:37]
	v_cmp_nlt_f64_e32 vcc_lo, 0x40900000, v[11:12]
	v_cndmask_b32_e64 v6, v18, v6, s5
	v_cndmask_b32_e64 v5, v17, v5, s5
	v_add_f64 v[5:6], v[5:6], v[5:6]
	v_div_fixup_f64 v[11:12], v[21:22], v[15:16], v[13:14]
	v_cndmask_b32_e32 v18, 0x7ff00000, v20, vcc_lo
	s_and_b32 vcc_lo, s4, vcc_lo
	v_cndmask_b32_e32 v13, 0, v19, vcc_lo
	v_cndmask_b32_e64 v14, 0, v18, s4
	s_mov_b32 s4, 0x50429b6d
	s_mov_b32 s5, 0x3fe20dd7
	v_mul_f64 v[5:6], v[5:6], v[13:14]
	v_mul_f64 v[11:12], v[11:12], s[4:5]
	s_mov_b32 s4, 0xfd0a823a
	s_mov_b32 s5, 0x4020a402
	v_div_scale_f64 v[13:14], null, v[5:6], v[5:6], v[11:12]
	v_rcp_f64_e32 v[15:16], v[13:14]
	v_fma_f64 v[17:18], -v[13:14], v[15:16], 1.0
	v_fma_f64 v[15:16], v[15:16], v[17:18], v[15:16]
	v_fma_f64 v[17:18], -v[13:14], v[15:16], 1.0
	v_fma_f64 v[15:16], v[15:16], v[17:18], v[15:16]
	v_div_scale_f64 v[17:18], vcc_lo, v[11:12], v[5:6], v[11:12]
	v_mul_f64 v[19:20], v[17:18], v[15:16]
	v_fma_f64 v[13:14], -v[13:14], v[19:20], v[17:18]
	v_div_fmas_f64 v[13:14], v[13:14], v[15:16], v[19:20]
	v_cmp_nlt_f64_e32 vcc_lo, s[4:5], v[7:8]
	s_andn2_b32 s4, s15, exec_lo
	v_div_fixup_f64 v[11:12], v[13:14], v[5:6], v[11:12]
	s_and_b32 s5, vcc_lo, exec_lo
	s_or_b32 s4, s4, s5
.LBB5_74:
	s_or_b32 exec_lo, exec_lo, s18
	s_and_saveexec_b32 s5, s4
	s_cbranch_execz .LBB5_78
; %bb.75:
	v_mul_f64 v[5:6], v[7:8], v[7:8]
	v_mov_b32_e32 v17, 0
	v_mov_b32_e32 v19, 0
	;; [unrolled: 1-line block ×6, first 2 shown]
	s_mov_b32 s18, 0
	v_mul_f64 v[13:14], v[7:8], v[5:6]
	v_mov_b32_e32 v5, 0
	v_mov_b32_e32 v6, 0x3ff00000
.LBB5_76:                               ; =>This Inner Loop Header: Depth=1
	v_mul_f64 v[17:18], v[13:14], v[17:18]
	v_add_f64 v[19:20], v[19:20], 1.0
	v_mul_f64 v[7:8], v[13:14], v[7:8]
	v_div_scale_f64 v[21:22], null, v[19:20], v[19:20], v[17:18]
	v_div_scale_f64 v[27:28], vcc_lo, v[17:18], v[19:20], v[17:18]
	v_rcp_f64_e32 v[23:24], v[21:22]
	v_fma_f64 v[25:26], -v[21:22], v[23:24], 1.0
	v_fma_f64 v[23:24], v[23:24], v[25:26], v[23:24]
	v_fma_f64 v[25:26], -v[21:22], v[23:24], 1.0
	v_fma_f64 v[23:24], v[23:24], v[25:26], v[23:24]
	v_mul_f64 v[25:26], v[27:28], v[23:24]
	v_fma_f64 v[21:22], -v[21:22], v[25:26], v[27:28]
	v_div_fmas_f64 v[21:22], v[21:22], v[23:24], v[25:26]
	v_add_f64 v[23:24], v[19:20], 1.0
	v_div_fixup_f64 v[17:18], v[21:22], v[19:20], v[17:18]
	v_div_scale_f64 v[19:20], null, v[23:24], v[23:24], v[7:8]
	v_div_scale_f64 v[34:35], vcc_lo, v[7:8], v[23:24], v[7:8]
	v_div_scale_f64 v[21:22], null, v[23:24], v[23:24], v[17:18]
	v_rcp_f64_e32 v[25:26], v[19:20]
	v_rcp_f64_e32 v[27:28], v[21:22]
	v_fma_f64 v[29:30], -v[19:20], v[25:26], 1.0
	v_fma_f64 v[32:33], -v[21:22], v[27:28], 1.0
	v_fma_f64 v[25:26], v[25:26], v[29:30], v[25:26]
	v_fma_f64 v[27:28], v[27:28], v[32:33], v[27:28]
	v_fma_f64 v[29:30], -v[19:20], v[25:26], 1.0
	v_fma_f64 v[32:33], -v[21:22], v[27:28], 1.0
	v_fma_f64 v[25:26], v[25:26], v[29:30], v[25:26]
	v_div_scale_f64 v[29:30], s4, v[17:18], v[23:24], v[17:18]
	v_fma_f64 v[27:28], v[27:28], v[32:33], v[27:28]
	v_mul_f64 v[32:33], v[34:35], v[25:26]
	v_mul_f64 v[36:37], v[29:30], v[27:28]
	v_fma_f64 v[19:20], -v[19:20], v[32:33], v[34:35]
	v_fma_f64 v[21:22], -v[21:22], v[36:37], v[29:30]
	v_div_fmas_f64 v[25:26], v[19:20], v[25:26], v[32:33]
	s_mov_b32 vcc_lo, s4
	v_div_fmas_f64 v[19:20], v[21:22], v[27:28], v[36:37]
	v_div_fixup_f64 v[7:8], v[25:26], v[23:24], v[7:8]
	v_div_fixup_f64 v[17:18], v[19:20], v[23:24], v[17:18]
	v_add_f64 v[19:20], v[23:24], 1.0
	v_add_f64 v[5:6], v[5:6], v[17:18]
	v_div_scale_f64 v[21:22], null, v[19:20], v[19:20], v[7:8]
	v_div_scale_f64 v[34:35], vcc_lo, v[7:8], v[19:20], v[7:8]
	v_div_scale_f64 v[23:24], null, v[5:6], v[5:6], v[17:18]
	v_rcp_f64_e32 v[25:26], v[21:22]
	v_rcp_f64_e32 v[27:28], v[23:24]
	v_fma_f64 v[29:30], -v[21:22], v[25:26], 1.0
	v_fma_f64 v[32:33], -v[23:24], v[27:28], 1.0
	v_fma_f64 v[25:26], v[25:26], v[29:30], v[25:26]
	v_fma_f64 v[27:28], v[27:28], v[32:33], v[27:28]
	v_fma_f64 v[29:30], -v[21:22], v[25:26], 1.0
	v_fma_f64 v[32:33], -v[23:24], v[27:28], 1.0
	v_fma_f64 v[25:26], v[25:26], v[29:30], v[25:26]
	v_div_scale_f64 v[29:30], s4, v[17:18], v[5:6], v[17:18]
	v_fma_f64 v[27:28], v[27:28], v[32:33], v[27:28]
	v_mul_f64 v[32:33], v[34:35], v[25:26]
	v_mul_f64 v[36:37], v[29:30], v[27:28]
	v_fma_f64 v[21:22], -v[21:22], v[32:33], v[34:35]
	v_fma_f64 v[23:24], -v[23:24], v[36:37], v[29:30]
	v_div_fmas_f64 v[21:22], v[21:22], v[25:26], v[32:33]
	s_mov_b32 vcc_lo, s4
	v_div_fmas_f64 v[23:24], v[23:24], v[27:28], v[36:37]
	v_div_fixup_f64 v[7:8], v[21:22], v[19:20], v[7:8]
	v_div_fixup_f64 v[23:24], v[23:24], v[5:6], v[17:18]
	v_add_f64 v[15:16], v[15:16], v[7:8]
	v_cmp_nlt_f64_e64 s4, 0x3cb00000, |v[23:24]|
	s_or_b32 s18, s4, s18
	s_andn2_b32 exec_lo, exec_lo, s18
	s_cbranch_execnz .LBB5_76
; %bb.77:
	s_or_b32 exec_lo, exec_lo, s18
	s_mov_b32 s18, 0x42b70f8b
	s_mov_b32 s19, 0xbfd0907f
	v_mul_f64 v[7:8], v[15:16], s[18:19]
	s_mov_b32 s18, 0x962715b8
	s_mov_b32 s19, 0x3fd6b8c7
	v_fma_f64 v[5:6], v[5:6], s[18:19], v[7:8]
	v_cndmask_b32_e64 v12, v12, v6, s15
	v_cndmask_b32_e64 v11, v11, v5, s15
.LBB5_78:
	s_or_b32 exec_lo, exec_lo, s5
                                        ; implicit-def: $vgpr7_vgpr8
.LBB5_79:
	s_andn2_saveexec_b32 s18, s14
	s_cbranch_execz .LBB5_89
; %bb.80:
	v_cmp_lt_f64_e32 vcc_lo, 0x90000000, v[7:8]
	s_mov_b32 s5, 0x3fe921fb
	s_mov_b32 s4, 0x54442d18
                                        ; implicit-def: $vgpr29
	v_cndmask_b32_e64 v5, 0, 0x100, vcc_lo
	v_ldexp_f64 v[5:6], -v[7:8], v5
	v_mul_f64 v[7:8], v[7:8], -2.0
	v_rsq_f64_e32 v[11:12], v[5:6]
	v_mul_f64 v[13:14], v[5:6], v[11:12]
	v_mul_f64 v[11:12], v[11:12], 0.5
	v_fma_f64 v[15:16], -v[11:12], v[13:14], 0.5
	v_fma_f64 v[13:14], v[13:14], v[15:16], v[13:14]
	v_fma_f64 v[11:12], v[11:12], v[15:16], v[11:12]
	v_fma_f64 v[15:16], -v[13:14], v[13:14], v[5:6]
	v_fma_f64 v[13:14], v[15:16], v[11:12], v[13:14]
	v_fma_f64 v[15:16], -v[13:14], v[13:14], v[5:6]
	v_fma_f64 v[11:12], v[15:16], v[11:12], v[13:14]
	v_cndmask_b32_e64 v13, 0, 0xffffff80, vcc_lo
	v_cmp_class_f64_e64 vcc_lo, v[5:6], 0x260
	v_ldexp_f64 v[11:12], v[11:12], v13
	v_cndmask_b32_e32 v18, v12, v6, vcc_lo
	v_cndmask_b32_e32 v17, v11, v5, vcc_lo
	v_mul_f64 v[5:6], v[7:8], v[17:18]
	v_div_scale_f64 v[7:8], null, 0x40080000, 0x40080000, v[5:6]
	v_div_scale_f64 v[15:16], vcc_lo, v[5:6], 0x40080000, v[5:6]
	v_rcp_f64_e32 v[11:12], v[7:8]
	v_fma_f64 v[13:14], -v[7:8], v[11:12], 1.0
	v_fma_f64 v[11:12], v[11:12], v[13:14], v[11:12]
	v_fma_f64 v[13:14], -v[7:8], v[11:12], 1.0
	v_fma_f64 v[11:12], v[11:12], v[13:14], v[11:12]
	v_mul_f64 v[13:14], v[15:16], v[11:12]
	v_fma_f64 v[7:8], -v[7:8], v[13:14], v[15:16]
	v_div_fmas_f64 v[7:8], v[7:8], v[11:12], v[13:14]
                                        ; implicit-def: $vgpr11_vgpr12
	v_div_fixup_f64 v[19:20], v[7:8], 0x40080000, v[5:6]
                                        ; implicit-def: $vgpr7_vgpr8
	v_add_f64 v[5:6], v[19:20], s[4:5]
	v_cmp_ngt_f64_e64 s14, 0x41d00000, |v[5:6]|
	v_trig_preop_f64 v[25:26], |v[5:6]|, 0
	v_trig_preop_f64 v[23:24], |v[5:6]|, 1
	v_ldexp_f64 v[27:28], |v[5:6]|, 0xffffff80
	v_trig_preop_f64 v[21:22], |v[5:6]|, 2
	v_and_b32_e32 v32, 0x7fffffff, v6
	s_and_saveexec_b32 s5, s14
	s_xor_b32 s15, exec_lo, s5
	s_cbranch_execz .LBB5_82
; %bb.81:
	v_cmp_le_f64_e64 vcc_lo, 0x7b000000, |v[5:6]|
	v_mov_b32_e32 v43, 0
	s_mov_b32 s5, 0x3ff921fb
	s_mov_b32 s20, 0x33145c07
	;; [unrolled: 1-line block ×3, first 2 shown]
	v_cndmask_b32_e32 v8, v32, v28, vcc_lo
	v_cndmask_b32_e32 v7, v5, v27, vcc_lo
	v_mul_f64 v[11:12], v[25:26], v[7:8]
	v_mul_f64 v[13:14], v[23:24], v[7:8]
	v_mul_f64 v[39:40], v[21:22], v[7:8]
	v_fma_f64 v[15:16], v[25:26], v[7:8], -v[11:12]
	v_fma_f64 v[41:42], v[23:24], v[7:8], -v[13:14]
	;; [unrolled: 1-line block ×3, first 2 shown]
	v_add_f64 v[29:30], v[13:14], v[15:16]
	v_add_f64 v[33:34], v[29:30], -v[13:14]
	v_add_f64 v[37:38], v[11:12], v[29:30]
	v_add_f64 v[35:36], v[29:30], -v[33:34]
	v_add_f64 v[15:16], v[15:16], -v[33:34]
	v_ldexp_f64 v[33:34], v[37:38], -2
	v_add_f64 v[11:12], v[37:38], -v[11:12]
	v_add_f64 v[13:14], v[13:14], -v[35:36]
	v_add_f64 v[35:36], v[39:40], v[41:42]
	v_cmp_neq_f64_e64 vcc_lo, 0x7ff00000, |v[33:34]|
	v_add_f64 v[11:12], v[29:30], -v[11:12]
	v_add_f64 v[13:14], v[15:16], v[13:14]
	v_fract_f64_e32 v[15:16], v[33:34]
	v_add_f64 v[29:30], v[35:36], v[13:14]
	v_ldexp_f64 v[15:16], v[15:16], 2
	v_add_f64 v[33:34], v[11:12], v[29:30]
	v_cndmask_b32_e32 v16, 0, v16, vcc_lo
	v_cndmask_b32_e32 v15, 0, v15, vcc_lo
	v_add_f64 v[37:38], v[33:34], v[15:16]
	v_add_f64 v[11:12], v[33:34], -v[11:12]
	v_cmp_gt_f64_e32 vcc_lo, 0, v[37:38]
	v_add_f64 v[37:38], v[35:36], -v[39:40]
	v_add_f64 v[11:12], v[29:30], -v[11:12]
	v_cndmask_b32_e64 v44, 0, 0x40100000, vcc_lo
	v_add_f64 v[48:49], v[35:36], -v[37:38]
	v_add_f64 v[37:38], v[41:42], -v[37:38]
	v_add_f64 v[15:16], v[15:16], v[43:44]
	v_add_f64 v[44:45], v[29:30], -v[35:36]
	v_add_f64 v[41:42], v[39:40], -v[48:49]
	v_add_f64 v[46:47], v[33:34], v[15:16]
	;; [unrolled: 3-line block ×3, first 2 shown]
	v_cvt_i32_f64_e32 v46, v[46:47]
	v_add_f64 v[35:36], v[35:36], -v[50:51]
	v_cvt_f64_i32_e32 v[44:45], v46
	v_add_f64 v[13:14], v[13:14], v[35:36]
	v_add_f64 v[15:16], v[15:16], -v[44:45]
	v_add_f64 v[13:14], v[37:38], v[13:14]
	v_add_f64 v[35:36], v[33:34], v[15:16]
	;; [unrolled: 1-line block ×3, first 2 shown]
	v_add_f64 v[13:14], v[35:36], -v[15:16]
	v_cmp_le_f64_e32 vcc_lo, 0.5, v[35:36]
	v_add_f64 v[7:8], v[11:12], v[7:8]
	v_add_f64 v[11:12], v[33:34], -v[13:14]
	v_cndmask_b32_e64 v44, 0, 0x3ff00000, vcc_lo
	v_add_co_ci_u32_e64 v29, null, 0, v46, vcc_lo
	v_add_f64 v[7:8], v[7:8], v[11:12]
	v_add_f64 v[11:12], v[35:36], -v[43:44]
	v_add_f64 v[13:14], v[11:12], v[7:8]
	v_mul_f64 v[15:16], v[13:14], s[4:5]
	v_add_f64 v[11:12], v[13:14], -v[11:12]
	v_fma_f64 v[33:34], v[13:14], s[4:5], -v[15:16]
	v_add_f64 v[7:8], v[7:8], -v[11:12]
	v_fma_f64 v[11:12], v[13:14], s[20:21], v[33:34]
	v_fma_f64 v[11:12], v[7:8], s[4:5], v[11:12]
	v_add_f64 v[7:8], v[15:16], v[11:12]
	v_add_f64 v[13:14], v[7:8], -v[15:16]
	v_add_f64 v[11:12], v[11:12], -v[13:14]
	s_andn2_saveexec_b32 s4, s15
	s_cbranch_execz .LBB5_84
	s_branch .LBB5_83
.LBB5_82:
	s_andn2_saveexec_b32 s4, s15
	s_cbranch_execz .LBB5_84
.LBB5_83:
	s_mov_b32 s20, 0x6dc9c883
	s_mov_b32 s21, 0x3fe45f30
	;; [unrolled: 1-line block ×3, first 2 shown]
	v_mul_f64 v[7:8], |v[5:6]|, s[20:21]
	s_mov_b32 s20, 0x54442d18
	s_mov_b32 s21, 0xbff921fb
	;; [unrolled: 1-line block ×3, first 2 shown]
	v_rndne_f64_e32 v[13:14], v[7:8]
	v_fma_f64 v[7:8], v[13:14], s[20:21], |v[5:6]|
	v_mul_f64 v[11:12], v[13:14], s[22:23]
	s_mov_b32 s20, 0x252049c0
	s_mov_b32 s21, 0xb97b839a
	v_fma_f64 v[29:30], v[13:14], s[22:23], v[7:8]
	v_add_f64 v[15:16], v[7:8], v[11:12]
	s_mov_b32 s23, 0x3c91a626
	v_add_f64 v[7:8], v[7:8], -v[15:16]
	v_add_f64 v[15:16], v[15:16], -v[29:30]
	v_add_f64 v[7:8], v[7:8], v[11:12]
	v_fma_f64 v[11:12], v[13:14], s[22:23], v[11:12]
	v_add_f64 v[7:8], v[15:16], v[7:8]
	v_add_f64 v[7:8], v[7:8], -v[11:12]
	v_fma_f64 v[11:12], v[13:14], s[20:21], v[7:8]
	v_add_f64 v[7:8], v[29:30], v[11:12]
	v_add_f64 v[15:16], v[7:8], -v[29:30]
	v_cvt_i32_f64_e32 v29, v[13:14]
	v_add_f64 v[11:12], v[11:12], -v[15:16]
.LBB5_84:
	s_or_b32 exec_lo, exec_lo, s4
                                        ; implicit-def: $vgpr30
                                        ; implicit-def: $vgpr13_vgpr14
                                        ; implicit-def: $vgpr15_vgpr16
	s_and_saveexec_b32 s4, s14
	s_xor_b32 s4, exec_lo, s4
	s_cbranch_execz .LBB5_86
; %bb.85:
	v_cmp_le_f64_e64 vcc_lo, 0x7b000000, |v[5:6]|
	v_mov_b32_e32 v42, 0
	s_mov_b32 s14, 0x54442d18
	s_mov_b32 s15, 0x3ff921fb
	;; [unrolled: 1-line block ×4, first 2 shown]
	v_cndmask_b32_e32 v14, v32, v28, vcc_lo
	v_cndmask_b32_e32 v13, v5, v27, vcc_lo
	v_mul_f64 v[15:16], v[25:26], v[13:14]
	v_mul_f64 v[27:28], v[23:24], v[13:14]
	;; [unrolled: 1-line block ×3, first 2 shown]
	v_fma_f64 v[25:26], v[25:26], v[13:14], -v[15:16]
	v_fma_f64 v[23:24], v[23:24], v[13:14], -v[27:28]
	;; [unrolled: 1-line block ×3, first 2 shown]
	v_add_f64 v[32:33], v[27:28], v[25:26]
	v_add_f64 v[34:35], v[32:33], -v[27:28]
	v_add_f64 v[38:39], v[15:16], v[32:33]
	v_add_f64 v[36:37], v[32:33], -v[34:35]
	v_add_f64 v[25:26], v[25:26], -v[34:35]
	v_ldexp_f64 v[34:35], v[38:39], -2
	v_add_f64 v[15:16], v[38:39], -v[15:16]
	v_add_f64 v[27:28], v[27:28], -v[36:37]
	v_add_f64 v[36:37], v[40:41], v[23:24]
	v_cmp_neq_f64_e64 vcc_lo, 0x7ff00000, |v[34:35]|
	v_add_f64 v[15:16], v[32:33], -v[15:16]
	v_add_f64 v[25:26], v[25:26], v[27:28]
	v_fract_f64_e32 v[27:28], v[34:35]
	v_add_f64 v[32:33], v[36:37], v[25:26]
	v_ldexp_f64 v[27:28], v[27:28], 2
	v_add_f64 v[34:35], v[15:16], v[32:33]
	v_cndmask_b32_e32 v28, 0, v28, vcc_lo
	v_cndmask_b32_e32 v27, 0, v27, vcc_lo
	v_add_f64 v[38:39], v[34:35], v[27:28]
	v_add_f64 v[15:16], v[34:35], -v[15:16]
	v_cmp_gt_f64_e32 vcc_lo, 0, v[38:39]
	v_add_f64 v[38:39], v[36:37], -v[40:41]
	v_add_f64 v[15:16], v[32:33], -v[15:16]
	v_cndmask_b32_e64 v43, 0, 0x40100000, vcc_lo
	v_add_f64 v[47:48], v[36:37], -v[38:39]
	v_add_f64 v[23:24], v[23:24], -v[38:39]
	v_add_f64 v[27:28], v[27:28], v[42:43]
	v_add_f64 v[43:44], v[32:33], -v[36:37]
	v_add_f64 v[38:39], v[40:41], -v[47:48]
	v_add_f64 v[45:46], v[34:35], v[27:28]
	;; [unrolled: 3-line block ×3, first 2 shown]
	v_cvt_i32_f64_e32 v30, v[45:46]
	v_add_f64 v[36:37], v[36:37], -v[49:50]
	v_cvt_f64_i32_e32 v[43:44], v30
	v_add_f64 v[25:26], v[25:26], v[36:37]
	v_add_f64 v[27:28], v[27:28], -v[43:44]
	v_add_f64 v[21:22], v[23:24], v[25:26]
	v_add_f64 v[23:24], v[34:35], v[27:28]
	;; [unrolled: 1-line block ×3, first 2 shown]
	v_add_f64 v[21:22], v[23:24], -v[27:28]
	v_cmp_le_f64_e32 vcc_lo, 0.5, v[23:24]
	v_add_f64 v[13:14], v[15:16], v[13:14]
	v_add_f64 v[15:16], v[34:35], -v[21:22]
	v_cndmask_b32_e64 v43, 0, 0x3ff00000, vcc_lo
	v_add_co_ci_u32_e64 v30, null, 0, v30, vcc_lo
	v_add_f64 v[13:14], v[13:14], v[15:16]
	v_add_f64 v[15:16], v[23:24], -v[42:43]
	v_add_f64 v[21:22], v[15:16], v[13:14]
	v_mul_f64 v[23:24], v[21:22], s[14:15]
	v_add_f64 v[15:16], v[21:22], -v[15:16]
	v_fma_f64 v[25:26], v[21:22], s[14:15], -v[23:24]
	v_add_f64 v[13:14], v[13:14], -v[15:16]
	v_fma_f64 v[15:16], v[21:22], s[20:21], v[25:26]
	v_fma_f64 v[15:16], v[13:14], s[14:15], v[15:16]
	v_add_f64 v[13:14], v[23:24], v[15:16]
	v_add_f64 v[21:22], v[13:14], -v[23:24]
	v_add_f64 v[15:16], v[15:16], -v[21:22]
	s_andn2_saveexec_b32 s4, s4
	s_cbranch_execnz .LBB5_87
	s_branch .LBB5_88
.LBB5_86:
	s_andn2_saveexec_b32 s4, s4
	s_cbranch_execz .LBB5_88
.LBB5_87:
	s_mov_b32 s14, 0x6dc9c883
	s_mov_b32 s15, 0x3fe45f30
	;; [unrolled: 1-line block ×3, first 2 shown]
	v_mul_f64 v[13:14], |v[5:6]|, s[14:15]
	s_mov_b32 s14, 0x54442d18
	s_mov_b32 s15, 0xbff921fb
	;; [unrolled: 1-line block ×3, first 2 shown]
	v_rndne_f64_e32 v[21:22], v[13:14]
	v_fma_f64 v[13:14], v[21:22], s[14:15], |v[5:6]|
	v_mul_f64 v[15:16], v[21:22], s[20:21]
	s_mov_b32 s14, 0x252049c0
	s_mov_b32 s15, 0xb97b839a
	v_cvt_i32_f64_e32 v30, v[21:22]
	v_fma_f64 v[25:26], v[21:22], s[20:21], v[13:14]
	v_add_f64 v[23:24], v[13:14], v[15:16]
	s_mov_b32 s21, 0x3c91a626
	v_add_f64 v[13:14], v[13:14], -v[23:24]
	v_add_f64 v[23:24], v[23:24], -v[25:26]
	v_add_f64 v[13:14], v[13:14], v[15:16]
	v_fma_f64 v[15:16], v[21:22], s[20:21], v[15:16]
	v_add_f64 v[13:14], v[23:24], v[13:14]
	v_add_f64 v[13:14], v[13:14], -v[15:16]
	v_fma_f64 v[15:16], v[21:22], s[14:15], v[13:14]
	v_add_f64 v[13:14], v[25:26], v[15:16]
	v_add_f64 v[23:24], v[13:14], -v[25:26]
	v_add_f64 v[15:16], v[15:16], -v[23:24]
.LBB5_88:
	s_or_b32 exec_lo, exec_lo, s4
	v_div_scale_f64 v[21:22], null, v[19:20], v[19:20], 1.0
	v_div_scale_f64 v[27:28], vcc_lo, 1.0, v[19:20], 1.0
	s_mov_b32 s4, 0xddcfbbde
	s_mov_b32 s5, 0x3f943525
	s_mov_b32 s14, 0x3a2034eb
	s_mov_b32 s20, 0xf3d56b40
	s_mov_b32 s15, 0x3ff10d83
	s_mov_b32 s21, 0x40229e2b
	s_mov_b32 s22, 0xc0ef18d4
	s_mov_b32 s23, 0x4033d5d5
	v_mul_f64 v[46:47], v[7:8], v[7:8]
	s_mov_b32 s24, 0x9037ab78
	s_mov_b32 s26, 0x46cc5e42
	;; [unrolled: 1-line block ×6, first 2 shown]
	v_rcp_f64_e32 v[23:24], v[21:22]
	v_fma_f64 v[25:26], -v[21:22], v[23:24], 1.0
	v_fma_f64 v[23:24], v[23:24], v[25:26], v[23:24]
	v_fma_f64 v[25:26], -v[21:22], v[23:24], 1.0
	v_fma_f64 v[23:24], v[23:24], v[25:26], v[23:24]
	v_mul_f64 v[25:26], v[27:28], v[23:24]
	v_fma_f64 v[21:22], -v[21:22], v[25:26], v[27:28]
	v_div_fmas_f64 v[21:22], v[21:22], v[23:24], v[25:26]
	v_cmp_gt_f64_e32 vcc_lo, 0x10000000, v[17:18]
	v_div_fixup_f64 v[19:20], v[21:22], v[19:20], 1.0
	v_cndmask_b32_e64 v25, 0, 0x100, vcc_lo
	v_ldexp_f64 v[17:18], v[17:18], v25
	v_mul_f64 v[21:22], v[19:20], v[19:20]
	v_rsq_f64_e32 v[32:33], v[17:18]
	v_fma_f64 v[23:24], v[21:22], 0, s[4:5]
	s_mov_b32 s4, 0x6437b7
	s_mov_b32 s5, 0x3fd907d5
	v_fma_f64 v[27:28], v[21:22], 0, s[20:21]
	s_mov_b32 s20, 0xa0ef1acb
	s_mov_b32 s21, 0x3fee0dac
	v_mul_f64 v[36:37], v[17:18], v[32:33]
	v_mul_f64 v[32:33], v[32:33], 0.5
	v_fma_f64 v[23:24], v[21:22], v[23:24], s[4:5]
	s_mov_b32 s4, 0xd50ae6fb
	s_mov_b32 s5, 0xbfc0db6c
	v_fma_f64 v[27:28], v[21:22], v[27:28], s[22:23]
	v_fma_f64 v[25:26], v[21:22], 0, s[4:5]
	s_mov_b32 s4, 0x98566852
	s_mov_b32 s5, 0xbfe40bee
	;; [unrolled: 1-line block ×4, first 2 shown]
	v_fma_f64 v[38:39], -v[32:33], v[36:37], 0.5
	v_fma_f64 v[23:24], v[21:22], v[23:24], s[14:15]
	s_mov_b32 s14, 0x2572edf2
	s_mov_b32 s15, 0x402ab64b
	v_fma_f64 v[27:28], v[21:22], v[27:28], s[22:23]
	v_fma_f64 v[34:35], v[21:22], 0, s[14:15]
	;; [unrolled: 1-line block ×3, first 2 shown]
	s_mov_b32 s4, 0xc2f79f7d
	s_mov_b32 s14, 0x44787b1a
	;; [unrolled: 1-line block ×6, first 2 shown]
	v_fma_f64 v[36:37], v[36:37], v[38:39], v[36:37]
	v_fma_f64 v[32:33], v[32:33], v[38:39], v[32:33]
	v_fma_f64 v[23:24], v[21:22], v[23:24], s[20:21]
	s_mov_b32 s20, 0xcea8fe1d
	s_mov_b32 s21, 0x3fd67e69
	v_fma_f64 v[27:28], v[21:22], v[27:28], s[22:23]
	v_fma_f64 v[34:35], v[21:22], v[34:35], s[14:15]
	;; [unrolled: 1-line block ×3, first 2 shown]
	s_mov_b32 s4, 0x4bb3f40b
	s_mov_b32 s14, 0xa3b73410
	;; [unrolled: 1-line block ×6, first 2 shown]
	v_fma_f64 v[38:39], -v[36:37], v[36:37], v[17:18]
	v_fma_f64 v[23:24], v[21:22], v[23:24], s[20:21]
	s_mov_b32 s20, 0x21e90978
	s_mov_b32 s21, 0x3fb03a41
	v_fma_f64 v[27:28], v[21:22], v[27:28], s[22:23]
	v_fma_f64 v[34:35], v[21:22], v[34:35], s[14:15]
	;; [unrolled: 1-line block ×3, first 2 shown]
	s_mov_b32 s4, 0xf47dbd8a
	s_mov_b32 s14, 0x2ac99873
	;; [unrolled: 1-line block ×6, first 2 shown]
	v_fma_f64 v[36:37], v[38:39], v[32:33], v[36:37]
	v_fma_f64 v[23:24], v[21:22], v[23:24], s[20:21]
	s_mov_b32 s20, 0xf12f5043
	s_mov_b32 s21, 0x3f77fe99
	v_fma_f64 v[27:28], v[21:22], v[27:28], s[22:23]
	v_fma_f64 v[34:35], v[21:22], v[34:35], s[14:15]
	;; [unrolled: 1-line block ×3, first 2 shown]
	s_mov_b32 s4, 0xc8d9e090
	s_mov_b32 s14, 0x39de9319
	s_mov_b32 s5, 0xbf70a401
	s_mov_b32 s15, 0x3ff79acb
	s_mov_b32 s22, 0x6be393bb
	s_mov_b32 s23, 0x3f70e704
	v_fma_f64 v[38:39], -v[36:37], v[36:37], v[17:18]
	v_fma_f64 v[23:24], v[21:22], v[23:24], s[20:21]
	s_mov_b32 s20, 0x600e17a2
	s_mov_b32 s21, 0x3f328976
	v_fma_f64 v[27:28], v[21:22], v[27:28], s[22:23]
	v_fma_f64 v[34:35], v[21:22], v[34:35], s[14:15]
	;; [unrolled: 1-line block ×3, first 2 shown]
	s_mov_b32 s4, 0xaf4b009c
	s_mov_b32 s14, 0xb4045a2b
	;; [unrolled: 1-line block ×6, first 2 shown]
	v_fma_f64 v[32:33], v[38:39], v[32:33], v[36:37]
	v_cndmask_b32_e64 v36, 0, 0xffffff80, vcc_lo
	v_cmp_class_f64_e64 vcc_lo, v[17:18], 0x260
	v_fma_f64 v[23:24], v[21:22], v[23:24], s[20:21]
	s_mov_b32 s20, 0x69f8574e
	s_mov_b32 s21, 0x3edd4f3d
	v_fma_f64 v[27:28], v[21:22], v[27:28], s[22:23]
	v_fma_f64 v[34:35], v[21:22], v[34:35], s[14:15]
	;; [unrolled: 1-line block ×3, first 2 shown]
	s_mov_b32 s4, 0x1d42366d
	s_mov_b32 s14, 0xe03af617
	;; [unrolled: 1-line block ×6, first 2 shown]
	v_ldexp_f64 v[32:33], v[32:33], v36
	v_fma_f64 v[23:24], v[21:22], v[23:24], s[20:21]
	s_mov_b32 s20, 0xbbad11c8
	s_mov_b32 s21, 0x3e75ca92
	v_fma_f64 v[27:28], v[21:22], v[27:28], s[22:23]
	v_fma_f64 v[34:35], v[21:22], v[34:35], s[14:15]
	;; [unrolled: 1-line block ×3, first 2 shown]
	s_mov_b32 s4, 0xaf76e73b
	s_mov_b32 s14, 0xf68ea2d2
	;; [unrolled: 1-line block ×6, first 2 shown]
	v_cndmask_b32_e32 v18, v33, v18, vcc_lo
	v_cndmask_b32_e32 v17, v32, v17, vcc_lo
	v_fma_f64 v[23:24], v[21:22], v[23:24], s[20:21]
	s_mov_b32 s20, 0x7d97ee7a
	s_mov_b32 s21, 0x3df778a4
	v_fma_f64 v[34:35], v[21:22], v[34:35], s[4:5]
	v_fma_f64 v[25:26], v[21:22], v[25:26], s[14:15]
	s_mov_b32 s4, 0xb99518a7
	s_mov_b32 s5, 0x3e9e52b9
	s_mov_b32 s14, 0x3dd589d4
	s_mov_b32 s15, 0x3e351fc7
	v_fma_f64 v[23:24], v[21:22], v[23:24], s[20:21]
	s_mov_b32 s20, 0xf9a43bb8
	s_mov_b32 s21, 0x3de5e0b2
	v_fma_f64 v[34:35], v[21:22], v[34:35], s[4:5]
	v_mul_f64 v[25:26], v[21:22], v[25:26]
	v_fma_f64 v[21:22], v[21:22], v[27:28], s[14:15]
	s_mov_b32 s14, 0x50429b6d
	s_mov_b32 s15, 0x3fe20dd7
	;; [unrolled: 1-line block ×3, first 2 shown]
	v_div_scale_f64 v[32:33], null, v[17:18], v[17:18], s[14:15]
	s_mov_b32 s5, 0xbe5ae600
	v_fma_f64 v[58:59], v[46:47], s[20:21], s[4:5]
	v_mul_f64 v[19:20], v[19:20], v[23:24]
	v_mul_f64 v[23:24], v[13:14], v[13:14]
	v_div_scale_f64 v[27:28], null, v[34:35], v[34:35], v[25:26]
	v_rcp_f64_e32 v[42:43], v[32:33]
	v_div_scale_f64 v[36:37], null, v[21:22], v[21:22], v[19:20]
	v_fma_f64 v[38:39], v[23:24], s[20:21], s[4:5]
	v_mul_f64 v[48:49], v[23:24], 0.5
	v_fma_f64 v[50:51], v[23:24], s[26:27], s[24:25]
	v_rcp_f64_e32 v[40:41], v[27:28]
	s_mov_b32 s4, 0xa17f65f6
	s_mov_b32 s5, 0xbe927e4f
	;; [unrolled: 1-line block ×4, first 2 shown]
	v_mul_f64 v[62:63], v[13:14], -v[23:24]
	v_fma_f64 v[54:55], -v[32:33], v[42:43], 1.0
	v_rcp_f64_e32 v[44:45], v[36:37]
	v_fma_f64 v[38:39], v[23:24], v[38:39], s[22:23]
	v_add_f64 v[60:61], -v[48:49], 1.0
	v_fma_f64 v[50:51], v[23:24], v[50:51], s[4:5]
	v_fma_f64 v[52:53], -v[27:28], v[40:41], 1.0
	v_fma_f64 v[42:43], v[42:43], v[54:55], v[42:43]
	v_mul_f64 v[54:55], v[46:47], 0.5
	v_fma_f64 v[38:39], v[23:24], v[38:39], s[28:29]
	v_fma_f64 v[56:57], -v[36:37], v[44:45], 1.0
	v_add_f64 v[64:65], -v[60:61], 1.0
	v_fma_f64 v[40:41], v[40:41], v[52:53], v[40:41]
	v_fma_f64 v[52:53], v[46:47], s[26:27], s[24:25]
	s_mov_b32 s24, 0x16c16967
	s_mov_b32 s25, 0xbf56c16c
	v_fma_f64 v[68:69], -v[32:33], v[42:43], 1.0
	v_add_f64 v[72:73], -v[54:55], 1.0
	v_fma_f64 v[38:39], v[23:24], v[38:39], s[20:21]
	v_fma_f64 v[44:45], v[44:45], v[56:57], v[44:45]
	;; [unrolled: 1-line block ×3, first 2 shown]
	v_mul_f64 v[58:59], v[15:16], 0.5
	s_mov_b32 s22, 0x19f4ec90
	s_mov_b32 s23, 0x3efa01a0
	v_fma_f64 v[66:67], -v[27:28], v[40:41], 1.0
	v_fma_f64 v[50:51], v[23:24], v[50:51], s[22:23]
	v_fma_f64 v[52:53], v[46:47], v[52:53], s[4:5]
	v_add_f64 v[48:49], v[64:65], -v[48:49]
	v_div_scale_f64 v[64:65], s4, s[14:15], v[17:18], s[14:15]
	v_fma_f64 v[42:43], v[42:43], v[68:69], v[42:43]
	v_mul_f64 v[68:69], v[11:12], 0.5
	v_add_f64 v[74:75], -v[72:73], 1.0
	v_fma_f64 v[70:71], -v[36:37], v[44:45], 1.0
	v_fma_f64 v[56:57], v[46:47], v[56:57], s[28:29]
	v_fma_f64 v[38:39], v[62:63], v[38:39], v[58:59]
	v_div_scale_f64 v[58:59], vcc_lo, v[25:26], v[34:35], v[25:26]
	v_fma_f64 v[40:41], v[40:41], v[66:67], v[40:41]
	v_fma_f64 v[50:51], v[23:24], v[50:51], s[24:25]
	v_div_scale_f64 v[66:67], s5, v[19:20], v[21:22], v[19:20]
	v_fma_f64 v[52:53], v[46:47], v[52:53], s[22:23]
	s_mov_b32 s23, 0xbfc55555
	v_mul_f64 v[76:77], v[64:65], v[42:43]
	v_add_f64 v[54:55], v[74:75], -v[54:55]
	v_fma_f64 v[44:45], v[44:45], v[70:71], v[44:45]
	v_mul_f64 v[70:71], v[7:8], -v[46:47]
	v_fma_f64 v[56:57], v[46:47], v[56:57], s[20:21]
	v_fma_f64 v[38:39], v[23:24], v[38:39], -v[15:16]
	s_mov_b32 s20, 0x55555555
	s_mov_b32 s21, 0x3fa55555
	v_fma_f64 v[15:16], v[13:14], -v[15:16], v[48:49]
	v_fma_f64 v[48:49], v[23:24], v[50:51], s[20:21]
	v_mul_f64 v[23:24], v[23:24], v[23:24]
	v_mul_f64 v[50:51], v[58:59], v[40:41]
	v_fma_f64 v[52:53], v[46:47], v[52:53], s[24:25]
	s_mov_b32 s22, s20
	v_mul_f64 v[78:79], v[66:67], v[44:45]
	v_fma_f64 v[56:57], v[70:71], v[56:57], v[68:69]
	v_fma_f64 v[38:39], v[62:63], s[22:23], v[38:39]
	;; [unrolled: 1-line block ×3, first 2 shown]
	v_fma_f64 v[23:24], -v[27:28], v[50:51], v[58:59]
	v_fma_f64 v[27:28], -v[32:33], v[76:77], v[64:65]
	v_fma_f64 v[48:49], v[46:47], v[52:53], s[20:21]
	v_fma_f64 v[52:53], v[7:8], -v[11:12], v[54:55]
	v_fma_f64 v[32:33], -v[36:37], v[78:79], v[66:67]
	v_mul_f64 v[36:37], v[46:47], v[46:47]
	v_fma_f64 v[11:12], v[46:47], v[56:57], -v[11:12]
	v_add_f64 v[13:14], v[13:14], -v[38:39]
	v_and_b32_e32 v38, 1, v30
	v_add_f64 v[15:16], v[60:61], v[15:16]
	v_div_fmas_f64 v[23:24], v[23:24], v[40:41], v[50:51]
	s_mov_b32 vcc_lo, s4
	v_div_fmas_f64 v[27:28], v[27:28], v[42:43], v[76:77]
	s_mov_b32 vcc_lo, s5
	v_div_fmas_f64 v[32:33], v[32:33], v[44:45], v[78:79]
	v_fma_f64 v[36:37], v[36:37], v[48:49], v[52:53]
	v_fma_f64 v[11:12], v[70:71], s[22:23], v[11:12]
	v_xor_b32_e32 v14, 0x80000000, v14
	v_cmp_eq_u32_e32 vcc_lo, 0, v38
	v_cndmask_b32_e32 v38, v14, v16, vcc_lo
	v_cndmask_b32_e32 v39, v13, v15, vcc_lo
	v_cmp_class_f64_e64 vcc_lo, v[5:6], 0x1f8
	v_div_fixup_f64 v[13:14], v[23:24], v[34:35], v[25:26]
	v_lshlrev_b32_e32 v5, 30, v30
	v_and_b32_e32 v5, 0x80000000, v5
	v_div_fixup_f64 v[15:16], v[32:33], v[21:22], v[19:20]
	v_add_f64 v[19:20], v[72:73], v[36:37]
	v_add_f64 v[7:8], v[7:8], -v[11:12]
	v_xor_b32_e32 v5, v38, v5
	v_and_b32_e32 v21, 1, v29
	v_cmp_eq_u32_e64 s4, 0, v21
	v_cndmask_b32_e32 v11, 0, v39, vcc_lo
	v_cndmask_b32_e32 v12, 0x7ff80000, v5, vcc_lo
	v_lshlrev_b32_e32 v5, 30, v29
	v_add_f64 v[13:14], v[13:14], 1.0
	v_xor_b32_e32 v5, v5, v6
	v_mul_f64 v[11:12], v[15:16], v[11:12]
	v_and_b32_e32 v5, 0x80000000, v5
	v_cndmask_b32_e64 v6, v20, v8, s4
	v_cndmask_b32_e64 v7, v19, v7, s4
	v_xor_b32_e32 v6, v6, v5
	v_cndmask_b32_e32 v5, 0, v7, vcc_lo
	v_div_fixup_f64 v[7:8], v[27:28], v[17:18], s[14:15]
	v_cndmask_b32_e32 v6, 0x7ff80000, v6, vcc_lo
	v_fma_f64 v[5:6], v[13:14], v[5:6], -v[11:12]
	v_mul_f64 v[11:12], v[7:8], v[5:6]
.LBB5_89:
	s_or_b32 exec_lo, exec_lo, s18
.LBB5_90:
	s_or_b32 exec_lo, exec_lo, s17
.LBB5_91:
	s_or_b32 exec_lo, exec_lo, s16
	s_add_u32 s4, s8, s12
	s_addc_u32 s5, s9, s13
	v_add_co_u32 v5, s12, s4, v31
	v_add_co_ci_u32_e64 v6, null, s5, 0, s12
	global_store_dwordx4 v31, v[1:4], s[4:5]
	v_add_co_u32 v5, vcc_lo, 0x1000, v5
	v_add_co_ci_u32_e64 v6, null, 0, v6, vcc_lo
	global_store_dwordx4 v[5:6], v[9:12], off
.LBB5_92:
	s_endpgm
	.section	.rodata,"a",@progbits
	.p2align	6, 0x0
	.amdhsa_kernel _ZN2at6native29vectorized_elementwise_kernelILi2EZZZNS0_12_GLOBAL__N_119airy_ai_kernel_cudaERNS_18TensorIteratorBaseEENKUlvE_clEvENKUlvE_clEvEUldE_St5arrayIPcLm2EEEEviT0_T1_
		.amdhsa_group_segment_fixed_size 0
		.amdhsa_private_segment_fixed_size 0
		.amdhsa_kernarg_size 24
		.amdhsa_user_sgpr_count 6
		.amdhsa_user_sgpr_private_segment_buffer 1
		.amdhsa_user_sgpr_dispatch_ptr 0
		.amdhsa_user_sgpr_queue_ptr 0
		.amdhsa_user_sgpr_kernarg_segment_ptr 1
		.amdhsa_user_sgpr_dispatch_id 0
		.amdhsa_user_sgpr_flat_scratch_init 0
		.amdhsa_user_sgpr_private_segment_size 0
		.amdhsa_wavefront_size32 1
		.amdhsa_uses_dynamic_stack 0
		.amdhsa_system_sgpr_private_segment_wavefront_offset 0
		.amdhsa_system_sgpr_workgroup_id_x 1
		.amdhsa_system_sgpr_workgroup_id_y 0
		.amdhsa_system_sgpr_workgroup_id_z 0
		.amdhsa_system_sgpr_workgroup_info 0
		.amdhsa_system_vgpr_workitem_id 0
		.amdhsa_next_free_vgpr 86
		.amdhsa_next_free_sgpr 47
		.amdhsa_reserve_vcc 1
		.amdhsa_reserve_flat_scratch 0
		.amdhsa_float_round_mode_32 0
		.amdhsa_float_round_mode_16_64 0
		.amdhsa_float_denorm_mode_32 3
		.amdhsa_float_denorm_mode_16_64 3
		.amdhsa_dx10_clamp 1
		.amdhsa_ieee_mode 1
		.amdhsa_fp16_overflow 0
		.amdhsa_workgroup_processor_mode 1
		.amdhsa_memory_ordered 1
		.amdhsa_forward_progress 1
		.amdhsa_shared_vgpr_count 0
		.amdhsa_exception_fp_ieee_invalid_op 0
		.amdhsa_exception_fp_denorm_src 0
		.amdhsa_exception_fp_ieee_div_zero 0
		.amdhsa_exception_fp_ieee_overflow 0
		.amdhsa_exception_fp_ieee_underflow 0
		.amdhsa_exception_fp_ieee_inexact 0
		.amdhsa_exception_int_div_zero 0
	.end_amdhsa_kernel
	.section	.text._ZN2at6native29vectorized_elementwise_kernelILi2EZZZNS0_12_GLOBAL__N_119airy_ai_kernel_cudaERNS_18TensorIteratorBaseEENKUlvE_clEvENKUlvE_clEvEUldE_St5arrayIPcLm2EEEEviT0_T1_,"axG",@progbits,_ZN2at6native29vectorized_elementwise_kernelILi2EZZZNS0_12_GLOBAL__N_119airy_ai_kernel_cudaERNS_18TensorIteratorBaseEENKUlvE_clEvENKUlvE_clEvEUldE_St5arrayIPcLm2EEEEviT0_T1_,comdat
.Lfunc_end5:
	.size	_ZN2at6native29vectorized_elementwise_kernelILi2EZZZNS0_12_GLOBAL__N_119airy_ai_kernel_cudaERNS_18TensorIteratorBaseEENKUlvE_clEvENKUlvE_clEvEUldE_St5arrayIPcLm2EEEEviT0_T1_, .Lfunc_end5-_ZN2at6native29vectorized_elementwise_kernelILi2EZZZNS0_12_GLOBAL__N_119airy_ai_kernel_cudaERNS_18TensorIteratorBaseEENKUlvE_clEvENKUlvE_clEvEUldE_St5arrayIPcLm2EEEEviT0_T1_
                                        ; -- End function
	.set _ZN2at6native29vectorized_elementwise_kernelILi2EZZZNS0_12_GLOBAL__N_119airy_ai_kernel_cudaERNS_18TensorIteratorBaseEENKUlvE_clEvENKUlvE_clEvEUldE_St5arrayIPcLm2EEEEviT0_T1_.num_vgpr, max(82, .L_ZN2at6native25elementwise_kernel_helperILb0EZZZNS0_12_GLOBAL__N_119airy_ai_kernel_cudaERNS_18TensorIteratorBaseEENKUlvE_clEvENKUlvE_clEvEUldE_NS0_6memory8policies11unroll_baseILi256ESt5arrayIPcLm2EE23TrivialOffsetCalculatorILi1EjESF_NS8_15LoadWithoutCastENS8_16StoreWithoutCastELi4ELi1EEEEEvT0_T1_.num_vgpr)
	.set _ZN2at6native29vectorized_elementwise_kernelILi2EZZZNS0_12_GLOBAL__N_119airy_ai_kernel_cudaERNS_18TensorIteratorBaseEENKUlvE_clEvENKUlvE_clEvEUldE_St5arrayIPcLm2EEEEviT0_T1_.num_agpr, max(0, .L_ZN2at6native25elementwise_kernel_helperILb0EZZZNS0_12_GLOBAL__N_119airy_ai_kernel_cudaERNS_18TensorIteratorBaseEENKUlvE_clEvENKUlvE_clEvEUldE_NS0_6memory8policies11unroll_baseILi256ESt5arrayIPcLm2EE23TrivialOffsetCalculatorILi1EjESF_NS8_15LoadWithoutCastENS8_16StoreWithoutCastELi4ELi1EEEEEvT0_T1_.num_agpr)
	.set _ZN2at6native29vectorized_elementwise_kernelILi2EZZZNS0_12_GLOBAL__N_119airy_ai_kernel_cudaERNS_18TensorIteratorBaseEENKUlvE_clEvENKUlvE_clEvEUldE_St5arrayIPcLm2EEEEviT0_T1_.numbered_sgpr, max(33, .L_ZN2at6native25elementwise_kernel_helperILb0EZZZNS0_12_GLOBAL__N_119airy_ai_kernel_cudaERNS_18TensorIteratorBaseEENKUlvE_clEvENKUlvE_clEvEUldE_NS0_6memory8policies11unroll_baseILi256ESt5arrayIPcLm2EE23TrivialOffsetCalculatorILi1EjESF_NS8_15LoadWithoutCastENS8_16StoreWithoutCastELi4ELi1EEEEEvT0_T1_.numbered_sgpr)
	.set _ZN2at6native29vectorized_elementwise_kernelILi2EZZZNS0_12_GLOBAL__N_119airy_ai_kernel_cudaERNS_18TensorIteratorBaseEENKUlvE_clEvENKUlvE_clEvEUldE_St5arrayIPcLm2EEEEviT0_T1_.num_named_barrier, max(0, .L_ZN2at6native25elementwise_kernel_helperILb0EZZZNS0_12_GLOBAL__N_119airy_ai_kernel_cudaERNS_18TensorIteratorBaseEENKUlvE_clEvENKUlvE_clEvEUldE_NS0_6memory8policies11unroll_baseILi256ESt5arrayIPcLm2EE23TrivialOffsetCalculatorILi1EjESF_NS8_15LoadWithoutCastENS8_16StoreWithoutCastELi4ELi1EEEEEvT0_T1_.num_named_barrier)
	.set _ZN2at6native29vectorized_elementwise_kernelILi2EZZZNS0_12_GLOBAL__N_119airy_ai_kernel_cudaERNS_18TensorIteratorBaseEENKUlvE_clEvENKUlvE_clEvEUldE_St5arrayIPcLm2EEEEviT0_T1_.private_seg_size, 0+max(.L_ZN2at6native25elementwise_kernel_helperILb0EZZZNS0_12_GLOBAL__N_119airy_ai_kernel_cudaERNS_18TensorIteratorBaseEENKUlvE_clEvENKUlvE_clEvEUldE_NS0_6memory8policies11unroll_baseILi256ESt5arrayIPcLm2EE23TrivialOffsetCalculatorILi1EjESF_NS8_15LoadWithoutCastENS8_16StoreWithoutCastELi4ELi1EEEEEvT0_T1_.private_seg_size)
	.set _ZN2at6native29vectorized_elementwise_kernelILi2EZZZNS0_12_GLOBAL__N_119airy_ai_kernel_cudaERNS_18TensorIteratorBaseEENKUlvE_clEvENKUlvE_clEvEUldE_St5arrayIPcLm2EEEEviT0_T1_.uses_vcc, or(1, .L_ZN2at6native25elementwise_kernel_helperILb0EZZZNS0_12_GLOBAL__N_119airy_ai_kernel_cudaERNS_18TensorIteratorBaseEENKUlvE_clEvENKUlvE_clEvEUldE_NS0_6memory8policies11unroll_baseILi256ESt5arrayIPcLm2EE23TrivialOffsetCalculatorILi1EjESF_NS8_15LoadWithoutCastENS8_16StoreWithoutCastELi4ELi1EEEEEvT0_T1_.uses_vcc)
	.set _ZN2at6native29vectorized_elementwise_kernelILi2EZZZNS0_12_GLOBAL__N_119airy_ai_kernel_cudaERNS_18TensorIteratorBaseEENKUlvE_clEvENKUlvE_clEvEUldE_St5arrayIPcLm2EEEEviT0_T1_.uses_flat_scratch, or(0, .L_ZN2at6native25elementwise_kernel_helperILb0EZZZNS0_12_GLOBAL__N_119airy_ai_kernel_cudaERNS_18TensorIteratorBaseEENKUlvE_clEvENKUlvE_clEvEUldE_NS0_6memory8policies11unroll_baseILi256ESt5arrayIPcLm2EE23TrivialOffsetCalculatorILi1EjESF_NS8_15LoadWithoutCastENS8_16StoreWithoutCastELi4ELi1EEEEEvT0_T1_.uses_flat_scratch)
	.set _ZN2at6native29vectorized_elementwise_kernelILi2EZZZNS0_12_GLOBAL__N_119airy_ai_kernel_cudaERNS_18TensorIteratorBaseEENKUlvE_clEvENKUlvE_clEvEUldE_St5arrayIPcLm2EEEEviT0_T1_.has_dyn_sized_stack, or(0, .L_ZN2at6native25elementwise_kernel_helperILb0EZZZNS0_12_GLOBAL__N_119airy_ai_kernel_cudaERNS_18TensorIteratorBaseEENKUlvE_clEvENKUlvE_clEvEUldE_NS0_6memory8policies11unroll_baseILi256ESt5arrayIPcLm2EE23TrivialOffsetCalculatorILi1EjESF_NS8_15LoadWithoutCastENS8_16StoreWithoutCastELi4ELi1EEEEEvT0_T1_.has_dyn_sized_stack)
	.set _ZN2at6native29vectorized_elementwise_kernelILi2EZZZNS0_12_GLOBAL__N_119airy_ai_kernel_cudaERNS_18TensorIteratorBaseEENKUlvE_clEvENKUlvE_clEvEUldE_St5arrayIPcLm2EEEEviT0_T1_.has_recursion, or(0, .L_ZN2at6native25elementwise_kernel_helperILb0EZZZNS0_12_GLOBAL__N_119airy_ai_kernel_cudaERNS_18TensorIteratorBaseEENKUlvE_clEvENKUlvE_clEvEUldE_NS0_6memory8policies11unroll_baseILi256ESt5arrayIPcLm2EE23TrivialOffsetCalculatorILi1EjESF_NS8_15LoadWithoutCastENS8_16StoreWithoutCastELi4ELi1EEEEEvT0_T1_.has_recursion)
	.set _ZN2at6native29vectorized_elementwise_kernelILi2EZZZNS0_12_GLOBAL__N_119airy_ai_kernel_cudaERNS_18TensorIteratorBaseEENKUlvE_clEvENKUlvE_clEvEUldE_St5arrayIPcLm2EEEEviT0_T1_.has_indirect_call, or(0, .L_ZN2at6native25elementwise_kernel_helperILb0EZZZNS0_12_GLOBAL__N_119airy_ai_kernel_cudaERNS_18TensorIteratorBaseEENKUlvE_clEvENKUlvE_clEvEUldE_NS0_6memory8policies11unroll_baseILi256ESt5arrayIPcLm2EE23TrivialOffsetCalculatorILi1EjESF_NS8_15LoadWithoutCastENS8_16StoreWithoutCastELi4ELi1EEEEEvT0_T1_.has_indirect_call)
	.section	.AMDGPU.csdata,"",@progbits
; Kernel info:
; codeLenInByte = 25844
; TotalNumSgprs: 49
; NumVgprs: 86
; ScratchSize: 0
; MemoryBound: 0
; FloatMode: 240
; IeeeMode: 1
; LDSByteSize: 0 bytes/workgroup (compile time only)
; SGPRBlocks: 0
; VGPRBlocks: 10
; NumSGPRsForWavesPerEU: 49
; NumVGPRsForWavesPerEU: 86
; Occupancy: 10
; WaveLimiterHint : 1
; COMPUTE_PGM_RSRC2:SCRATCH_EN: 0
; COMPUTE_PGM_RSRC2:USER_SGPR: 6
; COMPUTE_PGM_RSRC2:TRAP_HANDLER: 0
; COMPUTE_PGM_RSRC2:TGID_X_EN: 1
; COMPUTE_PGM_RSRC2:TGID_Y_EN: 0
; COMPUTE_PGM_RSRC2:TGID_Z_EN: 0
; COMPUTE_PGM_RSRC2:TIDIG_COMP_CNT: 0
	.section	.text._ZN2at6native27unrolled_elementwise_kernelIZZZNS0_12_GLOBAL__N_119airy_ai_kernel_cudaERNS_18TensorIteratorBaseEENKUlvE_clEvENKUlvE_clEvEUldE_St5arrayIPcLm2EELi4E23TrivialOffsetCalculatorILi1EjESC_NS0_6memory15LoadWithoutCastENSD_16StoreWithoutCastEEEviT_T0_T2_T3_T4_T5_,"axG",@progbits,_ZN2at6native27unrolled_elementwise_kernelIZZZNS0_12_GLOBAL__N_119airy_ai_kernel_cudaERNS_18TensorIteratorBaseEENKUlvE_clEvENKUlvE_clEvEUldE_St5arrayIPcLm2EELi4E23TrivialOffsetCalculatorILi1EjESC_NS0_6memory15LoadWithoutCastENSD_16StoreWithoutCastEEEviT_T0_T2_T3_T4_T5_,comdat
	.globl	_ZN2at6native27unrolled_elementwise_kernelIZZZNS0_12_GLOBAL__N_119airy_ai_kernel_cudaERNS_18TensorIteratorBaseEENKUlvE_clEvENKUlvE_clEvEUldE_St5arrayIPcLm2EELi4E23TrivialOffsetCalculatorILi1EjESC_NS0_6memory15LoadWithoutCastENSD_16StoreWithoutCastEEEviT_T0_T2_T3_T4_T5_ ; -- Begin function _ZN2at6native27unrolled_elementwise_kernelIZZZNS0_12_GLOBAL__N_119airy_ai_kernel_cudaERNS_18TensorIteratorBaseEENKUlvE_clEvENKUlvE_clEvEUldE_St5arrayIPcLm2EELi4E23TrivialOffsetCalculatorILi1EjESC_NS0_6memory15LoadWithoutCastENSD_16StoreWithoutCastEEEviT_T0_T2_T3_T4_T5_
	.p2align	8
	.type	_ZN2at6native27unrolled_elementwise_kernelIZZZNS0_12_GLOBAL__N_119airy_ai_kernel_cudaERNS_18TensorIteratorBaseEENKUlvE_clEvENKUlvE_clEvEUldE_St5arrayIPcLm2EELi4E23TrivialOffsetCalculatorILi1EjESC_NS0_6memory15LoadWithoutCastENSD_16StoreWithoutCastEEEviT_T0_T2_T3_T4_T5_,@function
_ZN2at6native27unrolled_elementwise_kernelIZZZNS0_12_GLOBAL__N_119airy_ai_kernel_cudaERNS_18TensorIteratorBaseEENKUlvE_clEvENKUlvE_clEvEUldE_St5arrayIPcLm2EELi4E23TrivialOffsetCalculatorILi1EjESC_NS0_6memory15LoadWithoutCastENSD_16StoreWithoutCastEEEviT_T0_T2_T3_T4_T5_: ; @_ZN2at6native27unrolled_elementwise_kernelIZZZNS0_12_GLOBAL__N_119airy_ai_kernel_cudaERNS_18TensorIteratorBaseEENKUlvE_clEvENKUlvE_clEvEUldE_St5arrayIPcLm2EELi4E23TrivialOffsetCalculatorILi1EjESC_NS0_6memory15LoadWithoutCastENSD_16StoreWithoutCastEEEviT_T0_T2_T3_T4_T5_
; %bb.0:
	s_add_u32 s0, s0, s7
	s_clause 0x1
	s_load_dword s7, s[4:5], 0x0
	s_load_dwordx4 s[8:11], s[4:5], 0x8
	s_addc_u32 s1, s1, 0
	s_lshl_b32 s12, s6, 10
	s_getpc_b64 s[4:5]
	s_add_u32 s4, s4, _ZN2at6native25elementwise_kernel_helperILb0EZZZNS0_12_GLOBAL__N_119airy_ai_kernel_cudaERNS_18TensorIteratorBaseEENKUlvE_clEvENKUlvE_clEvEUldE_NS0_6memory8policies11unroll_baseILi256ESt5arrayIPcLm2EE23TrivialOffsetCalculatorILi1EjESF_NS8_15LoadWithoutCastENS8_16StoreWithoutCastELi4ELi1EEEEEvT0_T1_@rel32@lo+4
	s_addc_u32 s5, s5, _ZN2at6native25elementwise_kernel_helperILb0EZZZNS0_12_GLOBAL__N_119airy_ai_kernel_cudaERNS_18TensorIteratorBaseEENKUlvE_clEvENKUlvE_clEvEUldE_NS0_6memory8policies11unroll_baseILi256ESt5arrayIPcLm2EE23TrivialOffsetCalculatorILi1EjESF_NS8_15LoadWithoutCastENS8_16StoreWithoutCastELi4ELi1EEEEEvT0_T1_@rel32@hi+12
	v_mov_b32_e32 v31, v0
	s_mov_b32 s32, 0
	s_waitcnt lgkmcnt(0)
	s_sub_i32 s7, s7, s12
	v_mov_b32_e32 v0, s8
	v_mov_b32_e32 v1, s9
	;; [unrolled: 1-line block ×5, first 2 shown]
	s_mov_b32 s12, s6
	s_swappc_b64 s[30:31], s[4:5]
	s_endpgm
	.section	.rodata,"a",@progbits
	.p2align	6, 0x0
	.amdhsa_kernel _ZN2at6native27unrolled_elementwise_kernelIZZZNS0_12_GLOBAL__N_119airy_ai_kernel_cudaERNS_18TensorIteratorBaseEENKUlvE_clEvENKUlvE_clEvEUldE_St5arrayIPcLm2EELi4E23TrivialOffsetCalculatorILi1EjESC_NS0_6memory15LoadWithoutCastENSD_16StoreWithoutCastEEEviT_T0_T2_T3_T4_T5_
		.amdhsa_group_segment_fixed_size 0
		.amdhsa_private_segment_fixed_size 0
		.amdhsa_kernarg_size 28
		.amdhsa_user_sgpr_count 6
		.amdhsa_user_sgpr_private_segment_buffer 1
		.amdhsa_user_sgpr_dispatch_ptr 0
		.amdhsa_user_sgpr_queue_ptr 0
		.amdhsa_user_sgpr_kernarg_segment_ptr 1
		.amdhsa_user_sgpr_dispatch_id 0
		.amdhsa_user_sgpr_flat_scratch_init 0
		.amdhsa_user_sgpr_private_segment_size 0
		.amdhsa_wavefront_size32 1
		.amdhsa_uses_dynamic_stack 0
		.amdhsa_system_sgpr_private_segment_wavefront_offset 0
		.amdhsa_system_sgpr_workgroup_id_x 1
		.amdhsa_system_sgpr_workgroup_id_y 0
		.amdhsa_system_sgpr_workgroup_id_z 0
		.amdhsa_system_sgpr_workgroup_info 0
		.amdhsa_system_vgpr_workitem_id 0
		.amdhsa_next_free_vgpr 86
		.amdhsa_next_free_sgpr 47
		.amdhsa_reserve_vcc 1
		.amdhsa_reserve_flat_scratch 0
		.amdhsa_float_round_mode_32 0
		.amdhsa_float_round_mode_16_64 0
		.amdhsa_float_denorm_mode_32 3
		.amdhsa_float_denorm_mode_16_64 3
		.amdhsa_dx10_clamp 1
		.amdhsa_ieee_mode 1
		.amdhsa_fp16_overflow 0
		.amdhsa_workgroup_processor_mode 1
		.amdhsa_memory_ordered 1
		.amdhsa_forward_progress 1
		.amdhsa_shared_vgpr_count 0
		.amdhsa_exception_fp_ieee_invalid_op 0
		.amdhsa_exception_fp_denorm_src 0
		.amdhsa_exception_fp_ieee_div_zero 0
		.amdhsa_exception_fp_ieee_overflow 0
		.amdhsa_exception_fp_ieee_underflow 0
		.amdhsa_exception_fp_ieee_inexact 0
		.amdhsa_exception_int_div_zero 0
	.end_amdhsa_kernel
	.section	.text._ZN2at6native27unrolled_elementwise_kernelIZZZNS0_12_GLOBAL__N_119airy_ai_kernel_cudaERNS_18TensorIteratorBaseEENKUlvE_clEvENKUlvE_clEvEUldE_St5arrayIPcLm2EELi4E23TrivialOffsetCalculatorILi1EjESC_NS0_6memory15LoadWithoutCastENSD_16StoreWithoutCastEEEviT_T0_T2_T3_T4_T5_,"axG",@progbits,_ZN2at6native27unrolled_elementwise_kernelIZZZNS0_12_GLOBAL__N_119airy_ai_kernel_cudaERNS_18TensorIteratorBaseEENKUlvE_clEvENKUlvE_clEvEUldE_St5arrayIPcLm2EELi4E23TrivialOffsetCalculatorILi1EjESC_NS0_6memory15LoadWithoutCastENSD_16StoreWithoutCastEEEviT_T0_T2_T3_T4_T5_,comdat
.Lfunc_end6:
	.size	_ZN2at6native27unrolled_elementwise_kernelIZZZNS0_12_GLOBAL__N_119airy_ai_kernel_cudaERNS_18TensorIteratorBaseEENKUlvE_clEvENKUlvE_clEvEUldE_St5arrayIPcLm2EELi4E23TrivialOffsetCalculatorILi1EjESC_NS0_6memory15LoadWithoutCastENSD_16StoreWithoutCastEEEviT_T0_T2_T3_T4_T5_, .Lfunc_end6-_ZN2at6native27unrolled_elementwise_kernelIZZZNS0_12_GLOBAL__N_119airy_ai_kernel_cudaERNS_18TensorIteratorBaseEENKUlvE_clEvENKUlvE_clEvEUldE_St5arrayIPcLm2EELi4E23TrivialOffsetCalculatorILi1EjESC_NS0_6memory15LoadWithoutCastENSD_16StoreWithoutCastEEEviT_T0_T2_T3_T4_T5_
                                        ; -- End function
	.set _ZN2at6native27unrolled_elementwise_kernelIZZZNS0_12_GLOBAL__N_119airy_ai_kernel_cudaERNS_18TensorIteratorBaseEENKUlvE_clEvENKUlvE_clEvEUldE_St5arrayIPcLm2EELi4E23TrivialOffsetCalculatorILi1EjESC_NS0_6memory15LoadWithoutCastENSD_16StoreWithoutCastEEEviT_T0_T2_T3_T4_T5_.num_vgpr, max(32, .L_ZN2at6native25elementwise_kernel_helperILb0EZZZNS0_12_GLOBAL__N_119airy_ai_kernel_cudaERNS_18TensorIteratorBaseEENKUlvE_clEvENKUlvE_clEvEUldE_NS0_6memory8policies11unroll_baseILi256ESt5arrayIPcLm2EE23TrivialOffsetCalculatorILi1EjESF_NS8_15LoadWithoutCastENS8_16StoreWithoutCastELi4ELi1EEEEEvT0_T1_.num_vgpr)
	.set _ZN2at6native27unrolled_elementwise_kernelIZZZNS0_12_GLOBAL__N_119airy_ai_kernel_cudaERNS_18TensorIteratorBaseEENKUlvE_clEvENKUlvE_clEvEUldE_St5arrayIPcLm2EELi4E23TrivialOffsetCalculatorILi1EjESC_NS0_6memory15LoadWithoutCastENSD_16StoreWithoutCastEEEviT_T0_T2_T3_T4_T5_.num_agpr, max(0, .L_ZN2at6native25elementwise_kernel_helperILb0EZZZNS0_12_GLOBAL__N_119airy_ai_kernel_cudaERNS_18TensorIteratorBaseEENKUlvE_clEvENKUlvE_clEvEUldE_NS0_6memory8policies11unroll_baseILi256ESt5arrayIPcLm2EE23TrivialOffsetCalculatorILi1EjESF_NS8_15LoadWithoutCastENS8_16StoreWithoutCastELi4ELi1EEEEEvT0_T1_.num_agpr)
	.set _ZN2at6native27unrolled_elementwise_kernelIZZZNS0_12_GLOBAL__N_119airy_ai_kernel_cudaERNS_18TensorIteratorBaseEENKUlvE_clEvENKUlvE_clEvEUldE_St5arrayIPcLm2EELi4E23TrivialOffsetCalculatorILi1EjESC_NS0_6memory15LoadWithoutCastENSD_16StoreWithoutCastEEEviT_T0_T2_T3_T4_T5_.numbered_sgpr, max(33, .L_ZN2at6native25elementwise_kernel_helperILb0EZZZNS0_12_GLOBAL__N_119airy_ai_kernel_cudaERNS_18TensorIteratorBaseEENKUlvE_clEvENKUlvE_clEvEUldE_NS0_6memory8policies11unroll_baseILi256ESt5arrayIPcLm2EE23TrivialOffsetCalculatorILi1EjESF_NS8_15LoadWithoutCastENS8_16StoreWithoutCastELi4ELi1EEEEEvT0_T1_.numbered_sgpr)
	.set _ZN2at6native27unrolled_elementwise_kernelIZZZNS0_12_GLOBAL__N_119airy_ai_kernel_cudaERNS_18TensorIteratorBaseEENKUlvE_clEvENKUlvE_clEvEUldE_St5arrayIPcLm2EELi4E23TrivialOffsetCalculatorILi1EjESC_NS0_6memory15LoadWithoutCastENSD_16StoreWithoutCastEEEviT_T0_T2_T3_T4_T5_.num_named_barrier, max(0, .L_ZN2at6native25elementwise_kernel_helperILb0EZZZNS0_12_GLOBAL__N_119airy_ai_kernel_cudaERNS_18TensorIteratorBaseEENKUlvE_clEvENKUlvE_clEvEUldE_NS0_6memory8policies11unroll_baseILi256ESt5arrayIPcLm2EE23TrivialOffsetCalculatorILi1EjESF_NS8_15LoadWithoutCastENS8_16StoreWithoutCastELi4ELi1EEEEEvT0_T1_.num_named_barrier)
	.set _ZN2at6native27unrolled_elementwise_kernelIZZZNS0_12_GLOBAL__N_119airy_ai_kernel_cudaERNS_18TensorIteratorBaseEENKUlvE_clEvENKUlvE_clEvEUldE_St5arrayIPcLm2EELi4E23TrivialOffsetCalculatorILi1EjESC_NS0_6memory15LoadWithoutCastENSD_16StoreWithoutCastEEEviT_T0_T2_T3_T4_T5_.private_seg_size, 0+max(.L_ZN2at6native25elementwise_kernel_helperILb0EZZZNS0_12_GLOBAL__N_119airy_ai_kernel_cudaERNS_18TensorIteratorBaseEENKUlvE_clEvENKUlvE_clEvEUldE_NS0_6memory8policies11unroll_baseILi256ESt5arrayIPcLm2EE23TrivialOffsetCalculatorILi1EjESF_NS8_15LoadWithoutCastENS8_16StoreWithoutCastELi4ELi1EEEEEvT0_T1_.private_seg_size)
	.set _ZN2at6native27unrolled_elementwise_kernelIZZZNS0_12_GLOBAL__N_119airy_ai_kernel_cudaERNS_18TensorIteratorBaseEENKUlvE_clEvENKUlvE_clEvEUldE_St5arrayIPcLm2EELi4E23TrivialOffsetCalculatorILi1EjESC_NS0_6memory15LoadWithoutCastENSD_16StoreWithoutCastEEEviT_T0_T2_T3_T4_T5_.uses_vcc, or(1, .L_ZN2at6native25elementwise_kernel_helperILb0EZZZNS0_12_GLOBAL__N_119airy_ai_kernel_cudaERNS_18TensorIteratorBaseEENKUlvE_clEvENKUlvE_clEvEUldE_NS0_6memory8policies11unroll_baseILi256ESt5arrayIPcLm2EE23TrivialOffsetCalculatorILi1EjESF_NS8_15LoadWithoutCastENS8_16StoreWithoutCastELi4ELi1EEEEEvT0_T1_.uses_vcc)
	.set _ZN2at6native27unrolled_elementwise_kernelIZZZNS0_12_GLOBAL__N_119airy_ai_kernel_cudaERNS_18TensorIteratorBaseEENKUlvE_clEvENKUlvE_clEvEUldE_St5arrayIPcLm2EELi4E23TrivialOffsetCalculatorILi1EjESC_NS0_6memory15LoadWithoutCastENSD_16StoreWithoutCastEEEviT_T0_T2_T3_T4_T5_.uses_flat_scratch, or(0, .L_ZN2at6native25elementwise_kernel_helperILb0EZZZNS0_12_GLOBAL__N_119airy_ai_kernel_cudaERNS_18TensorIteratorBaseEENKUlvE_clEvENKUlvE_clEvEUldE_NS0_6memory8policies11unroll_baseILi256ESt5arrayIPcLm2EE23TrivialOffsetCalculatorILi1EjESF_NS8_15LoadWithoutCastENS8_16StoreWithoutCastELi4ELi1EEEEEvT0_T1_.uses_flat_scratch)
	.set _ZN2at6native27unrolled_elementwise_kernelIZZZNS0_12_GLOBAL__N_119airy_ai_kernel_cudaERNS_18TensorIteratorBaseEENKUlvE_clEvENKUlvE_clEvEUldE_St5arrayIPcLm2EELi4E23TrivialOffsetCalculatorILi1EjESC_NS0_6memory15LoadWithoutCastENSD_16StoreWithoutCastEEEviT_T0_T2_T3_T4_T5_.has_dyn_sized_stack, or(0, .L_ZN2at6native25elementwise_kernel_helperILb0EZZZNS0_12_GLOBAL__N_119airy_ai_kernel_cudaERNS_18TensorIteratorBaseEENKUlvE_clEvENKUlvE_clEvEUldE_NS0_6memory8policies11unroll_baseILi256ESt5arrayIPcLm2EE23TrivialOffsetCalculatorILi1EjESF_NS8_15LoadWithoutCastENS8_16StoreWithoutCastELi4ELi1EEEEEvT0_T1_.has_dyn_sized_stack)
	.set _ZN2at6native27unrolled_elementwise_kernelIZZZNS0_12_GLOBAL__N_119airy_ai_kernel_cudaERNS_18TensorIteratorBaseEENKUlvE_clEvENKUlvE_clEvEUldE_St5arrayIPcLm2EELi4E23TrivialOffsetCalculatorILi1EjESC_NS0_6memory15LoadWithoutCastENSD_16StoreWithoutCastEEEviT_T0_T2_T3_T4_T5_.has_recursion, or(0, .L_ZN2at6native25elementwise_kernel_helperILb0EZZZNS0_12_GLOBAL__N_119airy_ai_kernel_cudaERNS_18TensorIteratorBaseEENKUlvE_clEvENKUlvE_clEvEUldE_NS0_6memory8policies11unroll_baseILi256ESt5arrayIPcLm2EE23TrivialOffsetCalculatorILi1EjESF_NS8_15LoadWithoutCastENS8_16StoreWithoutCastELi4ELi1EEEEEvT0_T1_.has_recursion)
	.set _ZN2at6native27unrolled_elementwise_kernelIZZZNS0_12_GLOBAL__N_119airy_ai_kernel_cudaERNS_18TensorIteratorBaseEENKUlvE_clEvENKUlvE_clEvEUldE_St5arrayIPcLm2EELi4E23TrivialOffsetCalculatorILi1EjESC_NS0_6memory15LoadWithoutCastENSD_16StoreWithoutCastEEEviT_T0_T2_T3_T4_T5_.has_indirect_call, or(0, .L_ZN2at6native25elementwise_kernel_helperILb0EZZZNS0_12_GLOBAL__N_119airy_ai_kernel_cudaERNS_18TensorIteratorBaseEENKUlvE_clEvENKUlvE_clEvEUldE_NS0_6memory8policies11unroll_baseILi256ESt5arrayIPcLm2EE23TrivialOffsetCalculatorILi1EjESF_NS8_15LoadWithoutCastENS8_16StoreWithoutCastELi4ELi1EEEEEvT0_T1_.has_indirect_call)
	.section	.AMDGPU.csdata,"",@progbits
; Kernel info:
; codeLenInByte = 100
; TotalNumSgprs: 49
; NumVgprs: 86
; ScratchSize: 0
; MemoryBound: 0
; FloatMode: 240
; IeeeMode: 1
; LDSByteSize: 0 bytes/workgroup (compile time only)
; SGPRBlocks: 0
; VGPRBlocks: 10
; NumSGPRsForWavesPerEU: 49
; NumVGPRsForWavesPerEU: 86
; Occupancy: 10
; WaveLimiterHint : 0
; COMPUTE_PGM_RSRC2:SCRATCH_EN: 0
; COMPUTE_PGM_RSRC2:USER_SGPR: 6
; COMPUTE_PGM_RSRC2:TRAP_HANDLER: 0
; COMPUTE_PGM_RSRC2:TGID_X_EN: 1
; COMPUTE_PGM_RSRC2:TGID_Y_EN: 0
; COMPUTE_PGM_RSRC2:TGID_Z_EN: 0
; COMPUTE_PGM_RSRC2:TIDIG_COMP_CNT: 0
	.section	.text._ZN2at6native32elementwise_kernel_manual_unrollILi128ELi4EZNS0_22gpu_kernel_impl_nocastIZZZNS0_12_GLOBAL__N_119airy_ai_kernel_cudaERNS_18TensorIteratorBaseEENKUlvE_clEvENKUlvE_clEvEUldE_EEvS5_RKT_EUlibE_EEviT1_,"axG",@progbits,_ZN2at6native32elementwise_kernel_manual_unrollILi128ELi4EZNS0_22gpu_kernel_impl_nocastIZZZNS0_12_GLOBAL__N_119airy_ai_kernel_cudaERNS_18TensorIteratorBaseEENKUlvE_clEvENKUlvE_clEvEUldE_EEvS5_RKT_EUlibE_EEviT1_,comdat
	.globl	_ZN2at6native32elementwise_kernel_manual_unrollILi128ELi4EZNS0_22gpu_kernel_impl_nocastIZZZNS0_12_GLOBAL__N_119airy_ai_kernel_cudaERNS_18TensorIteratorBaseEENKUlvE_clEvENKUlvE_clEvEUldE_EEvS5_RKT_EUlibE_EEviT1_ ; -- Begin function _ZN2at6native32elementwise_kernel_manual_unrollILi128ELi4EZNS0_22gpu_kernel_impl_nocastIZZZNS0_12_GLOBAL__N_119airy_ai_kernel_cudaERNS_18TensorIteratorBaseEENKUlvE_clEvENKUlvE_clEvEUldE_EEvS5_RKT_EUlibE_EEviT1_
	.p2align	8
	.type	_ZN2at6native32elementwise_kernel_manual_unrollILi128ELi4EZNS0_22gpu_kernel_impl_nocastIZZZNS0_12_GLOBAL__N_119airy_ai_kernel_cudaERNS_18TensorIteratorBaseEENKUlvE_clEvENKUlvE_clEvEUldE_EEvS5_RKT_EUlibE_EEviT1_,@function
_ZN2at6native32elementwise_kernel_manual_unrollILi128ELi4EZNS0_22gpu_kernel_impl_nocastIZZZNS0_12_GLOBAL__N_119airy_ai_kernel_cudaERNS_18TensorIteratorBaseEENKUlvE_clEvENKUlvE_clEvEUldE_EEvS5_RKT_EUlibE_EEviT1_: ; @_ZN2at6native32elementwise_kernel_manual_unrollILi128ELi4EZNS0_22gpu_kernel_impl_nocastIZZZNS0_12_GLOBAL__N_119airy_ai_kernel_cudaERNS_18TensorIteratorBaseEENKUlvE_clEvENKUlvE_clEvEUldE_EEvS5_RKT_EUlibE_EEviT1_
; %bb.0:
	s_clause 0x1
	s_load_dword s22, s[4:5], 0x8
	s_load_dword s27, s[4:5], 0x0
	v_lshl_or_b32 v15, s6, 9, v0
	s_add_u32 s2, s4, 8
	s_addc_u32 s3, s5, 0
	s_mov_b32 s0, exec_lo
	v_or_b32_e32 v9, 0x180, v15
	s_waitcnt lgkmcnt(0)
	s_add_i32 s23, s22, -1
	s_cmp_gt_u32 s23, 1
	s_cselect_b32 s24, -1, 0
	v_cmpx_le_i32_e64 s27, v9
	s_xor_b32 s25, exec_lo, s0
	s_cbranch_execz .LBB7_7
; %bb.1:
	s_clause 0x3
	s_load_dwordx4 s[12:15], s[2:3], 0x4
	s_load_dwordx2 s[16:17], s[2:3], 0x14
	s_load_dwordx4 s[8:11], s[2:3], 0xc4
	s_load_dwordx4 s[4:7], s[2:3], 0x148
	s_cmp_lg_u32 s22, 0
	s_mov_b32 s30, exec_lo
	s_cselect_b32 s29, -1, 0
	s_add_u32 s18, s2, 0xc4
	s_addc_u32 s19, s3, 0
	s_min_u32 s28, s23, 15
	s_cmp_gt_u32 s22, 1
	s_cselect_b32 s26, -1, 0
	v_cmpx_gt_i32_e64 s27, v15
	s_cbranch_execz .LBB7_14
; %bb.2:
	s_andn2_b32 vcc_lo, exec_lo, s24
	s_cbranch_vccnz .LBB7_21
; %bb.3:
	s_andn2_b32 vcc_lo, exec_lo, s29
	s_cbranch_vccnz .LBB7_161
; %bb.4:
	s_add_i32 s33, s28, 1
	s_cmp_eq_u32 s23, 2
	s_cbranch_scc1 .LBB7_163
; %bb.5:
	v_mov_b32_e32 v2, 0
	v_mov_b32_e32 v0, 0
	;; [unrolled: 1-line block ×3, first 2 shown]
	s_and_b32 s31, s33, 28
	s_mov_b32 s34, 0
	s_mov_b64 s[0:1], s[2:3]
	s_mov_b64 s[20:21], s[18:19]
.LBB7_6:                                ; =>This Inner Loop Header: Depth=1
	s_clause 0x1
	s_load_dwordx8 s[36:43], s[0:1], 0x4
	s_load_dwordx4 s[52:55], s[0:1], 0x24
	s_load_dwordx8 s[44:51], s[20:21], 0x0
	s_add_u32 s0, s0, 48
	s_addc_u32 s1, s1, 0
	s_add_i32 s34, s34, 4
	s_add_u32 s20, s20, 32
	s_addc_u32 s21, s21, 0
	s_cmp_lg_u32 s31, s34
	s_waitcnt lgkmcnt(0)
	v_mul_hi_u32 v3, s37, v1
	v_add_nc_u32_e32 v3, v1, v3
	v_lshrrev_b32_e32 v3, s38, v3
	v_mul_hi_u32 v4, s40, v3
	v_mul_lo_u32 v6, v3, s36
	v_add_nc_u32_e32 v4, v3, v4
	v_sub_nc_u32_e32 v1, v1, v6
	v_lshrrev_b32_e32 v4, s41, v4
	v_mul_lo_u32 v6, v1, s44
	v_mul_lo_u32 v8, v1, s45
	v_mul_hi_u32 v5, s43, v4
	v_add_nc_u32_e32 v5, v4, v5
	v_lshrrev_b32_e32 v5, s52, v5
	v_mul_hi_u32 v7, s54, v5
	v_mul_lo_u32 v9, v5, s42
	v_add_nc_u32_e32 v1, v5, v7
	v_mul_lo_u32 v7, v4, s39
	v_sub_nc_u32_e32 v4, v4, v9
	v_lshrrev_b32_e32 v1, s55, v1
	v_mul_lo_u32 v9, v4, s48
	v_mul_lo_u32 v4, v4, s49
	v_sub_nc_u32_e32 v3, v3, v7
	v_mul_lo_u32 v10, v1, s53
	v_mul_lo_u32 v7, v3, s46
	;; [unrolled: 1-line block ×3, first 2 shown]
	v_sub_nc_u32_e32 v5, v5, v10
	v_add3_u32 v0, v6, v0, v7
	v_mul_lo_u32 v10, v5, s50
	v_mul_lo_u32 v5, v5, s51
	v_add3_u32 v2, v8, v2, v3
	v_add3_u32 v0, v9, v0, v10
	;; [unrolled: 1-line block ×3, first 2 shown]
	s_cbranch_scc1 .LBB7_6
	s_branch .LBB7_164
.LBB7_7:
	s_andn2_saveexec_b32 s0, s25
	s_cbranch_execz .LBB7_253
.LBB7_8:
	v_cndmask_b32_e64 v4, 0, 1, s24
	s_andn2_b32 vcc_lo, exec_lo, s24
	s_cbranch_vccnz .LBB7_20
; %bb.9:
	s_cmp_lg_u32 s22, 0
	s_waitcnt lgkmcnt(0)
	s_mov_b32 s6, 0
	s_cbranch_scc0 .LBB7_23
; %bb.10:
	s_min_u32 s8, s23, 15
	s_add_i32 s8, s8, 1
	s_cmp_eq_u32 s23, 2
	s_cbranch_scc1 .LBB7_24
; %bb.11:
	v_mov_b32_e32 v7, 0
	v_mov_b32_e32 v0, 0
	v_mov_b32_e32 v1, v15
	s_and_b32 s7, s8, 28
	s_add_u32 s0, s2, 0xc4
	s_addc_u32 s1, s3, 0
	s_mov_b32 s9, 0
	s_mov_b64 s[4:5], s[2:3]
.LBB7_12:                               ; =>This Inner Loop Header: Depth=1
	s_clause 0x1
	s_load_dwordx8 s[12:19], s[4:5], 0x4
	s_load_dwordx4 s[36:39], s[4:5], 0x24
	s_load_dwordx8 s[24:31], s[0:1], 0x0
	s_add_u32 s4, s4, 48
	s_addc_u32 s5, s5, 0
	s_add_i32 s9, s9, 4
	s_add_u32 s0, s0, 32
	s_addc_u32 s1, s1, 0
	s_cmp_lg_u32 s7, s9
	s_waitcnt lgkmcnt(0)
	v_mul_hi_u32 v2, s13, v1
	v_add_nc_u32_e32 v2, v1, v2
	v_lshrrev_b32_e32 v2, s14, v2
	v_mul_hi_u32 v3, s16, v2
	v_mul_lo_u32 v6, v2, s12
	v_add_nc_u32_e32 v3, v2, v3
	v_sub_nc_u32_e32 v1, v1, v6
	v_lshrrev_b32_e32 v3, s17, v3
	v_mul_lo_u32 v6, v1, s24
	v_mul_lo_u32 v10, v1, s25
	v_mul_hi_u32 v5, s19, v3
	v_add_nc_u32_e32 v5, v3, v5
	v_lshrrev_b32_e32 v5, s36, v5
	v_mul_hi_u32 v8, s38, v5
	v_mul_lo_u32 v11, v5, s18
	v_add_nc_u32_e32 v1, v5, v8
	v_mul_lo_u32 v8, v3, s15
	v_sub_nc_u32_e32 v3, v3, v11
	v_lshrrev_b32_e32 v1, s39, v1
	v_mul_lo_u32 v11, v3, s28
	v_mul_lo_u32 v3, v3, s29
	v_sub_nc_u32_e32 v2, v2, v8
	v_mul_lo_u32 v12, v1, s37
	v_mul_lo_u32 v8, v2, s26
	;; [unrolled: 1-line block ×3, first 2 shown]
	v_sub_nc_u32_e32 v5, v5, v12
	v_add3_u32 v0, v6, v0, v8
	v_mul_lo_u32 v12, v5, s30
	v_mul_lo_u32 v5, v5, s31
	v_add3_u32 v2, v10, v7, v2
	v_add3_u32 v0, v11, v0, v12
	;; [unrolled: 1-line block ×3, first 2 shown]
	s_cbranch_scc1 .LBB7_12
; %bb.13:
	s_and_b32 s8, s8, 3
	s_cmp_eq_u32 s8, 0
	s_cbranch_scc0 .LBB7_25
	s_branch .LBB7_27
.LBB7_14:
	s_or_b32 exec_lo, exec_lo, s30
	s_mov_b32 s30, exec_lo
	v_cmpx_gt_i32_e64 s27, v15
	s_cbranch_execz .LBB7_217
.LBB7_15:
	s_andn2_b32 vcc_lo, exec_lo, s24
	s_cbranch_vccnz .LBB7_22
; %bb.16:
	s_andn2_b32 vcc_lo, exec_lo, s29
	s_cbranch_vccnz .LBB7_162
; %bb.17:
	s_add_i32 s33, s28, 1
	s_cmp_eq_u32 s23, 2
	s_cbranch_scc1 .LBB7_183
; %bb.18:
	v_mov_b32_e32 v2, 0
	v_mov_b32_e32 v0, 0
	;; [unrolled: 1-line block ×3, first 2 shown]
	s_and_b32 s31, s33, 28
	s_mov_b32 s34, 0
	s_mov_b64 s[0:1], s[2:3]
	s_mov_b64 s[20:21], s[18:19]
.LBB7_19:                               ; =>This Inner Loop Header: Depth=1
	s_clause 0x1
	s_load_dwordx8 s[36:43], s[0:1], 0x4
	s_load_dwordx4 s[52:55], s[0:1], 0x24
	s_load_dwordx8 s[44:51], s[20:21], 0x0
	s_add_u32 s0, s0, 48
	s_addc_u32 s1, s1, 0
	s_add_i32 s34, s34, 4
	s_add_u32 s20, s20, 32
	s_addc_u32 s21, s21, 0
	s_cmp_eq_u32 s31, s34
	s_waitcnt lgkmcnt(0)
	v_mul_hi_u32 v3, s37, v1
	v_add_nc_u32_e32 v3, v1, v3
	v_lshrrev_b32_e32 v3, s38, v3
	v_mul_hi_u32 v4, s40, v3
	v_mul_lo_u32 v6, v3, s36
	v_add_nc_u32_e32 v4, v3, v4
	v_sub_nc_u32_e32 v1, v1, v6
	v_lshrrev_b32_e32 v4, s41, v4
	v_mul_lo_u32 v6, v1, s44
	v_mul_lo_u32 v8, v1, s45
	v_mul_hi_u32 v5, s43, v4
	v_add_nc_u32_e32 v5, v4, v5
	v_lshrrev_b32_e32 v5, s52, v5
	v_mul_hi_u32 v7, s54, v5
	v_mul_lo_u32 v9, v5, s42
	v_add_nc_u32_e32 v1, v5, v7
	v_mul_lo_u32 v7, v4, s39
	v_sub_nc_u32_e32 v4, v4, v9
	v_lshrrev_b32_e32 v1, s55, v1
	v_mul_lo_u32 v9, v4, s48
	v_mul_lo_u32 v4, v4, s49
	v_sub_nc_u32_e32 v3, v3, v7
	v_mul_lo_u32 v10, v1, s53
	v_mul_lo_u32 v7, v3, s46
	;; [unrolled: 1-line block ×3, first 2 shown]
	v_sub_nc_u32_e32 v5, v5, v10
	v_add3_u32 v0, v6, v0, v7
	v_mul_lo_u32 v10, v5, s50
	v_mul_lo_u32 v5, v5, s51
	v_add3_u32 v2, v8, v2, v3
	v_add3_u32 v0, v9, v0, v10
	v_add3_u32 v2, v4, v2, v5
	s_cbranch_scc0 .LBB7_19
	s_branch .LBB7_184
.LBB7_20:
	s_waitcnt lgkmcnt(0)
	s_mov_b32 s6, -1
                                        ; implicit-def: $vgpr0
                                        ; implicit-def: $vgpr7
	s_branch .LBB7_27
.LBB7_21:
                                        ; implicit-def: $vgpr0
                                        ; implicit-def: $vgpr2
	s_branch .LBB7_168
.LBB7_22:
                                        ; implicit-def: $vgpr0
                                        ; implicit-def: $vgpr2
	s_branch .LBB7_188
.LBB7_23:
	v_mov_b32_e32 v0, 0
	v_mov_b32_e32 v7, 0
	s_branch .LBB7_27
.LBB7_24:
	v_mov_b32_e32 v0, 0
	v_mov_b32_e32 v7, 0
	;; [unrolled: 1-line block ×3, first 2 shown]
	s_mov_b32 s7, 0
	s_and_b32 s8, s8, 3
	s_cmp_eq_u32 s8, 0
	s_cbranch_scc1 .LBB7_27
.LBB7_25:
	s_lshl_b32 s0, s7, 3
	s_mul_i32 s4, s7, 12
	s_add_u32 s0, s2, s0
	s_addc_u32 s1, s3, 0
	s_add_u32 s0, s0, 0xc4
	s_addc_u32 s1, s1, 0
	;; [unrolled: 2-line block ×3, first 2 shown]
	.p2align	6
.LBB7_26:                               ; =>This Inner Loop Header: Depth=1
	s_clause 0x1
	s_load_dwordx2 s[10:11], s[4:5], 0x4
	s_load_dword s7, s[4:5], 0xc
	s_load_dwordx2 s[12:13], s[0:1], 0x0
	s_add_u32 s4, s4, 12
	s_addc_u32 s5, s5, 0
	s_add_u32 s0, s0, 8
	s_addc_u32 s1, s1, 0
	s_add_i32 s8, s8, -1
	s_cmp_lg_u32 s8, 0
	s_waitcnt lgkmcnt(0)
	v_mul_hi_u32 v2, s11, v1
	v_add_nc_u32_e32 v2, v1, v2
	v_lshrrev_b32_e32 v2, s7, v2
	v_mul_lo_u32 v3, v2, s10
	v_sub_nc_u32_e32 v3, v1, v3
	v_mad_u64_u32 v[0:1], null, v3, s12, v[0:1]
	v_mad_u64_u32 v[7:8], null, v3, s13, v[7:8]
	v_mov_b32_e32 v1, v2
	s_cbranch_scc1 .LBB7_26
.LBB7_27:
	s_andn2_b32 vcc_lo, exec_lo, s6
	s_cbranch_vccnz .LBB7_30
; %bb.28:
	s_clause 0x1
	s_load_dwordx4 s[4:7], s[2:3], 0x4
	s_load_dwordx2 s[0:1], s[2:3], 0xc4
	s_cmp_lt_u32 s22, 2
	s_waitcnt lgkmcnt(0)
	v_mul_hi_u32 v0, s5, v15
	v_add_nc_u32_e32 v0, v15, v0
	v_lshrrev_b32_e32 v1, s6, v0
	v_mul_lo_u32 v0, v1, s4
	v_sub_nc_u32_e32 v2, v15, v0
	v_mul_lo_u32 v0, v2, s0
	v_mul_lo_u32 v7, v2, s1
	s_cbranch_scc1 .LBB7_30
; %bb.29:
	s_clause 0x1
	s_load_dwordx4 s[4:7], s[2:3], 0x10
	s_load_dwordx2 s[0:1], s[2:3], 0xcc
	s_waitcnt lgkmcnt(0)
	v_mul_hi_u32 v2, s5, v1
	v_add_nc_u32_e32 v2, v1, v2
	v_lshrrev_b32_e32 v2, s6, v2
	v_mul_lo_u32 v2, v2, s4
	v_sub_nc_u32_e32 v2, v1, v2
	v_mad_u64_u32 v[0:1], null, v2, s0, v[0:1]
	v_mad_u64_u32 v[7:8], null, v2, s1, v[7:8]
.LBB7_30:
	v_cmp_ne_u32_e32 vcc_lo, 1, v4
	v_add_nc_u32_e32 v3, 0x80, v15
	s_cbranch_vccnz .LBB7_36
; %bb.31:
	s_cmp_lg_u32 s22, 0
	s_mov_b32 s6, 0
	s_cbranch_scc0 .LBB7_37
; %bb.32:
	s_min_u32 s8, s23, 15
	s_add_i32 s8, s8, 1
	s_cmp_eq_u32 s23, 2
	s_cbranch_scc1 .LBB7_38
; %bb.33:
	v_mov_b32_e32 v12, 0
	v_mov_b32_e32 v1, 0
	;; [unrolled: 1-line block ×3, first 2 shown]
	s_and_b32 s7, s8, 28
	s_add_u32 s0, s2, 0xc4
	s_addc_u32 s1, s3, 0
	s_mov_b32 s9, 0
	s_mov_b64 s[4:5], s[2:3]
.LBB7_34:                               ; =>This Inner Loop Header: Depth=1
	s_clause 0x1
	s_load_dwordx8 s[12:19], s[4:5], 0x4
	s_load_dwordx4 s[36:39], s[4:5], 0x24
	s_load_dwordx8 s[24:31], s[0:1], 0x0
	s_add_u32 s4, s4, 48
	s_addc_u32 s5, s5, 0
	s_add_i32 s9, s9, 4
	s_add_u32 s0, s0, 32
	s_addc_u32 s1, s1, 0
	s_cmp_lg_u32 s7, s9
	s_waitcnt lgkmcnt(0)
	v_mul_hi_u32 v5, s13, v2
	v_add_nc_u32_e32 v5, v2, v5
	v_lshrrev_b32_e32 v5, s14, v5
	v_mul_hi_u32 v6, s16, v5
	v_mul_lo_u32 v10, v5, s12
	v_add_nc_u32_e32 v6, v5, v6
	v_sub_nc_u32_e32 v2, v2, v10
	v_lshrrev_b32_e32 v6, s17, v6
	v_mul_lo_u32 v10, v2, s24
	v_mul_lo_u32 v13, v2, s25
	v_mul_hi_u32 v8, s19, v6
	v_add_nc_u32_e32 v8, v6, v8
	v_lshrrev_b32_e32 v8, s36, v8
	v_mul_hi_u32 v11, s38, v8
	v_mul_lo_u32 v14, v8, s18
	v_add_nc_u32_e32 v2, v8, v11
	v_mul_lo_u32 v11, v6, s15
	v_sub_nc_u32_e32 v6, v6, v14
	v_lshrrev_b32_e32 v2, s39, v2
	v_mul_lo_u32 v14, v6, s28
	v_mul_lo_u32 v6, v6, s29
	v_sub_nc_u32_e32 v5, v5, v11
	v_mul_lo_u32 v16, v2, s37
	v_mul_lo_u32 v11, v5, s26
	;; [unrolled: 1-line block ×3, first 2 shown]
	v_sub_nc_u32_e32 v8, v8, v16
	v_add3_u32 v1, v10, v1, v11
	v_mul_lo_u32 v16, v8, s30
	v_mul_lo_u32 v8, v8, s31
	v_add3_u32 v5, v13, v12, v5
	v_add3_u32 v1, v14, v1, v16
	;; [unrolled: 1-line block ×3, first 2 shown]
	s_cbranch_scc1 .LBB7_34
; %bb.35:
	s_and_b32 s8, s8, 3
	s_cmp_eq_u32 s8, 0
	s_cbranch_scc0 .LBB7_39
	s_branch .LBB7_41
.LBB7_36:
	s_mov_b32 s6, -1
                                        ; implicit-def: $vgpr1
                                        ; implicit-def: $vgpr12
	s_branch .LBB7_41
.LBB7_37:
	v_mov_b32_e32 v1, 0
	v_mov_b32_e32 v12, 0
	s_branch .LBB7_41
.LBB7_38:
	v_mov_b32_e32 v1, 0
	v_mov_b32_e32 v12, 0
	;; [unrolled: 1-line block ×3, first 2 shown]
	s_mov_b32 s7, 0
	s_and_b32 s8, s8, 3
	s_cmp_eq_u32 s8, 0
	s_cbranch_scc1 .LBB7_41
.LBB7_39:
	s_lshl_b32 s0, s7, 3
	s_mul_i32 s4, s7, 12
	s_add_u32 s0, s2, s0
	s_addc_u32 s1, s3, 0
	s_add_u32 s0, s0, 0xc4
	s_addc_u32 s1, s1, 0
	;; [unrolled: 2-line block ×3, first 2 shown]
	.p2align	6
.LBB7_40:                               ; =>This Inner Loop Header: Depth=1
	s_clause 0x1
	s_load_dwordx2 s[10:11], s[4:5], 0x4
	s_load_dword s7, s[4:5], 0xc
	s_load_dwordx2 s[12:13], s[0:1], 0x0
	s_add_u32 s4, s4, 12
	s_addc_u32 s5, s5, 0
	s_add_u32 s0, s0, 8
	s_addc_u32 s1, s1, 0
	s_add_i32 s8, s8, -1
	s_cmp_lg_u32 s8, 0
	s_waitcnt lgkmcnt(0)
	v_mul_hi_u32 v5, s11, v2
	v_add_nc_u32_e32 v5, v2, v5
	v_lshrrev_b32_e32 v5, s7, v5
	v_mul_lo_u32 v6, v5, s10
	v_sub_nc_u32_e32 v6, v2, v6
	v_mad_u64_u32 v[1:2], null, v6, s12, v[1:2]
	v_mad_u64_u32 v[12:13], null, v6, s13, v[12:13]
	v_mov_b32_e32 v2, v5
	s_cbranch_scc1 .LBB7_40
.LBB7_41:
	s_andn2_b32 vcc_lo, exec_lo, s6
	s_cbranch_vccnz .LBB7_44
; %bb.42:
	s_clause 0x1
	s_load_dwordx4 s[4:7], s[2:3], 0x4
	s_load_dwordx2 s[0:1], s[2:3], 0xc4
	s_cmp_lt_u32 s22, 2
	s_waitcnt lgkmcnt(0)
	v_mul_hi_u32 v1, s5, v3
	v_add_nc_u32_e32 v1, v3, v1
	v_lshrrev_b32_e32 v2, s6, v1
	v_mul_lo_u32 v1, v2, s4
	v_sub_nc_u32_e32 v3, v3, v1
	v_mul_lo_u32 v1, v3, s0
	v_mul_lo_u32 v12, v3, s1
	s_cbranch_scc1 .LBB7_44
; %bb.43:
	s_clause 0x1
	s_load_dwordx4 s[4:7], s[2:3], 0x10
	s_load_dwordx2 s[0:1], s[2:3], 0xcc
	s_waitcnt lgkmcnt(0)
	v_mul_hi_u32 v3, s5, v2
	v_add_nc_u32_e32 v3, v2, v3
	v_lshrrev_b32_e32 v3, s6, v3
	v_mul_lo_u32 v3, v3, s4
	v_sub_nc_u32_e32 v3, v2, v3
	v_mad_u64_u32 v[1:2], null, v3, s0, v[1:2]
	v_mad_u64_u32 v[12:13], null, v3, s1, v[12:13]
.LBB7_44:
	v_cmp_ne_u32_e32 vcc_lo, 1, v4
	v_add_nc_u32_e32 v5, 0x100, v15
	s_cbranch_vccnz .LBB7_50
; %bb.45:
	s_cmp_lg_u32 s22, 0
	s_mov_b32 s6, 0
	s_cbranch_scc0 .LBB7_51
; %bb.46:
	s_min_u32 s8, s23, 15
	s_add_i32 s8, s8, 1
	s_cmp_eq_u32 s23, 2
	s_cbranch_scc1 .LBB7_52
; %bb.47:
	v_mov_b32_e32 v10, 0
	v_mov_b32_e32 v2, 0
	v_mov_b32_e32 v3, v5
	s_and_b32 s7, s8, 28
	s_add_u32 s0, s2, 0xc4
	s_addc_u32 s1, s3, 0
	s_mov_b32 s9, 0
	s_mov_b64 s[4:5], s[2:3]
.LBB7_48:                               ; =>This Inner Loop Header: Depth=1
	s_clause 0x1
	s_load_dwordx8 s[12:19], s[4:5], 0x4
	s_load_dwordx4 s[36:39], s[4:5], 0x24
	s_load_dwordx8 s[24:31], s[0:1], 0x0
	s_add_u32 s4, s4, 48
	s_addc_u32 s5, s5, 0
	s_add_i32 s9, s9, 4
	s_add_u32 s0, s0, 32
	s_addc_u32 s1, s1, 0
	s_cmp_lg_u32 s7, s9
	s_waitcnt lgkmcnt(0)
	v_mul_hi_u32 v6, s13, v3
	v_add_nc_u32_e32 v6, v3, v6
	v_lshrrev_b32_e32 v6, s14, v6
	v_mul_hi_u32 v8, s16, v6
	v_mul_lo_u32 v13, v6, s12
	v_add_nc_u32_e32 v8, v6, v8
	v_sub_nc_u32_e32 v3, v3, v13
	v_lshrrev_b32_e32 v8, s17, v8
	v_mul_lo_u32 v13, v3, s24
	v_mul_lo_u32 v15, v3, s25
	v_mul_hi_u32 v11, s19, v8
	v_add_nc_u32_e32 v11, v8, v11
	v_lshrrev_b32_e32 v11, s36, v11
	v_mul_hi_u32 v14, s38, v11
	v_mul_lo_u32 v16, v11, s18
	v_add_nc_u32_e32 v3, v11, v14
	v_mul_lo_u32 v14, v8, s15
	v_sub_nc_u32_e32 v8, v8, v16
	v_lshrrev_b32_e32 v3, s39, v3
	v_mul_lo_u32 v16, v8, s28
	v_mul_lo_u32 v8, v8, s29
	v_sub_nc_u32_e32 v6, v6, v14
	v_mul_lo_u32 v17, v3, s37
	v_mul_lo_u32 v14, v6, s26
	;; [unrolled: 1-line block ×3, first 2 shown]
	v_sub_nc_u32_e32 v11, v11, v17
	v_add3_u32 v2, v13, v2, v14
	v_mul_lo_u32 v17, v11, s30
	v_mul_lo_u32 v11, v11, s31
	v_add3_u32 v6, v15, v10, v6
	v_add3_u32 v2, v16, v2, v17
	;; [unrolled: 1-line block ×3, first 2 shown]
	s_cbranch_scc1 .LBB7_48
; %bb.49:
	s_and_b32 s8, s8, 3
	s_cmp_eq_u32 s8, 0
	s_cbranch_scc0 .LBB7_53
	s_branch .LBB7_55
.LBB7_50:
	s_mov_b32 s6, -1
                                        ; implicit-def: $vgpr2
                                        ; implicit-def: $vgpr10
	s_branch .LBB7_55
.LBB7_51:
	v_mov_b32_e32 v2, 0
	v_mov_b32_e32 v10, 0
	s_branch .LBB7_55
.LBB7_52:
	v_mov_b32_e32 v2, 0
	v_mov_b32_e32 v10, 0
	;; [unrolled: 1-line block ×3, first 2 shown]
	s_mov_b32 s7, 0
	s_and_b32 s8, s8, 3
	s_cmp_eq_u32 s8, 0
	s_cbranch_scc1 .LBB7_55
.LBB7_53:
	s_lshl_b32 s0, s7, 3
	s_mul_i32 s4, s7, 12
	s_add_u32 s0, s2, s0
	s_addc_u32 s1, s3, 0
	s_add_u32 s0, s0, 0xc4
	s_addc_u32 s1, s1, 0
	;; [unrolled: 2-line block ×3, first 2 shown]
	.p2align	6
.LBB7_54:                               ; =>This Inner Loop Header: Depth=1
	s_clause 0x1
	s_load_dwordx2 s[10:11], s[4:5], 0x4
	s_load_dword s7, s[4:5], 0xc
	s_load_dwordx2 s[12:13], s[0:1], 0x0
	s_add_u32 s4, s4, 12
	s_addc_u32 s5, s5, 0
	s_add_u32 s0, s0, 8
	s_addc_u32 s1, s1, 0
	s_add_i32 s8, s8, -1
	s_cmp_lg_u32 s8, 0
	s_waitcnt lgkmcnt(0)
	v_mul_hi_u32 v6, s11, v3
	v_add_nc_u32_e32 v6, v3, v6
	v_lshrrev_b32_e32 v6, s7, v6
	v_mul_lo_u32 v8, v6, s10
	v_sub_nc_u32_e32 v8, v3, v8
	v_mad_u64_u32 v[2:3], null, v8, s12, v[2:3]
	v_mad_u64_u32 v[10:11], null, v8, s13, v[10:11]
	v_mov_b32_e32 v3, v6
	s_cbranch_scc1 .LBB7_54
.LBB7_55:
	s_andn2_b32 vcc_lo, exec_lo, s6
	s_cbranch_vccnz .LBB7_58
; %bb.56:
	s_clause 0x1
	s_load_dwordx4 s[4:7], s[2:3], 0x4
	s_load_dwordx2 s[0:1], s[2:3], 0xc4
	s_cmp_lt_u32 s22, 2
	s_waitcnt lgkmcnt(0)
	v_mul_hi_u32 v2, s5, v5
	v_add_nc_u32_e32 v2, v5, v2
	v_lshrrev_b32_e32 v3, s6, v2
	v_mul_lo_u32 v2, v3, s4
	v_sub_nc_u32_e32 v5, v5, v2
	v_mul_lo_u32 v2, v5, s0
	v_mul_lo_u32 v10, v5, s1
	s_cbranch_scc1 .LBB7_58
; %bb.57:
	s_clause 0x1
	s_load_dwordx4 s[4:7], s[2:3], 0x10
	s_load_dwordx2 s[0:1], s[2:3], 0xcc
	s_waitcnt lgkmcnt(0)
	v_mul_hi_u32 v5, s5, v3
	v_add_nc_u32_e32 v5, v3, v5
	v_lshrrev_b32_e32 v5, s6, v5
	v_mul_lo_u32 v5, v5, s4
	v_sub_nc_u32_e32 v5, v3, v5
	v_mad_u64_u32 v[2:3], null, v5, s0, v[2:3]
	v_mad_u64_u32 v[10:11], null, v5, s1, v[10:11]
.LBB7_58:
	v_cmp_ne_u32_e32 vcc_lo, 1, v4
	s_cbranch_vccnz .LBB7_64
; %bb.59:
	s_cmp_lg_u32 s22, 0
	s_mov_b32 s6, 0
	s_cbranch_scc0 .LBB7_65
; %bb.60:
	s_min_u32 s8, s23, 15
	s_add_i32 s8, s8, 1
	s_cmp_eq_u32 s23, 2
	s_cbranch_scc1 .LBB7_66
; %bb.61:
	v_mov_b32_e32 v5, 0
	v_mov_b32_e32 v3, 0
	;; [unrolled: 1-line block ×3, first 2 shown]
	s_and_b32 s7, s8, 28
	s_add_u32 s0, s2, 0xc4
	s_addc_u32 s1, s3, 0
	s_mov_b32 s9, 0
	s_mov_b64 s[4:5], s[2:3]
.LBB7_62:                               ; =>This Inner Loop Header: Depth=1
	s_clause 0x1
	s_load_dwordx8 s[12:19], s[4:5], 0x4
	s_load_dwordx4 s[36:39], s[4:5], 0x24
	s_load_dwordx8 s[24:31], s[0:1], 0x0
	s_add_u32 s4, s4, 48
	s_addc_u32 s5, s5, 0
	s_add_i32 s9, s9, 4
	s_add_u32 s0, s0, 32
	s_addc_u32 s1, s1, 0
	s_cmp_lg_u32 s7, s9
	s_waitcnt lgkmcnt(0)
	v_mul_hi_u32 v6, s13, v4
	v_add_nc_u32_e32 v6, v4, v6
	v_lshrrev_b32_e32 v6, s14, v6
	v_mul_hi_u32 v8, s16, v6
	v_mul_lo_u32 v13, v6, s12
	v_add_nc_u32_e32 v8, v6, v8
	v_sub_nc_u32_e32 v4, v4, v13
	v_lshrrev_b32_e32 v8, s17, v8
	v_mul_lo_u32 v13, v4, s24
	v_mul_lo_u32 v15, v4, s25
	v_mul_hi_u32 v11, s19, v8
	v_add_nc_u32_e32 v11, v8, v11
	v_lshrrev_b32_e32 v11, s36, v11
	v_mul_hi_u32 v14, s38, v11
	v_mul_lo_u32 v16, v11, s18
	v_add_nc_u32_e32 v4, v11, v14
	v_mul_lo_u32 v14, v8, s15
	v_sub_nc_u32_e32 v8, v8, v16
	v_lshrrev_b32_e32 v4, s39, v4
	v_mul_lo_u32 v16, v8, s28
	v_mul_lo_u32 v8, v8, s29
	v_sub_nc_u32_e32 v6, v6, v14
	v_mul_lo_u32 v17, v4, s37
	v_mul_lo_u32 v14, v6, s26
	;; [unrolled: 1-line block ×3, first 2 shown]
	v_sub_nc_u32_e32 v11, v11, v17
	v_add3_u32 v3, v13, v3, v14
	v_mul_lo_u32 v17, v11, s30
	v_mul_lo_u32 v11, v11, s31
	v_add3_u32 v5, v15, v5, v6
	v_add3_u32 v3, v16, v3, v17
	;; [unrolled: 1-line block ×3, first 2 shown]
	s_cbranch_scc1 .LBB7_62
; %bb.63:
	s_and_b32 s8, s8, 3
	s_cmp_eq_u32 s8, 0
	s_cbranch_scc0 .LBB7_67
	s_branch .LBB7_69
.LBB7_64:
	s_mov_b32 s6, -1
                                        ; implicit-def: $vgpr3
                                        ; implicit-def: $vgpr5
	s_branch .LBB7_69
.LBB7_65:
	v_mov_b32_e32 v3, 0
	v_mov_b32_e32 v5, 0
	s_branch .LBB7_69
.LBB7_66:
	v_mov_b32_e32 v3, 0
	v_mov_b32_e32 v5, 0
	;; [unrolled: 1-line block ×3, first 2 shown]
	s_mov_b32 s7, 0
	s_and_b32 s8, s8, 3
	s_cmp_eq_u32 s8, 0
	s_cbranch_scc1 .LBB7_69
.LBB7_67:
	s_lshl_b32 s0, s7, 3
	s_mul_i32 s4, s7, 12
	s_add_u32 s0, s2, s0
	s_addc_u32 s1, s3, 0
	s_add_u32 s0, s0, 0xc4
	s_addc_u32 s1, s1, 0
	;; [unrolled: 2-line block ×3, first 2 shown]
	.p2align	6
.LBB7_68:                               ; =>This Inner Loop Header: Depth=1
	s_clause 0x1
	s_load_dwordx2 s[10:11], s[4:5], 0x4
	s_load_dword s7, s[4:5], 0xc
	s_load_dwordx2 s[12:13], s[0:1], 0x0
	s_add_u32 s4, s4, 12
	s_addc_u32 s5, s5, 0
	s_add_u32 s0, s0, 8
	s_addc_u32 s1, s1, 0
	s_add_i32 s8, s8, -1
	s_cmp_lg_u32 s8, 0
	s_waitcnt lgkmcnt(0)
	v_mul_hi_u32 v6, s11, v4
	v_add_nc_u32_e32 v6, v4, v6
	v_lshrrev_b32_e32 v8, s7, v6
	v_mul_lo_u32 v6, v8, s10
	v_sub_nc_u32_e32 v6, v4, v6
	v_mad_u64_u32 v[3:4], null, v6, s12, v[3:4]
	v_mad_u64_u32 v[5:6], null, v6, s13, v[5:6]
	v_mov_b32_e32 v4, v8
	s_cbranch_scc1 .LBB7_68
.LBB7_69:
	s_andn2_b32 vcc_lo, exec_lo, s6
	s_cbranch_vccnz .LBB7_72
; %bb.70:
	s_clause 0x1
	s_load_dwordx4 s[4:7], s[2:3], 0x4
	s_load_dwordx2 s[0:1], s[2:3], 0xc4
	s_cmp_lt_u32 s22, 2
	s_waitcnt lgkmcnt(0)
	v_mul_hi_u32 v3, s5, v9
	v_add_nc_u32_e32 v3, v9, v3
	v_lshrrev_b32_e32 v4, s6, v3
	v_mul_lo_u32 v3, v4, s4
	v_sub_nc_u32_e32 v5, v9, v3
	v_mul_lo_u32 v3, v5, s0
	v_mul_lo_u32 v5, v5, s1
	s_cbranch_scc1 .LBB7_72
; %bb.71:
	s_clause 0x1
	s_load_dwordx4 s[4:7], s[2:3], 0x10
	s_load_dwordx2 s[0:1], s[2:3], 0xcc
	s_waitcnt lgkmcnt(0)
	v_mul_hi_u32 v6, s5, v4
	v_add_nc_u32_e32 v6, v4, v6
	v_lshrrev_b32_e32 v6, s6, v6
	v_mul_lo_u32 v6, v6, s4
	v_sub_nc_u32_e32 v6, v4, v6
	v_mad_u64_u32 v[3:4], null, v6, s0, v[3:4]
	v_mad_u64_u32 v[5:6], null, v6, s1, v[5:6]
.LBB7_72:
	s_load_dwordx4 s[4:7], s[2:3], 0x148
	v_mov_b32_e32 v8, 0
	v_mov_b32_e32 v9, 0x7ff80000
	s_mov_b32 s8, exec_lo
	s_waitcnt lgkmcnt(0)
	global_load_dwordx2 v[13:14], v7, s[6:7]
	v_mov_b32_e32 v6, 0
	v_mov_b32_e32 v7, 0x7ff80000
	s_waitcnt vmcnt(0)
	v_cmpx_neq_f64_e64 0x7ff00000, |v[13:14]|
	s_cbranch_execz .LBB7_94
; %bb.73:
	v_mov_b32_e32 v6, 0
	v_mov_b32_e32 v7, 0
	s_mov_b32 s0, 0x872b020c
	s_mov_b32 s1, 0x4059f916
	s_mov_b32 s9, exec_lo
	v_cmpx_nlt_f64_e32 s[0:1], v[13:14]
	s_cbranch_execz .LBB7_93
; %bb.74:
	s_mov_b32 s1, 0xc000b851
	s_mov_b32 s0, 0xeb851eb8
                                        ; implicit-def: $vgpr6_vgpr7
	v_cmp_ngt_f64_e32 vcc_lo, s[0:1], v[13:14]
	s_and_saveexec_b32 s1, vcc_lo
	s_xor_b32 s2, exec_lo, s1
	s_cbranch_execz .LBB7_82
; %bb.75:
	s_mov_b32 s1, 0x4000b851
	v_mov_b32_e32 v6, 0
	v_cmp_nle_f64_e64 s3, s[0:1], v[13:14]
	v_cmp_le_f64_e32 vcc_lo, s[0:1], v[13:14]
	v_mov_b32_e32 v7, 0
	s_mov_b32 s0, s3
	s_and_saveexec_b32 s10, vcc_lo
	s_cbranch_execz .LBB7_77
; %bb.76:
	v_cmp_gt_f64_e32 vcc_lo, 0x10000000, v[13:14]
	s_mov_b32 s0, 0x2537b658
	s_mov_b32 s12, 0x2624d31
	;; [unrolled: 1-line block ×4, first 2 shown]
	v_cndmask_b32_e64 v4, 0, 0x100, vcc_lo
	v_ldexp_f64 v[6:7], v[13:14], v4
	v_cndmask_b32_e64 v4, 0, 0xffffff80, vcc_lo
	v_rsq_f64_e32 v[15:16], v[6:7]
	v_cmp_class_f64_e64 vcc_lo, v[6:7], 0x260
	v_mul_f64 v[17:18], v[6:7], v[15:16]
	v_mul_f64 v[15:16], v[15:16], 0.5
	v_fma_f64 v[19:20], -v[15:16], v[17:18], 0.5
	v_fma_f64 v[17:18], v[17:18], v[19:20], v[17:18]
	v_fma_f64 v[15:16], v[15:16], v[19:20], v[15:16]
	v_fma_f64 v[19:20], -v[17:18], v[17:18], v[6:7]
	v_fma_f64 v[17:18], v[19:20], v[15:16], v[17:18]
	v_fma_f64 v[19:20], -v[17:18], v[17:18], v[6:7]
	v_fma_f64 v[15:16], v[19:20], v[15:16], v[17:18]
	v_add_f64 v[17:18], v[13:14], v[13:14]
	v_ldexp_f64 v[15:16], v[15:16], v4
	v_cndmask_b32_e32 v7, v16, v7, vcc_lo
	v_cndmask_b32_e32 v6, v15, v6, vcc_lo
	v_mul_f64 v[15:16], v[17:18], v[6:7]
	v_div_scale_f64 v[17:18], null, 0x40080000, 0x40080000, v[15:16]
	v_div_scale_f64 v[23:24], vcc_lo, v[15:16], 0x40080000, v[15:16]
	v_rcp_f64_e32 v[19:20], v[17:18]
	v_fma_f64 v[21:22], -v[17:18], v[19:20], 1.0
	v_fma_f64 v[19:20], v[19:20], v[21:22], v[19:20]
	v_fma_f64 v[21:22], -v[17:18], v[19:20], 1.0
	v_fma_f64 v[19:20], v[19:20], v[21:22], v[19:20]
	v_mul_f64 v[21:22], v[23:24], v[19:20]
	v_fma_f64 v[17:18], -v[17:18], v[21:22], v[23:24]
	v_div_fmas_f64 v[17:18], v[17:18], v[19:20], v[21:22]
	v_div_fixup_f64 v[15:16], v[17:18], 0x40080000, v[15:16]
	v_div_scale_f64 v[17:18], null, v[15:16], v[15:16], 1.0
	v_div_scale_f64 v[23:24], vcc_lo, 1.0, v[15:16], 1.0
	v_rcp_f64_e32 v[19:20], v[17:18]
	v_fma_f64 v[21:22], -v[17:18], v[19:20], 1.0
	v_fma_f64 v[19:20], v[19:20], v[21:22], v[19:20]
	v_fma_f64 v[21:22], -v[17:18], v[19:20], 1.0
	v_fma_f64 v[19:20], v[19:20], v[21:22], v[19:20]
	v_mul_f64 v[21:22], v[23:24], v[19:20]
	v_fma_f64 v[17:18], -v[17:18], v[21:22], v[23:24]
	v_div_fmas_f64 v[17:18], v[17:18], v[19:20], v[21:22]
	v_cmp_gt_f64_e32 vcc_lo, 0x10000000, v[6:7]
	v_div_fixup_f64 v[17:18], v[17:18], v[15:16], 1.0
	v_cndmask_b32_e64 v4, 0, 0x100, vcc_lo
	v_cndmask_b32_e64 v11, 0, 0xffffff80, vcc_lo
	v_ldexp_f64 v[6:7], v[6:7], v4
	v_fma_f64 v[19:20], v[17:18], 0, s[12:13]
	v_fma_f64 v[21:22], v[17:18], 0, s[0:1]
	s_mov_b32 s0, 0x652b82fe
	s_mov_b32 s1, 0x3ff71547
	s_mov_b32 s12, 0x5332ca5
	v_mul_f64 v[23:24], v[15:16], s[0:1]
	s_mov_b32 s0, 0x871a9067
	s_mov_b32 s1, 0x402803e3
	;; [unrolled: 1-line block ×3, first 2 shown]
	v_fma_f64 v[19:20], v[17:18], v[19:20], s[12:13]
	v_fma_f64 v[21:22], v[17:18], v[21:22], s[0:1]
	s_mov_b32 s0, 0xde2e1e3
	s_mov_b32 s12, 0xb04d51a0
	;; [unrolled: 1-line block ×3, first 2 shown]
	v_rndne_f64_e32 v[23:24], v[23:24]
	s_mov_b32 s13, 0x405520e3
	v_fma_f64 v[19:20], v[17:18], v[19:20], s[12:13]
	v_fma_f64 v[21:22], v[17:18], v[21:22], s[0:1]
	s_mov_b32 s0, 0xfefa39ef
	s_mov_b32 s1, 0xbfe62e42
	;; [unrolled: 1-line block ×3, first 2 shown]
	v_fma_f64 v[25:26], v[23:24], s[0:1], v[15:16]
	s_mov_b32 s0, 0xee40073c
	s_mov_b32 s1, 0x406502da
	;; [unrolled: 1-line block ×3, first 2 shown]
	v_cvt_i32_f64_e32 v4, v[23:24]
	v_fma_f64 v[19:20], v[17:18], v[19:20], s[12:13]
	v_fma_f64 v[21:22], v[17:18], v[21:22], s[0:1]
	s_mov_b32 s0, 0x3b39803f
	s_mov_b32 s1, 0xbc7abc9e
	;; [unrolled: 1-line block ×3, first 2 shown]
	v_fma_f64 v[25:26], v[23:24], s[0:1], v[25:26]
	s_mov_b32 s0, 0x5ba1fddf
	s_mov_b32 s1, 0x4063f834
	;; [unrolled: 1-line block ×3, first 2 shown]
	v_fma_f64 v[19:20], v[17:18], v[19:20], s[12:13]
	v_fma_f64 v[21:22], v[17:18], v[21:22], s[0:1]
	s_mov_b32 s0, 0xfca7ab0c
	s_mov_b32 s12, 0x6a5dcb37
	;; [unrolled: 1-line block ×4, first 2 shown]
	v_fma_f64 v[27:28], v[25:26], s[12:13], s[0:1]
	s_mov_b32 s0, 0x4f4cea4f
	s_mov_b32 s12, 0xee91d35f
	;; [unrolled: 1-line block ×4, first 2 shown]
	v_fma_f64 v[19:20], v[17:18], v[19:20], s[12:13]
	v_fma_f64 v[21:22], v[17:18], v[21:22], s[0:1]
	s_mov_b32 s0, 0x623fde64
	s_mov_b32 s1, 0x3ec71dee
	;; [unrolled: 1-line block ×4, first 2 shown]
	v_fma_f64 v[27:28], v[25:26], v[27:28], s[0:1]
	s_mov_b32 s0, 0x5c2a0f4d
	s_mov_b32 s1, 0x402c0d8d
	v_fma_f64 v[19:20], v[17:18], v[19:20], s[12:13]
	v_fma_f64 v[21:22], v[17:18], v[21:22], s[0:1]
	s_mov_b32 s0, 0x7c89e6b0
	s_mov_b32 s1, 0x3efa0199
	v_fma_f64 v[27:28], v[25:26], v[27:28], s[0:1]
	s_mov_b32 s0, 0x14761f6e
	s_mov_b32 s1, 0x3f2a01a0
	v_fma_f64 v[19:20], v[17:18], v[19:20], 1.0
	v_fma_f64 v[17:18], v[17:18], v[21:22], 1.0
	v_rsq_f64_e32 v[21:22], v[6:7]
	v_fma_f64 v[27:28], v[25:26], v[27:28], s[0:1]
	s_mov_b32 s0, 0x1852b7b0
	s_mov_b32 s1, 0x3f56c16c
	v_div_scale_f64 v[29:30], null, v[19:20], v[19:20], v[17:18]
	v_mul_f64 v[31:32], v[6:7], v[21:22]
	v_mul_f64 v[21:22], v[21:22], 0.5
	v_fma_f64 v[27:28], v[25:26], v[27:28], s[0:1]
	s_mov_b32 s0, 0x11122322
	s_mov_b32 s1, 0x3f811111
	v_rcp_f64_e32 v[33:34], v[29:30]
	v_fma_f64 v[35:36], -v[21:22], v[31:32], 0.5
	v_fma_f64 v[27:28], v[25:26], v[27:28], s[0:1]
	s_mov_b32 s0, 0x555502a1
	s_mov_b32 s1, 0x3fa55555
	v_fma_f64 v[37:38], -v[29:30], v[33:34], 1.0
	v_fma_f64 v[31:32], v[31:32], v[35:36], v[31:32]
	v_fma_f64 v[21:22], v[21:22], v[35:36], v[21:22]
	;; [unrolled: 1-line block ×3, first 2 shown]
	s_mov_b32 s0, 0x55555511
	s_mov_b32 s1, 0x3fc55555
	v_fma_f64 v[33:34], v[33:34], v[37:38], v[33:34]
	v_fma_f64 v[35:36], -v[31:32], v[31:32], v[6:7]
	v_fma_f64 v[27:28], v[25:26], v[27:28], s[0:1]
	s_mov_b32 s0, 11
	s_mov_b32 s1, 0x3fe00000
	v_fma_f64 v[37:38], -v[29:30], v[33:34], 1.0
	v_fma_f64 v[31:32], v[35:36], v[21:22], v[31:32]
	v_fma_f64 v[27:28], v[25:26], v[27:28], s[0:1]
	v_div_scale_f64 v[35:36], s0, v[17:18], v[19:20], v[17:18]
	v_cmp_class_f64_e64 s1, v[6:7], 0x260
	s_mov_b32 vcc_lo, s0
	v_cmp_ngt_f64_e64 s0, 0xc090cc00, v[15:16]
	v_fma_f64 v[33:34], v[33:34], v[37:38], v[33:34]
	v_fma_f64 v[37:38], -v[31:32], v[31:32], v[6:7]
	v_fma_f64 v[27:28], v[25:26], v[27:28], 1.0
	v_mul_f64 v[39:40], v[35:36], v[33:34]
	v_fma_f64 v[21:22], v[37:38], v[21:22], v[31:32]
	v_fma_f64 v[23:24], v[25:26], v[27:28], 1.0
	v_fma_f64 v[25:26], -v[29:30], v[39:40], v[35:36]
	v_ldexp_f64 v[21:22], v[21:22], v11
	v_ldexp_f64 v[23:24], v[23:24], v4
	v_div_fmas_f64 v[25:26], v[25:26], v[33:34], v[39:40]
	v_cmp_nlt_f64_e32 vcc_lo, 0x40900000, v[15:16]
	v_cndmask_b32_e64 v7, v22, v7, s1
	v_cndmask_b32_e64 v6, v21, v6, s1
	v_add_f64 v[6:7], v[6:7], v[6:7]
	v_div_fixup_f64 v[15:16], v[25:26], v[19:20], v[17:18]
	v_cndmask_b32_e32 v4, 0x7ff00000, v24, vcc_lo
	s_and_b32 vcc_lo, s0, vcc_lo
	v_cndmask_b32_e32 v17, 0, v23, vcc_lo
	v_cndmask_b32_e64 v18, 0, v4, s0
	s_mov_b32 s0, 0x50429b6d
	s_mov_b32 s1, 0x3fe20dd7
	v_mul_f64 v[6:7], v[6:7], v[17:18]
	v_mul_f64 v[15:16], v[15:16], s[0:1]
	s_mov_b32 s0, 0xfd0a823a
	s_mov_b32 s1, 0x4020a402
	v_div_scale_f64 v[17:18], null, v[6:7], v[6:7], v[15:16]
	v_rcp_f64_e32 v[19:20], v[17:18]
	v_fma_f64 v[21:22], -v[17:18], v[19:20], 1.0
	v_fma_f64 v[19:20], v[19:20], v[21:22], v[19:20]
	v_fma_f64 v[21:22], -v[17:18], v[19:20], 1.0
	v_fma_f64 v[19:20], v[19:20], v[21:22], v[19:20]
	v_div_scale_f64 v[21:22], vcc_lo, v[15:16], v[6:7], v[15:16]
	v_mul_f64 v[23:24], v[21:22], v[19:20]
	v_fma_f64 v[17:18], -v[17:18], v[23:24], v[21:22]
	v_div_fmas_f64 v[17:18], v[17:18], v[19:20], v[23:24]
	v_cmp_nlt_f64_e32 vcc_lo, s[0:1], v[13:14]
	s_andn2_b32 s0, s3, exec_lo
	v_div_fixup_f64 v[6:7], v[17:18], v[6:7], v[15:16]
	s_and_b32 s1, vcc_lo, exec_lo
	s_or_b32 s0, s0, s1
.LBB7_77:
	s_or_b32 exec_lo, exec_lo, s10
	s_and_saveexec_b32 s1, s0
	s_cbranch_execz .LBB7_81
; %bb.78:
	v_mul_f64 v[15:16], v[13:14], v[13:14]
	v_mov_b32_e32 v21, 0
	v_mov_b32_e32 v23, 0
	;; [unrolled: 1-line block ×6, first 2 shown]
	s_mov_b32 s10, 0
	v_mul_f64 v[17:18], v[13:14], v[15:16]
	v_mov_b32_e32 v15, 0
	v_mov_b32_e32 v16, 0x3ff00000
.LBB7_79:                               ; =>This Inner Loop Header: Depth=1
	v_mul_f64 v[21:22], v[17:18], v[21:22]
	v_add_f64 v[23:24], v[23:24], 1.0
	v_mul_f64 v[13:14], v[17:18], v[13:14]
	v_div_scale_f64 v[25:26], null, v[23:24], v[23:24], v[21:22]
	v_div_scale_f64 v[31:32], vcc_lo, v[21:22], v[23:24], v[21:22]
	v_rcp_f64_e32 v[27:28], v[25:26]
	v_fma_f64 v[29:30], -v[25:26], v[27:28], 1.0
	v_fma_f64 v[27:28], v[27:28], v[29:30], v[27:28]
	v_fma_f64 v[29:30], -v[25:26], v[27:28], 1.0
	v_fma_f64 v[27:28], v[27:28], v[29:30], v[27:28]
	v_mul_f64 v[29:30], v[31:32], v[27:28]
	v_fma_f64 v[25:26], -v[25:26], v[29:30], v[31:32]
	v_div_fmas_f64 v[25:26], v[25:26], v[27:28], v[29:30]
	v_add_f64 v[27:28], v[23:24], 1.0
	v_div_fixup_f64 v[21:22], v[25:26], v[23:24], v[21:22]
	v_div_scale_f64 v[23:24], null, v[27:28], v[27:28], v[13:14]
	v_div_scale_f64 v[37:38], vcc_lo, v[13:14], v[27:28], v[13:14]
	v_div_scale_f64 v[25:26], null, v[27:28], v[27:28], v[21:22]
	v_rcp_f64_e32 v[29:30], v[23:24]
	v_rcp_f64_e32 v[31:32], v[25:26]
	v_fma_f64 v[33:34], -v[23:24], v[29:30], 1.0
	v_fma_f64 v[35:36], -v[25:26], v[31:32], 1.0
	v_fma_f64 v[29:30], v[29:30], v[33:34], v[29:30]
	v_fma_f64 v[31:32], v[31:32], v[35:36], v[31:32]
	v_fma_f64 v[33:34], -v[23:24], v[29:30], 1.0
	v_fma_f64 v[35:36], -v[25:26], v[31:32], 1.0
	v_fma_f64 v[29:30], v[29:30], v[33:34], v[29:30]
	v_div_scale_f64 v[33:34], s0, v[21:22], v[27:28], v[21:22]
	v_fma_f64 v[31:32], v[31:32], v[35:36], v[31:32]
	v_mul_f64 v[35:36], v[37:38], v[29:30]
	v_mul_f64 v[39:40], v[33:34], v[31:32]
	v_fma_f64 v[23:24], -v[23:24], v[35:36], v[37:38]
	v_fma_f64 v[25:26], -v[25:26], v[39:40], v[33:34]
	v_div_fmas_f64 v[29:30], v[23:24], v[29:30], v[35:36]
	s_mov_b32 vcc_lo, s0
	v_div_fmas_f64 v[23:24], v[25:26], v[31:32], v[39:40]
	v_div_fixup_f64 v[13:14], v[29:30], v[27:28], v[13:14]
	v_div_fixup_f64 v[21:22], v[23:24], v[27:28], v[21:22]
	v_add_f64 v[23:24], v[27:28], 1.0
	v_add_f64 v[15:16], v[15:16], v[21:22]
	v_div_scale_f64 v[25:26], null, v[23:24], v[23:24], v[13:14]
	v_div_scale_f64 v[37:38], vcc_lo, v[13:14], v[23:24], v[13:14]
	v_div_scale_f64 v[27:28], null, v[15:16], v[15:16], v[21:22]
	v_rcp_f64_e32 v[29:30], v[25:26]
	v_rcp_f64_e32 v[31:32], v[27:28]
	v_fma_f64 v[33:34], -v[25:26], v[29:30], 1.0
	v_fma_f64 v[35:36], -v[27:28], v[31:32], 1.0
	v_fma_f64 v[29:30], v[29:30], v[33:34], v[29:30]
	v_fma_f64 v[31:32], v[31:32], v[35:36], v[31:32]
	v_fma_f64 v[33:34], -v[25:26], v[29:30], 1.0
	v_fma_f64 v[35:36], -v[27:28], v[31:32], 1.0
	v_fma_f64 v[29:30], v[29:30], v[33:34], v[29:30]
	v_div_scale_f64 v[33:34], s0, v[21:22], v[15:16], v[21:22]
	v_fma_f64 v[31:32], v[31:32], v[35:36], v[31:32]
	v_mul_f64 v[35:36], v[37:38], v[29:30]
	v_mul_f64 v[39:40], v[33:34], v[31:32]
	v_fma_f64 v[25:26], -v[25:26], v[35:36], v[37:38]
	v_fma_f64 v[27:28], -v[27:28], v[39:40], v[33:34]
	v_div_fmas_f64 v[25:26], v[25:26], v[29:30], v[35:36]
	s_mov_b32 vcc_lo, s0
	v_div_fmas_f64 v[27:28], v[27:28], v[31:32], v[39:40]
	v_div_fixup_f64 v[13:14], v[25:26], v[23:24], v[13:14]
	v_div_fixup_f64 v[27:28], v[27:28], v[15:16], v[21:22]
	v_add_f64 v[19:20], v[19:20], v[13:14]
	v_cmp_nlt_f64_e64 s0, 0x3cb00000, |v[27:28]|
	s_or_b32 s10, s0, s10
	s_andn2_b32 exec_lo, exec_lo, s10
	s_cbranch_execnz .LBB7_79
; %bb.80:
	s_or_b32 exec_lo, exec_lo, s10
	s_mov_b32 s10, 0x42b70f8b
	s_mov_b32 s11, 0xbfd0907f
	v_mul_f64 v[13:14], v[19:20], s[10:11]
	s_mov_b32 s10, 0x962715b8
	s_mov_b32 s11, 0x3fd6b8c7
	v_fma_f64 v[13:14], v[15:16], s[10:11], v[13:14]
	v_cndmask_b32_e64 v7, v7, v14, s3
	v_cndmask_b32_e64 v6, v6, v13, s3
.LBB7_81:
	s_or_b32 exec_lo, exec_lo, s1
                                        ; implicit-def: $vgpr13_vgpr14
.LBB7_82:
	s_andn2_saveexec_b32 s10, s2
	s_cbranch_execz .LBB7_92
; %bb.83:
	v_cmp_lt_f64_e32 vcc_lo, 0x90000000, v[13:14]
	s_mov_b32 s1, 0x3fe921fb
	s_mov_b32 s0, 0x54442d18
	v_cndmask_b32_e64 v4, 0, 0x100, vcc_lo
	v_ldexp_f64 v[6:7], -v[13:14], v4
	v_cndmask_b32_e64 v4, 0, 0xffffff80, vcc_lo
	v_mul_f64 v[13:14], v[13:14], -2.0
	v_rsq_f64_e32 v[15:16], v[6:7]
	v_cmp_class_f64_e64 vcc_lo, v[6:7], 0x260
	v_mul_f64 v[17:18], v[6:7], v[15:16]
	v_mul_f64 v[15:16], v[15:16], 0.5
	v_fma_f64 v[19:20], -v[15:16], v[17:18], 0.5
	v_fma_f64 v[17:18], v[17:18], v[19:20], v[17:18]
	v_fma_f64 v[15:16], v[15:16], v[19:20], v[15:16]
	v_fma_f64 v[19:20], -v[17:18], v[17:18], v[6:7]
	v_fma_f64 v[17:18], v[19:20], v[15:16], v[17:18]
	v_fma_f64 v[19:20], -v[17:18], v[17:18], v[6:7]
	v_fma_f64 v[15:16], v[19:20], v[15:16], v[17:18]
	v_ldexp_f64 v[15:16], v[15:16], v4
                                        ; implicit-def: $vgpr4
	v_cndmask_b32_e32 v22, v16, v7, vcc_lo
	v_cndmask_b32_e32 v21, v15, v6, vcc_lo
	v_mul_f64 v[6:7], v[13:14], v[21:22]
	v_div_scale_f64 v[13:14], null, 0x40080000, 0x40080000, v[6:7]
	v_rcp_f64_e32 v[15:16], v[13:14]
	v_fma_f64 v[17:18], -v[13:14], v[15:16], 1.0
	v_fma_f64 v[15:16], v[15:16], v[17:18], v[15:16]
	v_fma_f64 v[17:18], -v[13:14], v[15:16], 1.0
	v_fma_f64 v[15:16], v[15:16], v[17:18], v[15:16]
	v_div_scale_f64 v[17:18], vcc_lo, v[6:7], 0x40080000, v[6:7]
	v_mul_f64 v[19:20], v[17:18], v[15:16]
	v_fma_f64 v[13:14], -v[13:14], v[19:20], v[17:18]
	v_div_fmas_f64 v[13:14], v[13:14], v[15:16], v[19:20]
                                        ; implicit-def: $vgpr15_vgpr16
	v_div_fixup_f64 v[23:24], v[13:14], 0x40080000, v[6:7]
                                        ; implicit-def: $vgpr13_vgpr14
	v_add_f64 v[6:7], v[23:24], s[0:1]
	v_cmp_ngt_f64_e64 s2, 0x41d00000, |v[6:7]|
	s_and_saveexec_b32 s1, s2
	s_xor_b32 s3, exec_lo, s1
	s_cbranch_execz .LBB7_85
; %bb.84:
	v_ldexp_f64 v[13:14], |v[6:7]|, 0xffffff80
	v_cmp_le_f64_e64 vcc_lo, 0x7b000000, |v[6:7]|
	v_trig_preop_f64 v[15:16], |v[6:7]|, 0
	v_and_b32_e32 v4, 0x7fffffff, v7
	v_trig_preop_f64 v[17:18], |v[6:7]|, 1
	v_trig_preop_f64 v[31:32], |v[6:7]|, 2
	v_mov_b32_e32 v39, 0
	s_mov_b32 s1, 0x3ff921fb
	s_mov_b32 s12, 0x33145c07
	;; [unrolled: 1-line block ×3, first 2 shown]
	v_cndmask_b32_e32 v14, v4, v14, vcc_lo
	v_cndmask_b32_e32 v13, v6, v13, vcc_lo
	v_mul_f64 v[19:20], v[15:16], v[13:14]
	v_mul_f64 v[25:26], v[17:18], v[13:14]
	;; [unrolled: 1-line block ×3, first 2 shown]
	v_fma_f64 v[15:16], v[15:16], v[13:14], -v[19:20]
	v_fma_f64 v[17:18], v[17:18], v[13:14], -v[25:26]
	;; [unrolled: 1-line block ×3, first 2 shown]
	v_add_f64 v[27:28], v[25:26], v[15:16]
	v_add_f64 v[29:30], v[27:28], -v[25:26]
	v_add_f64 v[35:36], v[19:20], v[27:28]
	v_add_f64 v[33:34], v[27:28], -v[29:30]
	v_add_f64 v[15:16], v[15:16], -v[29:30]
	v_ldexp_f64 v[29:30], v[35:36], -2
	v_add_f64 v[19:20], v[35:36], -v[19:20]
	v_add_f64 v[25:26], v[25:26], -v[33:34]
	v_add_f64 v[33:34], v[37:38], v[17:18]
	v_cmp_neq_f64_e64 vcc_lo, 0x7ff00000, |v[29:30]|
	v_add_f64 v[19:20], v[27:28], -v[19:20]
	v_add_f64 v[15:16], v[15:16], v[25:26]
	v_fract_f64_e32 v[25:26], v[29:30]
	v_add_f64 v[27:28], v[33:34], v[15:16]
	v_ldexp_f64 v[25:26], v[25:26], 2
	v_add_f64 v[29:30], v[19:20], v[27:28]
	v_cndmask_b32_e32 v26, 0, v26, vcc_lo
	v_cndmask_b32_e32 v25, 0, v25, vcc_lo
	v_add_f64 v[35:36], v[29:30], v[25:26]
	v_add_f64 v[19:20], v[29:30], -v[19:20]
	v_cmp_gt_f64_e32 vcc_lo, 0, v[35:36]
	v_add_f64 v[35:36], v[33:34], -v[37:38]
	v_add_f64 v[19:20], v[27:28], -v[19:20]
	v_cndmask_b32_e64 v40, 0, 0x40100000, vcc_lo
	v_add_f64 v[44:45], v[33:34], -v[35:36]
	v_add_f64 v[17:18], v[17:18], -v[35:36]
	v_add_f64 v[25:26], v[25:26], v[39:40]
	v_add_f64 v[40:41], v[27:28], -v[33:34]
	v_add_f64 v[35:36], v[37:38], -v[44:45]
	v_add_f64 v[42:43], v[29:30], v[25:26]
	;; [unrolled: 3-line block ×3, first 2 shown]
	v_cvt_i32_f64_e32 v4, v[42:43]
	v_add_f64 v[33:34], v[33:34], -v[46:47]
	v_cvt_f64_i32_e32 v[40:41], v4
	v_add_f64 v[15:16], v[15:16], v[33:34]
	v_add_f64 v[25:26], v[25:26], -v[40:41]
	v_add_f64 v[15:16], v[17:18], v[15:16]
	v_add_f64 v[17:18], v[29:30], v[25:26]
	;; [unrolled: 1-line block ×3, first 2 shown]
	v_add_f64 v[15:16], v[17:18], -v[25:26]
	v_cmp_le_f64_e32 vcc_lo, 0.5, v[17:18]
	v_add_f64 v[13:14], v[19:20], v[13:14]
	v_add_f64 v[15:16], v[29:30], -v[15:16]
	v_cndmask_b32_e64 v40, 0, 0x3ff00000, vcc_lo
	v_add_co_ci_u32_e64 v4, null, 0, v4, vcc_lo
	v_add_f64 v[13:14], v[13:14], v[15:16]
	v_add_f64 v[15:16], v[17:18], -v[39:40]
	v_add_f64 v[17:18], v[15:16], v[13:14]
	v_mul_f64 v[19:20], v[17:18], s[0:1]
	v_add_f64 v[15:16], v[17:18], -v[15:16]
	v_fma_f64 v[25:26], v[17:18], s[0:1], -v[19:20]
	v_add_f64 v[13:14], v[13:14], -v[15:16]
	v_fma_f64 v[15:16], v[17:18], s[12:13], v[25:26]
	v_fma_f64 v[15:16], v[13:14], s[0:1], v[15:16]
	v_add_f64 v[13:14], v[19:20], v[15:16]
	v_add_f64 v[17:18], v[13:14], -v[19:20]
	v_add_f64 v[15:16], v[15:16], -v[17:18]
	s_andn2_saveexec_b32 s0, s3
	s_cbranch_execz .LBB7_87
	s_branch .LBB7_86
.LBB7_85:
	s_andn2_saveexec_b32 s0, s3
	s_cbranch_execz .LBB7_87
.LBB7_86:
	s_mov_b32 s12, 0x6dc9c883
	s_mov_b32 s13, 0x3fe45f30
	;; [unrolled: 1-line block ×3, first 2 shown]
	v_mul_f64 v[13:14], |v[6:7]|, s[12:13]
	s_mov_b32 s12, 0x54442d18
	s_mov_b32 s13, 0xbff921fb
	;; [unrolled: 1-line block ×3, first 2 shown]
	v_rndne_f64_e32 v[17:18], v[13:14]
	v_fma_f64 v[13:14], v[17:18], s[12:13], |v[6:7]|
	v_mul_f64 v[15:16], v[17:18], s[14:15]
	s_mov_b32 s12, 0x252049c0
	s_mov_b32 s13, 0xb97b839a
	v_cvt_i32_f64_e32 v4, v[17:18]
	v_fma_f64 v[25:26], v[17:18], s[14:15], v[13:14]
	v_add_f64 v[19:20], v[13:14], v[15:16]
	s_mov_b32 s15, 0x3c91a626
	v_add_f64 v[13:14], v[13:14], -v[19:20]
	v_add_f64 v[19:20], v[19:20], -v[25:26]
	v_add_f64 v[13:14], v[13:14], v[15:16]
	v_fma_f64 v[15:16], v[17:18], s[14:15], v[15:16]
	v_add_f64 v[13:14], v[19:20], v[13:14]
	v_add_f64 v[13:14], v[13:14], -v[15:16]
	v_fma_f64 v[15:16], v[17:18], s[12:13], v[13:14]
	v_add_f64 v[13:14], v[25:26], v[15:16]
	v_add_f64 v[19:20], v[13:14], -v[25:26]
	v_add_f64 v[15:16], v[15:16], -v[19:20]
.LBB7_87:
	s_or_b32 exec_lo, exec_lo, s0
                                        ; implicit-def: $vgpr11
                                        ; implicit-def: $vgpr17_vgpr18
                                        ; implicit-def: $vgpr19_vgpr20
	s_and_saveexec_b32 s0, s2
	s_xor_b32 s0, exec_lo, s0
	s_cbranch_execz .LBB7_89
; %bb.88:
	v_ldexp_f64 v[17:18], |v[6:7]|, 0xffffff80
	v_cmp_le_f64_e64 vcc_lo, 0x7b000000, |v[6:7]|
	v_trig_preop_f64 v[19:20], |v[6:7]|, 0
	v_and_b32_e32 v11, 0x7fffffff, v7
	v_trig_preop_f64 v[25:26], |v[6:7]|, 1
	v_trig_preop_f64 v[35:36], |v[6:7]|, 2
	v_mov_b32_e32 v43, 0
	s_mov_b32 s2, 0x54442d18
	s_mov_b32 s3, 0x3ff921fb
	;; [unrolled: 1-line block ×4, first 2 shown]
	v_cndmask_b32_e32 v18, v11, v18, vcc_lo
	v_cndmask_b32_e32 v17, v6, v17, vcc_lo
	v_mul_f64 v[27:28], v[19:20], v[17:18]
	v_mul_f64 v[29:30], v[25:26], v[17:18]
	;; [unrolled: 1-line block ×3, first 2 shown]
	v_fma_f64 v[19:20], v[19:20], v[17:18], -v[27:28]
	v_fma_f64 v[25:26], v[25:26], v[17:18], -v[29:30]
	;; [unrolled: 1-line block ×3, first 2 shown]
	v_add_f64 v[31:32], v[29:30], v[19:20]
	v_add_f64 v[33:34], v[31:32], -v[29:30]
	v_add_f64 v[39:40], v[27:28], v[31:32]
	v_add_f64 v[37:38], v[31:32], -v[33:34]
	v_add_f64 v[19:20], v[19:20], -v[33:34]
	v_ldexp_f64 v[33:34], v[39:40], -2
	v_add_f64 v[27:28], v[39:40], -v[27:28]
	v_add_f64 v[29:30], v[29:30], -v[37:38]
	v_add_f64 v[37:38], v[41:42], v[25:26]
	v_cmp_neq_f64_e64 vcc_lo, 0x7ff00000, |v[33:34]|
	v_add_f64 v[27:28], v[31:32], -v[27:28]
	v_add_f64 v[19:20], v[19:20], v[29:30]
	v_fract_f64_e32 v[29:30], v[33:34]
	v_add_f64 v[31:32], v[37:38], v[19:20]
	v_ldexp_f64 v[29:30], v[29:30], 2
	v_add_f64 v[33:34], v[27:28], v[31:32]
	v_cndmask_b32_e32 v30, 0, v30, vcc_lo
	v_cndmask_b32_e32 v29, 0, v29, vcc_lo
	v_add_f64 v[39:40], v[33:34], v[29:30]
	v_add_f64 v[27:28], v[33:34], -v[27:28]
	v_cmp_gt_f64_e32 vcc_lo, 0, v[39:40]
	v_add_f64 v[39:40], v[37:38], -v[41:42]
	v_add_f64 v[27:28], v[31:32], -v[27:28]
	v_cndmask_b32_e64 v44, 0, 0x40100000, vcc_lo
	v_add_f64 v[48:49], v[37:38], -v[39:40]
	v_add_f64 v[25:26], v[25:26], -v[39:40]
	v_add_f64 v[29:30], v[29:30], v[43:44]
	v_add_f64 v[44:45], v[31:32], -v[37:38]
	v_add_f64 v[39:40], v[41:42], -v[48:49]
	v_add_f64 v[46:47], v[33:34], v[29:30]
	;; [unrolled: 3-line block ×3, first 2 shown]
	v_cvt_i32_f64_e32 v11, v[46:47]
	v_add_f64 v[37:38], v[37:38], -v[50:51]
	v_cvt_f64_i32_e32 v[44:45], v11
	v_add_f64 v[19:20], v[19:20], v[37:38]
	v_add_f64 v[29:30], v[29:30], -v[44:45]
	v_add_f64 v[19:20], v[25:26], v[19:20]
	v_add_f64 v[25:26], v[33:34], v[29:30]
	;; [unrolled: 1-line block ×3, first 2 shown]
	v_add_f64 v[19:20], v[25:26], -v[29:30]
	v_cmp_le_f64_e32 vcc_lo, 0.5, v[25:26]
	v_add_f64 v[17:18], v[27:28], v[17:18]
	v_add_f64 v[19:20], v[33:34], -v[19:20]
	v_cndmask_b32_e64 v44, 0, 0x3ff00000, vcc_lo
	v_add_co_ci_u32_e64 v11, null, 0, v11, vcc_lo
	v_add_f64 v[17:18], v[17:18], v[19:20]
	v_add_f64 v[19:20], v[25:26], -v[43:44]
	v_add_f64 v[25:26], v[19:20], v[17:18]
	v_mul_f64 v[27:28], v[25:26], s[2:3]
	v_add_f64 v[19:20], v[25:26], -v[19:20]
	v_fma_f64 v[29:30], v[25:26], s[2:3], -v[27:28]
	v_add_f64 v[17:18], v[17:18], -v[19:20]
	v_fma_f64 v[19:20], v[25:26], s[12:13], v[29:30]
	v_fma_f64 v[19:20], v[17:18], s[2:3], v[19:20]
	v_add_f64 v[17:18], v[27:28], v[19:20]
	v_add_f64 v[25:26], v[17:18], -v[27:28]
	v_add_f64 v[19:20], v[19:20], -v[25:26]
	s_andn2_saveexec_b32 s0, s0
	s_cbranch_execnz .LBB7_90
	s_branch .LBB7_91
.LBB7_89:
	s_andn2_saveexec_b32 s0, s0
	s_cbranch_execz .LBB7_91
.LBB7_90:
	s_mov_b32 s2, 0x6dc9c883
	s_mov_b32 s3, 0x3fe45f30
	;; [unrolled: 1-line block ×3, first 2 shown]
	v_mul_f64 v[17:18], |v[6:7]|, s[2:3]
	s_mov_b32 s2, 0x54442d18
	s_mov_b32 s3, 0xbff921fb
	;; [unrolled: 1-line block ×3, first 2 shown]
	v_rndne_f64_e32 v[25:26], v[17:18]
	v_fma_f64 v[17:18], v[25:26], s[2:3], |v[6:7]|
	v_mul_f64 v[19:20], v[25:26], s[12:13]
	s_mov_b32 s2, 0x252049c0
	s_mov_b32 s3, 0xb97b839a
	v_cvt_i32_f64_e32 v11, v[25:26]
	v_fma_f64 v[29:30], v[25:26], s[12:13], v[17:18]
	v_add_f64 v[27:28], v[17:18], v[19:20]
	s_mov_b32 s13, 0x3c91a626
	v_add_f64 v[17:18], v[17:18], -v[27:28]
	v_add_f64 v[27:28], v[27:28], -v[29:30]
	v_add_f64 v[17:18], v[17:18], v[19:20]
	v_fma_f64 v[19:20], v[25:26], s[12:13], v[19:20]
	v_add_f64 v[17:18], v[27:28], v[17:18]
	v_add_f64 v[17:18], v[17:18], -v[19:20]
	v_fma_f64 v[19:20], v[25:26], s[2:3], v[17:18]
	v_add_f64 v[17:18], v[29:30], v[19:20]
	v_add_f64 v[27:28], v[17:18], -v[29:30]
	v_add_f64 v[19:20], v[19:20], -v[27:28]
.LBB7_91:
	s_or_b32 exec_lo, exec_lo, s0
	v_div_scale_f64 v[25:26], null, v[23:24], v[23:24], 1.0
	v_div_scale_f64 v[31:32], vcc_lo, 1.0, v[23:24], 1.0
	s_mov_b32 s0, 0xddcfbbde
	s_mov_b32 s1, 0x3f943525
	;; [unrolled: 1-line block ×8, first 2 shown]
	v_mul_f64 v[71:72], v[19:20], 0.5
	v_rcp_f64_e32 v[27:28], v[25:26]
	v_fma_f64 v[29:30], -v[25:26], v[27:28], 1.0
	v_fma_f64 v[27:28], v[27:28], v[29:30], v[27:28]
	v_fma_f64 v[29:30], -v[25:26], v[27:28], 1.0
	v_fma_f64 v[27:28], v[27:28], v[29:30], v[27:28]
	v_mul_f64 v[29:30], v[31:32], v[27:28]
	v_fma_f64 v[25:26], -v[25:26], v[29:30], v[31:32]
	v_div_fmas_f64 v[25:26], v[25:26], v[27:28], v[29:30]
	v_cmp_gt_f64_e32 vcc_lo, 0x10000000, v[21:22]
	v_div_fixup_f64 v[23:24], v[25:26], v[23:24], 1.0
	v_cndmask_b32_e64 v29, 0, 0x100, vcc_lo
	v_ldexp_f64 v[21:22], v[21:22], v29
	v_mul_f64 v[25:26], v[23:24], v[23:24]
	v_rsq_f64_e32 v[33:34], v[21:22]
	v_fma_f64 v[27:28], v[25:26], 0, s[0:1]
	s_mov_b32 s0, 0x6437b7
	s_mov_b32 s1, 0x3fd907d5
	v_mul_f64 v[37:38], v[21:22], v[33:34]
	v_mul_f64 v[33:34], v[33:34], 0.5
	v_fma_f64 v[27:28], v[25:26], v[27:28], s[0:1]
	s_mov_b32 s0, 0xd50ae6fb
	s_mov_b32 s1, 0xbfc0db6c
	v_fma_f64 v[29:30], v[25:26], 0, s[0:1]
	s_mov_b32 s0, 0xf3d56b40
	s_mov_b32 s1, 0x40229e2b
	;; [unrolled: 3-line block ×3, first 2 shown]
	v_fma_f64 v[39:40], -v[33:34], v[37:38], 0.5
	v_fma_f64 v[27:28], v[25:26], v[27:28], s[2:3]
	s_mov_b32 s2, 0x2572edf2
	s_mov_b32 s3, 0x402ab64b
	v_fma_f64 v[35:36], v[25:26], 0, s[2:3]
	v_fma_f64 v[29:30], v[25:26], v[29:30], s[0:1]
	s_mov_b32 s0, 0xc0ef18d4
	s_mov_b32 s1, 0x4033d5d5
	;; [unrolled: 1-line block ×3, first 2 shown]
	v_fma_f64 v[31:32], v[25:26], v[31:32], s[0:1]
	s_mov_b32 s0, 0xc2f79f7d
	s_mov_b32 s1, 0xbfe62e59
	;; [unrolled: 1-line block ×3, first 2 shown]
	v_fma_f64 v[37:38], v[37:38], v[39:40], v[37:38]
	v_fma_f64 v[33:34], v[33:34], v[39:40], v[33:34]
	;; [unrolled: 1-line block ×3, first 2 shown]
	s_mov_b32 s12, 0xcea8fe1d
	s_mov_b32 s13, 0x3fd67e69
	v_fma_f64 v[35:36], v[25:26], v[35:36], s[2:3]
	v_fma_f64 v[29:30], v[25:26], v[29:30], s[0:1]
	s_mov_b32 s0, 0x7ea7dc35
	s_mov_b32 s1, 0x402f211b
	;; [unrolled: 1-line block ×3, first 2 shown]
	v_fma_f64 v[31:32], v[25:26], v[31:32], s[0:1]
	s_mov_b32 s0, 0x4bb3f40b
	s_mov_b32 s1, 0xbfd1e7ea
	;; [unrolled: 1-line block ×3, first 2 shown]
	v_fma_f64 v[39:40], -v[37:38], v[37:38], v[21:22]
	v_fma_f64 v[27:28], v[25:26], v[27:28], s[12:13]
	s_mov_b32 s12, 0x21e90978
	s_mov_b32 s13, 0x3fb03a41
	v_fma_f64 v[35:36], v[25:26], v[35:36], s[2:3]
	v_fma_f64 v[29:30], v[25:26], v[29:30], s[0:1]
	s_mov_b32 s0, 0x2b79dbce
	s_mov_b32 s1, 0x4015e84e
	;; [unrolled: 1-line block ×3, first 2 shown]
	v_fma_f64 v[31:32], v[25:26], v[31:32], s[0:1]
	s_mov_b32 s0, 0xf47dbd8a
	s_mov_b32 s1, 0xbfa92f6e
	;; [unrolled: 1-line block ×3, first 2 shown]
	v_fma_f64 v[37:38], v[39:40], v[33:34], v[37:38]
	v_fma_f64 v[27:28], v[25:26], v[27:28], s[12:13]
	s_mov_b32 s12, 0xf12f5043
	s_mov_b32 s13, 0x3f77fe99
	v_fma_f64 v[35:36], v[25:26], v[35:36], s[2:3]
	v_fma_f64 v[29:30], v[25:26], v[29:30], s[0:1]
	s_mov_b32 s0, 0xc195ece3
	s_mov_b32 s1, 0x3fee8992
	;; [unrolled: 1-line block ×3, first 2 shown]
	v_fma_f64 v[31:32], v[25:26], v[31:32], s[0:1]
	s_mov_b32 s0, 0xc8d9e090
	s_mov_b32 s1, 0xbf70a401
	;; [unrolled: 1-line block ×3, first 2 shown]
	v_fma_f64 v[39:40], -v[37:38], v[37:38], v[21:22]
	v_fma_f64 v[27:28], v[25:26], v[27:28], s[12:13]
	s_mov_b32 s12, 0x600e17a2
	s_mov_b32 s13, 0x3f328976
	v_fma_f64 v[35:36], v[25:26], v[35:36], s[2:3]
	v_fma_f64 v[29:30], v[25:26], v[29:30], s[0:1]
	s_mov_b32 s0, 0xed64a9ee
	s_mov_b32 s1, 0x3fb6221d
	s_mov_b32 s2, 0xb4045a2b
	v_fma_f64 v[31:32], v[25:26], v[31:32], s[0:1]
	s_mov_b32 s0, 0xaf4b009c
	s_mov_b32 s1, 0xbf24e06e
	;; [unrolled: 1-line block ×3, first 2 shown]
	v_fma_f64 v[33:34], v[39:40], v[33:34], v[37:38]
	v_cndmask_b32_e64 v37, 0, 0xffffff80, vcc_lo
	v_cmp_class_f64_e64 vcc_lo, v[21:22], 0x260
	v_mul_f64 v[39:40], v[17:18], v[17:18]
	v_fma_f64 v[27:28], v[25:26], v[27:28], s[12:13]
	s_mov_b32 s12, 0x69f8574e
	s_mov_b32 s13, 0x3edd4f3d
	v_fma_f64 v[35:36], v[25:26], v[35:36], s[2:3]
	v_fma_f64 v[29:30], v[25:26], v[29:30], s[0:1]
	s_mov_b32 s0, 0x6be393bb
	s_mov_b32 s1, 0x3f70e704
	;; [unrolled: 1-line block ×3, first 2 shown]
	v_fma_f64 v[31:32], v[25:26], v[31:32], s[0:1]
	s_mov_b32 s0, 0x1d42366d
	s_mov_b32 s1, 0xbec74a78
	;; [unrolled: 1-line block ×3, first 2 shown]
	v_ldexp_f64 v[33:34], v[33:34], v37
	v_mul_f64 v[61:62], v[39:40], 0.5
	v_mul_f64 v[73:74], v[17:18], -v[39:40]
	v_fma_f64 v[27:28], v[25:26], v[27:28], s[12:13]
	s_mov_b32 s12, 0xbbad11c8
	s_mov_b32 s13, 0x3e75ca92
	v_fma_f64 v[35:36], v[25:26], v[35:36], s[2:3]
	v_fma_f64 v[29:30], v[25:26], v[29:30], s[0:1]
	s_mov_b32 s0, 0xd603a5a0
	s_mov_b32 s1, 0x3f1a8b61
	;; [unrolled: 1-line block ×3, first 2 shown]
	v_fma_f64 v[31:32], v[25:26], v[31:32], s[0:1]
	s_mov_b32 s0, 0xaf76e73b
	s_mov_b32 s1, 0x3f13c8d7
	;; [unrolled: 1-line block ×3, first 2 shown]
	v_cndmask_b32_e32 v22, v34, v22, vcc_lo
	v_cndmask_b32_e32 v21, v33, v21, vcc_lo
	v_fma_f64 v[27:28], v[25:26], v[27:28], s[12:13]
	s_mov_b32 s12, 0x7d97ee7a
	s_mov_b32 s13, 0x3df778a4
	v_fma_f64 v[35:36], v[25:26], v[35:36], s[0:1]
	v_fma_f64 v[29:30], v[25:26], v[29:30], s[2:3]
	s_mov_b32 s0, 0xdb0724e8
	s_mov_b32 s1, 0x3eb3a845
	;; [unrolled: 1-line block ×3, first 2 shown]
	v_fma_f64 v[31:32], v[25:26], v[31:32], s[0:1]
	s_mov_b32 s0, 0xb99518a7
	s_mov_b32 s1, 0x3e9e52b9
	s_mov_b32 s3, 0x3fe20dd7
	v_div_scale_f64 v[33:34], null, v[21:22], v[21:22], s[2:3]
	v_fma_f64 v[27:28], v[25:26], v[27:28], s[12:13]
	s_mov_b32 s12, 0xf9a43bb8
	s_mov_b32 s13, 0x3de5e0b2
	v_fma_f64 v[35:36], v[25:26], v[35:36], s[0:1]
	v_mul_f64 v[29:30], v[25:26], v[29:30]
	s_mov_b32 s0, 0x3dd589d4
	s_mov_b32 s1, 0x3e351fc7
	v_fma_f64 v[25:26], v[25:26], v[31:32], s[0:1]
	s_mov_b32 s0, 0xb42fdfa7
	s_mov_b32 s1, 0xbe5ae600
	v_fma_f64 v[49:50], v[39:40], s[12:13], s[0:1]
	v_rcp_f64_e32 v[45:46], v[33:34]
	v_mul_f64 v[23:24], v[23:24], v[27:28]
	v_mul_f64 v[27:28], v[13:14], v[13:14]
	v_div_scale_f64 v[31:32], null, v[35:36], v[35:36], v[29:30]
	v_fma_f64 v[49:50], v[39:40], v[49:50], s[14:15]
	v_fma_f64 v[57:58], -v[33:34], v[45:46], 1.0
	v_div_scale_f64 v[37:38], null, v[25:26], v[25:26], v[23:24]
	v_fma_f64 v[41:42], v[27:28], s[12:13], s[0:1]
	s_mov_b32 s0, 0x9037ab78
	s_mov_b32 s12, 0x46cc5e42
	v_rcp_f64_e32 v[43:44], v[31:32]
	s_mov_b32 s1, 0x3e21eeb6
	s_mov_b32 s13, 0xbda907db
	v_mul_f64 v[53:54], v[27:28], 0.5
	v_fma_f64 v[51:52], v[27:28], s[12:13], s[0:1]
	v_fma_f64 v[63:64], v[39:40], s[12:13], s[0:1]
	s_mov_b32 s0, 0xa17f65f6
	s_mov_b32 s12, 0x19e83e5c
	;; [unrolled: 1-line block ×4, first 2 shown]
	v_fma_f64 v[45:46], v[45:46], v[57:58], v[45:46]
	v_fma_f64 v[49:50], v[39:40], v[49:50], s[12:13]
	v_rcp_f64_e32 v[47:48], v[37:38]
	v_fma_f64 v[41:42], v[27:28], v[41:42], s[14:15]
	v_fma_f64 v[55:56], -v[31:32], v[43:44], 1.0
	v_add_f64 v[65:66], -v[53:54], 1.0
	v_fma_f64 v[51:52], v[27:28], v[51:52], s[0:1]
	v_fma_f64 v[57:58], v[39:40], v[63:64], s[0:1]
	s_mov_b32 s0, 0x11110bb3
	s_mov_b32 s1, 0x3f811111
	v_mul_f64 v[63:64], v[13:14], -v[27:28]
	v_fma_f64 v[75:76], -v[33:34], v[45:46], 1.0
	v_fma_f64 v[49:50], v[39:40], v[49:50], s[0:1]
	v_fma_f64 v[41:42], v[27:28], v[41:42], s[12:13]
	v_fma_f64 v[59:60], -v[37:38], v[47:48], 1.0
	s_mov_b32 s12, 0x19f4ec90
	s_mov_b32 s13, 0x3efa01a0
	v_fma_f64 v[43:44], v[43:44], v[55:56], v[43:44]
	v_add_f64 v[55:56], -v[61:62], 1.0
	v_fma_f64 v[51:52], v[27:28], v[51:52], s[12:13]
	v_add_f64 v[67:68], -v[65:66], 1.0
	v_fma_f64 v[57:58], v[39:40], v[57:58], s[12:13]
	s_mov_b32 s12, 0x16c16967
	s_mov_b32 s13, 0xbf56c16c
	v_fma_f64 v[45:46], v[45:46], v[75:76], v[45:46]
	v_fma_f64 v[49:50], v[73:74], v[49:50], v[71:72]
	v_mul_f64 v[71:72], v[27:28], v[27:28]
	v_fma_f64 v[41:42], v[27:28], v[41:42], s[0:1]
	v_fma_f64 v[47:48], v[47:48], v[59:60], v[47:48]
	v_mul_f64 v[59:60], v[15:16], 0.5
	v_fma_f64 v[69:70], -v[31:32], v[43:44], 1.0
	v_add_f64 v[79:80], -v[55:56], 1.0
	v_fma_f64 v[51:52], v[27:28], v[51:52], s[12:13]
	v_add_f64 v[53:54], v[67:68], -v[53:54]
	v_div_scale_f64 v[67:68], s0, s[2:3], v[21:22], s[2:3]
	v_fma_f64 v[57:58], v[39:40], v[57:58], s[12:13]
	s_mov_b32 s12, 0x55555555
	s_mov_b32 s13, 0x3fa55555
	v_fma_f64 v[49:50], v[39:40], v[49:50], -v[19:20]
	v_fma_f64 v[77:78], -v[37:38], v[47:48], 1.0
	v_fma_f64 v[41:42], v[63:64], v[41:42], v[59:60]
	v_div_scale_f64 v[59:60], vcc_lo, v[29:30], v[35:36], v[29:30]
	v_fma_f64 v[43:44], v[43:44], v[69:70], v[43:44]
	v_div_scale_f64 v[69:70], s1, v[23:24], v[25:26], v[23:24]
	v_add_f64 v[61:62], v[79:80], -v[61:62]
	v_fma_f64 v[51:52], v[27:28], v[51:52], s[12:13]
	v_fma_f64 v[53:54], v[13:14], -v[15:16], v[53:54]
	v_fma_f64 v[57:58], v[39:40], v[57:58], s[12:13]
	v_mul_f64 v[39:40], v[39:40], v[39:40]
	s_mov_b32 s13, 0xbfc55555
	v_fma_f64 v[49:50], v[73:74], s[12:13], v[49:50]
	v_fma_f64 v[47:48], v[47:48], v[77:78], v[47:48]
	v_fma_f64 v[15:16], v[27:28], v[41:42], -v[15:16]
	v_mul_f64 v[41:42], v[67:68], v[45:46]
	v_mul_f64 v[27:28], v[59:60], v[43:44]
	v_fma_f64 v[19:20], v[17:18], -v[19:20], v[61:62]
	v_fma_f64 v[51:52], v[71:72], v[51:52], v[53:54]
	v_add_f64 v[17:18], v[17:18], -v[49:50]
	v_mul_f64 v[75:76], v[69:70], v[47:48]
	v_fma_f64 v[15:16], v[63:64], s[12:13], v[15:16]
	v_fma_f64 v[33:34], -v[33:34], v[41:42], v[67:68]
	v_fma_f64 v[31:32], -v[31:32], v[27:28], v[59:60]
	v_fma_f64 v[19:20], v[39:40], v[57:58], v[19:20]
	v_add_f64 v[39:40], v[65:66], v[51:52]
	v_xor_b32_e32 v18, 0x80000000, v18
	v_fma_f64 v[37:38], -v[37:38], v[75:76], v[69:70]
	v_add_f64 v[13:14], v[13:14], -v[15:16]
	v_div_fmas_f64 v[15:16], v[31:32], v[43:44], v[27:28]
	s_mov_b32 vcc_lo, s0
	v_cmp_class_f64_e64 s0, v[6:7], 0x1f8
	v_div_fmas_f64 v[27:28], v[33:34], v[45:46], v[41:42]
	s_mov_b32 vcc_lo, s1
	v_add_f64 v[19:20], v[55:56], v[19:20]
	v_and_b32_e32 v6, 1, v11
	v_and_b32_e32 v33, 1, v4
	v_lshlrev_b32_e32 v4, 30, v4
	v_cmp_eq_u32_e64 s1, 0, v6
	v_lshlrev_b32_e32 v6, 30, v11
	v_xor_b32_e32 v4, v4, v7
	v_and_b32_e32 v6, 0x80000000, v6
	v_div_fmas_f64 v[31:32], v[37:38], v[47:48], v[75:76]
	v_cmp_eq_u32_e32 vcc_lo, 0, v33
	v_and_b32_e32 v4, 0x80000000, v4
	v_div_fixup_f64 v[15:16], v[15:16], v[35:36], v[29:30]
	v_cndmask_b32_e32 v7, v40, v14, vcc_lo
	v_cndmask_b32_e32 v13, v39, v13, vcc_lo
	v_cndmask_b32_e64 v11, v17, v19, s1
	v_cndmask_b32_e64 v17, v18, v20, s1
	v_xor_b32_e32 v4, v7, v4
	v_xor_b32_e32 v18, v17, v6
	v_cndmask_b32_e64 v17, 0, v11, s0
	v_cndmask_b32_e64 v6, 0, v13, s0
	;; [unrolled: 1-line block ×3, first 2 shown]
	v_div_fixup_f64 v[13:14], v[27:28], v[21:22], s[2:3]
	v_cndmask_b32_e64 v18, 0x7ff80000, v18, s0
	v_div_fixup_f64 v[23:24], v[31:32], v[25:26], v[23:24]
	v_add_f64 v[15:16], v[15:16], 1.0
	v_mul_f64 v[17:18], v[23:24], v[17:18]
	v_fma_f64 v[6:7], v[15:16], v[6:7], -v[17:18]
	v_mul_f64 v[6:7], v[13:14], v[6:7]
.LBB7_92:
	s_or_b32 exec_lo, exec_lo, s10
.LBB7_93:
	s_or_b32 exec_lo, exec_lo, s9
.LBB7_94:
	s_or_b32 exec_lo, exec_lo, s8
	global_load_dwordx2 v[11:12], v12, s[6:7]
	s_mov_b32 s8, exec_lo
	s_waitcnt vmcnt(0)
	v_cmpx_neq_f64_e64 0x7ff00000, |v[11:12]|
	s_cbranch_execz .LBB7_116
; %bb.95:
	v_mov_b32_e32 v8, 0
	v_mov_b32_e32 v9, 0
	s_mov_b32 s0, 0x872b020c
	s_mov_b32 s1, 0x4059f916
	s_mov_b32 s9, exec_lo
	v_cmpx_nlt_f64_e32 s[0:1], v[11:12]
	s_cbranch_execz .LBB7_115
; %bb.96:
	s_mov_b32 s1, 0xc000b851
	s_mov_b32 s0, 0xeb851eb8
                                        ; implicit-def: $vgpr8_vgpr9
	v_cmp_ngt_f64_e32 vcc_lo, s[0:1], v[11:12]
	s_and_saveexec_b32 s1, vcc_lo
	s_xor_b32 s2, exec_lo, s1
	s_cbranch_execz .LBB7_104
; %bb.97:
	s_mov_b32 s1, 0x4000b851
	v_mov_b32_e32 v8, 0
	v_cmp_nle_f64_e64 s3, s[0:1], v[11:12]
	v_cmp_le_f64_e32 vcc_lo, s[0:1], v[11:12]
	v_mov_b32_e32 v9, 0
	s_mov_b32 s0, s3
	s_and_saveexec_b32 s10, vcc_lo
	s_cbranch_execz .LBB7_99
; %bb.98:
	v_cmp_gt_f64_e32 vcc_lo, 0x10000000, v[11:12]
	s_mov_b32 s0, 0x2537b658
	s_mov_b32 s12, 0x2624d31
	;; [unrolled: 1-line block ×4, first 2 shown]
	v_cndmask_b32_e64 v4, 0, 0x100, vcc_lo
	v_ldexp_f64 v[8:9], v[11:12], v4
	v_cndmask_b32_e64 v4, 0, 0xffffff80, vcc_lo
	v_rsq_f64_e32 v[13:14], v[8:9]
	v_cmp_class_f64_e64 vcc_lo, v[8:9], 0x260
	v_mul_f64 v[15:16], v[8:9], v[13:14]
	v_mul_f64 v[13:14], v[13:14], 0.5
	v_fma_f64 v[17:18], -v[13:14], v[15:16], 0.5
	v_fma_f64 v[15:16], v[15:16], v[17:18], v[15:16]
	v_fma_f64 v[13:14], v[13:14], v[17:18], v[13:14]
	v_fma_f64 v[17:18], -v[15:16], v[15:16], v[8:9]
	v_fma_f64 v[15:16], v[17:18], v[13:14], v[15:16]
	v_fma_f64 v[17:18], -v[15:16], v[15:16], v[8:9]
	v_fma_f64 v[13:14], v[17:18], v[13:14], v[15:16]
	v_add_f64 v[15:16], v[11:12], v[11:12]
	v_ldexp_f64 v[13:14], v[13:14], v4
	v_cndmask_b32_e32 v9, v14, v9, vcc_lo
	v_cndmask_b32_e32 v8, v13, v8, vcc_lo
	v_mul_f64 v[13:14], v[15:16], v[8:9]
	v_div_scale_f64 v[15:16], null, 0x40080000, 0x40080000, v[13:14]
	v_div_scale_f64 v[21:22], vcc_lo, v[13:14], 0x40080000, v[13:14]
	v_rcp_f64_e32 v[17:18], v[15:16]
	v_fma_f64 v[19:20], -v[15:16], v[17:18], 1.0
	v_fma_f64 v[17:18], v[17:18], v[19:20], v[17:18]
	v_fma_f64 v[19:20], -v[15:16], v[17:18], 1.0
	v_fma_f64 v[17:18], v[17:18], v[19:20], v[17:18]
	v_mul_f64 v[19:20], v[21:22], v[17:18]
	v_fma_f64 v[15:16], -v[15:16], v[19:20], v[21:22]
	v_div_fmas_f64 v[15:16], v[15:16], v[17:18], v[19:20]
	v_div_fixup_f64 v[13:14], v[15:16], 0x40080000, v[13:14]
	v_div_scale_f64 v[15:16], null, v[13:14], v[13:14], 1.0
	v_div_scale_f64 v[21:22], vcc_lo, 1.0, v[13:14], 1.0
	v_rcp_f64_e32 v[17:18], v[15:16]
	v_fma_f64 v[19:20], -v[15:16], v[17:18], 1.0
	v_fma_f64 v[17:18], v[17:18], v[19:20], v[17:18]
	v_fma_f64 v[19:20], -v[15:16], v[17:18], 1.0
	v_fma_f64 v[17:18], v[17:18], v[19:20], v[17:18]
	v_mul_f64 v[19:20], v[21:22], v[17:18]
	v_fma_f64 v[15:16], -v[15:16], v[19:20], v[21:22]
	v_div_fmas_f64 v[15:16], v[15:16], v[17:18], v[19:20]
	v_cmp_gt_f64_e32 vcc_lo, 0x10000000, v[8:9]
	v_div_fixup_f64 v[15:16], v[15:16], v[13:14], 1.0
	v_cndmask_b32_e64 v4, 0, 0x100, vcc_lo
	v_ldexp_f64 v[8:9], v[8:9], v4
	v_fma_f64 v[17:18], v[15:16], 0, s[12:13]
	v_fma_f64 v[19:20], v[15:16], 0, s[0:1]
	s_mov_b32 s0, 0x652b82fe
	s_mov_b32 s1, 0x3ff71547
	;; [unrolled: 1-line block ×3, first 2 shown]
	v_mul_f64 v[21:22], v[13:14], s[0:1]
	s_mov_b32 s0, 0x871a9067
	s_mov_b32 s1, 0x402803e3
	;; [unrolled: 1-line block ×3, first 2 shown]
	v_fma_f64 v[17:18], v[15:16], v[17:18], s[12:13]
	v_fma_f64 v[19:20], v[15:16], v[19:20], s[0:1]
	s_mov_b32 s0, 0xde2e1e3
	s_mov_b32 s12, 0xb04d51a0
	s_mov_b32 s1, 0x405311e5
	v_rndne_f64_e32 v[21:22], v[21:22]
	s_mov_b32 s13, 0x405520e3
	v_fma_f64 v[17:18], v[15:16], v[17:18], s[12:13]
	v_fma_f64 v[19:20], v[15:16], v[19:20], s[0:1]
	s_mov_b32 s0, 0xfefa39ef
	s_mov_b32 s1, 0xbfe62e42
	;; [unrolled: 1-line block ×3, first 2 shown]
	v_fma_f64 v[23:24], v[21:22], s[0:1], v[13:14]
	s_mov_b32 s0, 0xee40073c
	s_mov_b32 s1, 0x406502da
	;; [unrolled: 1-line block ×3, first 2 shown]
	v_cvt_i32_f64_e32 v4, v[21:22]
	v_fma_f64 v[17:18], v[15:16], v[17:18], s[12:13]
	v_fma_f64 v[19:20], v[15:16], v[19:20], s[0:1]
	s_mov_b32 s0, 0x3b39803f
	s_mov_b32 s1, 0xbc7abc9e
	;; [unrolled: 1-line block ×3, first 2 shown]
	v_fma_f64 v[23:24], v[21:22], s[0:1], v[23:24]
	s_mov_b32 s0, 0x5ba1fddf
	s_mov_b32 s1, 0x4063f834
	;; [unrolled: 1-line block ×3, first 2 shown]
	v_fma_f64 v[17:18], v[15:16], v[17:18], s[12:13]
	v_fma_f64 v[19:20], v[15:16], v[19:20], s[0:1]
	s_mov_b32 s0, 0xfca7ab0c
	s_mov_b32 s12, 0x6a5dcb37
	;; [unrolled: 1-line block ×4, first 2 shown]
	v_fma_f64 v[25:26], v[23:24], s[12:13], s[0:1]
	s_mov_b32 s0, 0x4f4cea4f
	s_mov_b32 s12, 0xee91d35f
	;; [unrolled: 1-line block ×4, first 2 shown]
	v_fma_f64 v[17:18], v[15:16], v[17:18], s[12:13]
	v_fma_f64 v[19:20], v[15:16], v[19:20], s[0:1]
	s_mov_b32 s0, 0x623fde64
	s_mov_b32 s1, 0x3ec71dee
	;; [unrolled: 1-line block ×4, first 2 shown]
	v_fma_f64 v[25:26], v[23:24], v[25:26], s[0:1]
	s_mov_b32 s0, 0x5c2a0f4d
	s_mov_b32 s1, 0x402c0d8d
	v_fma_f64 v[17:18], v[15:16], v[17:18], s[12:13]
	v_fma_f64 v[19:20], v[15:16], v[19:20], s[0:1]
	s_mov_b32 s0, 0x7c89e6b0
	s_mov_b32 s1, 0x3efa0199
	v_fma_f64 v[25:26], v[23:24], v[25:26], s[0:1]
	s_mov_b32 s0, 0x14761f6e
	s_mov_b32 s1, 0x3f2a01a0
	v_fma_f64 v[17:18], v[15:16], v[17:18], 1.0
	v_fma_f64 v[15:16], v[15:16], v[19:20], 1.0
	v_rsq_f64_e32 v[19:20], v[8:9]
	v_fma_f64 v[25:26], v[23:24], v[25:26], s[0:1]
	s_mov_b32 s0, 0x1852b7b0
	s_mov_b32 s1, 0x3f56c16c
	v_div_scale_f64 v[27:28], null, v[17:18], v[17:18], v[15:16]
	v_mul_f64 v[29:30], v[8:9], v[19:20]
	v_mul_f64 v[19:20], v[19:20], 0.5
	v_fma_f64 v[25:26], v[23:24], v[25:26], s[0:1]
	s_mov_b32 s0, 0x11122322
	s_mov_b32 s1, 0x3f811111
	v_rcp_f64_e32 v[31:32], v[27:28]
	v_fma_f64 v[33:34], -v[19:20], v[29:30], 0.5
	v_fma_f64 v[25:26], v[23:24], v[25:26], s[0:1]
	s_mov_b32 s0, 0x555502a1
	s_mov_b32 s1, 0x3fa55555
	v_fma_f64 v[35:36], -v[27:28], v[31:32], 1.0
	v_fma_f64 v[29:30], v[29:30], v[33:34], v[29:30]
	v_fma_f64 v[19:20], v[19:20], v[33:34], v[19:20]
	;; [unrolled: 1-line block ×3, first 2 shown]
	s_mov_b32 s0, 0x55555511
	s_mov_b32 s1, 0x3fc55555
	v_fma_f64 v[31:32], v[31:32], v[35:36], v[31:32]
	v_fma_f64 v[33:34], -v[29:30], v[29:30], v[8:9]
	v_fma_f64 v[25:26], v[23:24], v[25:26], s[0:1]
	s_mov_b32 s0, 11
	s_mov_b32 s1, 0x3fe00000
	v_fma_f64 v[35:36], -v[27:28], v[31:32], 1.0
	v_fma_f64 v[29:30], v[33:34], v[19:20], v[29:30]
	v_fma_f64 v[25:26], v[23:24], v[25:26], s[0:1]
	v_div_scale_f64 v[33:34], s0, v[15:16], v[17:18], v[15:16]
	v_cmp_class_f64_e64 s1, v[8:9], 0x260
	v_fma_f64 v[31:32], v[31:32], v[35:36], v[31:32]
	v_fma_f64 v[35:36], -v[29:30], v[29:30], v[8:9]
	v_fma_f64 v[25:26], v[23:24], v[25:26], 1.0
	v_mul_f64 v[37:38], v[33:34], v[31:32]
	v_fma_f64 v[19:20], v[35:36], v[19:20], v[29:30]
	v_fma_f64 v[21:22], v[23:24], v[25:26], 1.0
	v_cndmask_b32_e64 v25, 0, 0xffffff80, vcc_lo
	s_mov_b32 vcc_lo, s0
	v_cmp_ngt_f64_e64 s0, 0xc090cc00, v[13:14]
	v_fma_f64 v[23:24], -v[27:28], v[37:38], v[33:34]
	v_ldexp_f64 v[19:20], v[19:20], v25
	v_ldexp_f64 v[21:22], v[21:22], v4
	v_div_fmas_f64 v[23:24], v[23:24], v[31:32], v[37:38]
	v_cmp_nlt_f64_e32 vcc_lo, 0x40900000, v[13:14]
	v_cndmask_b32_e64 v9, v20, v9, s1
	v_cndmask_b32_e64 v8, v19, v8, s1
	v_add_f64 v[8:9], v[8:9], v[8:9]
	v_div_fixup_f64 v[13:14], v[23:24], v[17:18], v[15:16]
	v_cndmask_b32_e32 v4, 0x7ff00000, v22, vcc_lo
	s_and_b32 vcc_lo, s0, vcc_lo
	v_cndmask_b32_e32 v15, 0, v21, vcc_lo
	v_cndmask_b32_e64 v16, 0, v4, s0
	s_mov_b32 s0, 0x50429b6d
	s_mov_b32 s1, 0x3fe20dd7
	v_mul_f64 v[8:9], v[8:9], v[15:16]
	v_mul_f64 v[13:14], v[13:14], s[0:1]
	s_mov_b32 s0, 0xfd0a823a
	s_mov_b32 s1, 0x4020a402
	v_div_scale_f64 v[15:16], null, v[8:9], v[8:9], v[13:14]
	v_rcp_f64_e32 v[17:18], v[15:16]
	v_fma_f64 v[19:20], -v[15:16], v[17:18], 1.0
	v_fma_f64 v[17:18], v[17:18], v[19:20], v[17:18]
	v_fma_f64 v[19:20], -v[15:16], v[17:18], 1.0
	v_fma_f64 v[17:18], v[17:18], v[19:20], v[17:18]
	v_div_scale_f64 v[19:20], vcc_lo, v[13:14], v[8:9], v[13:14]
	v_mul_f64 v[21:22], v[19:20], v[17:18]
	v_fma_f64 v[15:16], -v[15:16], v[21:22], v[19:20]
	v_div_fmas_f64 v[15:16], v[15:16], v[17:18], v[21:22]
	v_cmp_nlt_f64_e32 vcc_lo, s[0:1], v[11:12]
	s_andn2_b32 s0, s3, exec_lo
	v_div_fixup_f64 v[8:9], v[15:16], v[8:9], v[13:14]
	s_and_b32 s1, vcc_lo, exec_lo
	s_or_b32 s0, s0, s1
.LBB7_99:
	s_or_b32 exec_lo, exec_lo, s10
	s_and_saveexec_b32 s1, s0
	s_cbranch_execz .LBB7_103
; %bb.100:
	v_mul_f64 v[13:14], v[11:12], v[11:12]
	v_mov_b32_e32 v19, 0
	v_mov_b32_e32 v21, 0
	v_mov_b32_e32 v18, v12
	v_mov_b32_e32 v20, 0x3ff00000
	v_mov_b32_e32 v22, 0x3ff00000
	v_mov_b32_e32 v17, v11
	s_mov_b32 s10, 0
	v_mul_f64 v[15:16], v[11:12], v[13:14]
	v_mov_b32_e32 v13, 0
	v_mov_b32_e32 v14, 0x3ff00000
.LBB7_101:                              ; =>This Inner Loop Header: Depth=1
	v_mul_f64 v[19:20], v[15:16], v[19:20]
	v_add_f64 v[21:22], v[21:22], 1.0
	v_mul_f64 v[11:12], v[15:16], v[11:12]
	v_div_scale_f64 v[23:24], null, v[21:22], v[21:22], v[19:20]
	v_div_scale_f64 v[29:30], vcc_lo, v[19:20], v[21:22], v[19:20]
	v_rcp_f64_e32 v[25:26], v[23:24]
	v_fma_f64 v[27:28], -v[23:24], v[25:26], 1.0
	v_fma_f64 v[25:26], v[25:26], v[27:28], v[25:26]
	v_fma_f64 v[27:28], -v[23:24], v[25:26], 1.0
	v_fma_f64 v[25:26], v[25:26], v[27:28], v[25:26]
	v_mul_f64 v[27:28], v[29:30], v[25:26]
	v_fma_f64 v[23:24], -v[23:24], v[27:28], v[29:30]
	v_div_fmas_f64 v[23:24], v[23:24], v[25:26], v[27:28]
	v_add_f64 v[25:26], v[21:22], 1.0
	v_div_fixup_f64 v[19:20], v[23:24], v[21:22], v[19:20]
	v_div_scale_f64 v[21:22], null, v[25:26], v[25:26], v[11:12]
	v_div_scale_f64 v[35:36], vcc_lo, v[11:12], v[25:26], v[11:12]
	v_div_scale_f64 v[23:24], null, v[25:26], v[25:26], v[19:20]
	v_rcp_f64_e32 v[27:28], v[21:22]
	v_rcp_f64_e32 v[29:30], v[23:24]
	v_fma_f64 v[31:32], -v[21:22], v[27:28], 1.0
	v_fma_f64 v[33:34], -v[23:24], v[29:30], 1.0
	v_fma_f64 v[27:28], v[27:28], v[31:32], v[27:28]
	v_fma_f64 v[29:30], v[29:30], v[33:34], v[29:30]
	v_fma_f64 v[31:32], -v[21:22], v[27:28], 1.0
	v_fma_f64 v[33:34], -v[23:24], v[29:30], 1.0
	v_fma_f64 v[27:28], v[27:28], v[31:32], v[27:28]
	v_div_scale_f64 v[31:32], s0, v[19:20], v[25:26], v[19:20]
	v_fma_f64 v[29:30], v[29:30], v[33:34], v[29:30]
	v_mul_f64 v[33:34], v[35:36], v[27:28]
	v_mul_f64 v[37:38], v[31:32], v[29:30]
	v_fma_f64 v[21:22], -v[21:22], v[33:34], v[35:36]
	v_fma_f64 v[23:24], -v[23:24], v[37:38], v[31:32]
	v_div_fmas_f64 v[27:28], v[21:22], v[27:28], v[33:34]
	s_mov_b32 vcc_lo, s0
	v_div_fmas_f64 v[21:22], v[23:24], v[29:30], v[37:38]
	v_div_fixup_f64 v[11:12], v[27:28], v[25:26], v[11:12]
	v_div_fixup_f64 v[19:20], v[21:22], v[25:26], v[19:20]
	v_add_f64 v[21:22], v[25:26], 1.0
	v_add_f64 v[13:14], v[13:14], v[19:20]
	v_div_scale_f64 v[23:24], null, v[21:22], v[21:22], v[11:12]
	v_div_scale_f64 v[35:36], vcc_lo, v[11:12], v[21:22], v[11:12]
	v_div_scale_f64 v[25:26], null, v[13:14], v[13:14], v[19:20]
	v_rcp_f64_e32 v[27:28], v[23:24]
	v_rcp_f64_e32 v[29:30], v[25:26]
	v_fma_f64 v[31:32], -v[23:24], v[27:28], 1.0
	v_fma_f64 v[33:34], -v[25:26], v[29:30], 1.0
	v_fma_f64 v[27:28], v[27:28], v[31:32], v[27:28]
	v_fma_f64 v[29:30], v[29:30], v[33:34], v[29:30]
	v_fma_f64 v[31:32], -v[23:24], v[27:28], 1.0
	v_fma_f64 v[33:34], -v[25:26], v[29:30], 1.0
	v_fma_f64 v[27:28], v[27:28], v[31:32], v[27:28]
	v_div_scale_f64 v[31:32], s0, v[19:20], v[13:14], v[19:20]
	v_fma_f64 v[29:30], v[29:30], v[33:34], v[29:30]
	v_mul_f64 v[33:34], v[35:36], v[27:28]
	v_mul_f64 v[37:38], v[31:32], v[29:30]
	v_fma_f64 v[23:24], -v[23:24], v[33:34], v[35:36]
	v_fma_f64 v[25:26], -v[25:26], v[37:38], v[31:32]
	v_div_fmas_f64 v[23:24], v[23:24], v[27:28], v[33:34]
	s_mov_b32 vcc_lo, s0
	v_div_fmas_f64 v[25:26], v[25:26], v[29:30], v[37:38]
	v_div_fixup_f64 v[11:12], v[23:24], v[21:22], v[11:12]
	v_div_fixup_f64 v[25:26], v[25:26], v[13:14], v[19:20]
	v_add_f64 v[17:18], v[17:18], v[11:12]
	v_cmp_nlt_f64_e64 s0, 0x3cb00000, |v[25:26]|
	s_or_b32 s10, s0, s10
	s_andn2_b32 exec_lo, exec_lo, s10
	s_cbranch_execnz .LBB7_101
; %bb.102:
	s_or_b32 exec_lo, exec_lo, s10
	s_mov_b32 s10, 0x42b70f8b
	s_mov_b32 s11, 0xbfd0907f
	v_mul_f64 v[11:12], v[17:18], s[10:11]
	s_mov_b32 s10, 0x962715b8
	s_mov_b32 s11, 0x3fd6b8c7
	v_fma_f64 v[11:12], v[13:14], s[10:11], v[11:12]
	v_cndmask_b32_e64 v9, v9, v12, s3
	v_cndmask_b32_e64 v8, v8, v11, s3
.LBB7_103:
	s_or_b32 exec_lo, exec_lo, s1
                                        ; implicit-def: $vgpr11_vgpr12
.LBB7_104:
	s_andn2_saveexec_b32 s10, s2
	s_cbranch_execz .LBB7_114
; %bb.105:
	v_cmp_lt_f64_e32 vcc_lo, 0x90000000, v[11:12]
	s_mov_b32 s1, 0x3fe921fb
	s_mov_b32 s0, 0x54442d18
	v_cndmask_b32_e64 v4, 0, 0x100, vcc_lo
	v_ldexp_f64 v[8:9], -v[11:12], v4
	v_cndmask_b32_e64 v4, 0, 0xffffff80, vcc_lo
	v_mul_f64 v[11:12], v[11:12], -2.0
	v_rsq_f64_e32 v[13:14], v[8:9]
	v_cmp_class_f64_e64 vcc_lo, v[8:9], 0x260
	v_mul_f64 v[15:16], v[8:9], v[13:14]
	v_mul_f64 v[13:14], v[13:14], 0.5
	v_fma_f64 v[17:18], -v[13:14], v[15:16], 0.5
	v_fma_f64 v[15:16], v[15:16], v[17:18], v[15:16]
	v_fma_f64 v[13:14], v[13:14], v[17:18], v[13:14]
	v_fma_f64 v[17:18], -v[15:16], v[15:16], v[8:9]
	v_fma_f64 v[15:16], v[17:18], v[13:14], v[15:16]
	v_fma_f64 v[17:18], -v[15:16], v[15:16], v[8:9]
	v_fma_f64 v[13:14], v[17:18], v[13:14], v[15:16]
	v_ldexp_f64 v[13:14], v[13:14], v4
                                        ; implicit-def: $vgpr4
	v_cndmask_b32_e32 v20, v14, v9, vcc_lo
	v_cndmask_b32_e32 v19, v13, v8, vcc_lo
	v_mul_f64 v[8:9], v[11:12], v[19:20]
	v_div_scale_f64 v[11:12], null, 0x40080000, 0x40080000, v[8:9]
	v_rcp_f64_e32 v[13:14], v[11:12]
	v_fma_f64 v[15:16], -v[11:12], v[13:14], 1.0
	v_fma_f64 v[13:14], v[13:14], v[15:16], v[13:14]
	v_fma_f64 v[15:16], -v[11:12], v[13:14], 1.0
	v_fma_f64 v[13:14], v[13:14], v[15:16], v[13:14]
	v_div_scale_f64 v[15:16], vcc_lo, v[8:9], 0x40080000, v[8:9]
	v_mul_f64 v[17:18], v[15:16], v[13:14]
	v_fma_f64 v[11:12], -v[11:12], v[17:18], v[15:16]
	v_div_fmas_f64 v[11:12], v[11:12], v[13:14], v[17:18]
                                        ; implicit-def: $vgpr13_vgpr14
	v_div_fixup_f64 v[21:22], v[11:12], 0x40080000, v[8:9]
                                        ; implicit-def: $vgpr11_vgpr12
	v_add_f64 v[8:9], v[21:22], s[0:1]
	v_cmp_ngt_f64_e64 s2, 0x41d00000, |v[8:9]|
	s_and_saveexec_b32 s1, s2
	s_xor_b32 s3, exec_lo, s1
	s_cbranch_execz .LBB7_107
; %bb.106:
	v_ldexp_f64 v[11:12], |v[8:9]|, 0xffffff80
	v_cmp_le_f64_e64 vcc_lo, 0x7b000000, |v[8:9]|
	v_trig_preop_f64 v[13:14], |v[8:9]|, 0
	v_and_b32_e32 v4, 0x7fffffff, v9
	v_trig_preop_f64 v[15:16], |v[8:9]|, 1
	v_trig_preop_f64 v[29:30], |v[8:9]|, 2
	v_mov_b32_e32 v37, 0
	s_mov_b32 s1, 0x3ff921fb
	s_mov_b32 s12, 0x33145c07
	;; [unrolled: 1-line block ×3, first 2 shown]
	v_cndmask_b32_e32 v12, v4, v12, vcc_lo
	v_cndmask_b32_e32 v11, v8, v11, vcc_lo
	v_mul_f64 v[17:18], v[13:14], v[11:12]
	v_mul_f64 v[23:24], v[15:16], v[11:12]
	;; [unrolled: 1-line block ×3, first 2 shown]
	v_fma_f64 v[13:14], v[13:14], v[11:12], -v[17:18]
	v_fma_f64 v[15:16], v[15:16], v[11:12], -v[23:24]
	v_fma_f64 v[11:12], v[29:30], v[11:12], -v[35:36]
	v_add_f64 v[25:26], v[23:24], v[13:14]
	v_add_f64 v[27:28], v[25:26], -v[23:24]
	v_add_f64 v[33:34], v[17:18], v[25:26]
	v_add_f64 v[31:32], v[25:26], -v[27:28]
	v_add_f64 v[13:14], v[13:14], -v[27:28]
	v_ldexp_f64 v[27:28], v[33:34], -2
	v_add_f64 v[17:18], v[33:34], -v[17:18]
	v_add_f64 v[23:24], v[23:24], -v[31:32]
	v_add_f64 v[31:32], v[35:36], v[15:16]
	v_cmp_neq_f64_e64 vcc_lo, 0x7ff00000, |v[27:28]|
	v_add_f64 v[17:18], v[25:26], -v[17:18]
	v_add_f64 v[13:14], v[13:14], v[23:24]
	v_fract_f64_e32 v[23:24], v[27:28]
	v_add_f64 v[25:26], v[31:32], v[13:14]
	v_ldexp_f64 v[23:24], v[23:24], 2
	v_add_f64 v[27:28], v[17:18], v[25:26]
	v_cndmask_b32_e32 v24, 0, v24, vcc_lo
	v_cndmask_b32_e32 v23, 0, v23, vcc_lo
	v_add_f64 v[33:34], v[27:28], v[23:24]
	v_add_f64 v[17:18], v[27:28], -v[17:18]
	v_cmp_gt_f64_e32 vcc_lo, 0, v[33:34]
	v_add_f64 v[33:34], v[31:32], -v[35:36]
	v_add_f64 v[17:18], v[25:26], -v[17:18]
	v_cndmask_b32_e64 v38, 0, 0x40100000, vcc_lo
	v_add_f64 v[42:43], v[31:32], -v[33:34]
	v_add_f64 v[15:16], v[15:16], -v[33:34]
	v_add_f64 v[23:24], v[23:24], v[37:38]
	v_add_f64 v[38:39], v[25:26], -v[31:32]
	v_add_f64 v[33:34], v[35:36], -v[42:43]
	v_add_f64 v[40:41], v[27:28], v[23:24]
	;; [unrolled: 3-line block ×3, first 2 shown]
	v_cvt_i32_f64_e32 v4, v[40:41]
	v_add_f64 v[31:32], v[31:32], -v[44:45]
	v_cvt_f64_i32_e32 v[38:39], v4
	v_add_f64 v[13:14], v[13:14], v[31:32]
	v_add_f64 v[23:24], v[23:24], -v[38:39]
	v_add_f64 v[13:14], v[15:16], v[13:14]
	v_add_f64 v[15:16], v[27:28], v[23:24]
	;; [unrolled: 1-line block ×3, first 2 shown]
	v_add_f64 v[13:14], v[15:16], -v[23:24]
	v_cmp_le_f64_e32 vcc_lo, 0.5, v[15:16]
	v_add_f64 v[11:12], v[17:18], v[11:12]
	v_add_f64 v[13:14], v[27:28], -v[13:14]
	v_cndmask_b32_e64 v38, 0, 0x3ff00000, vcc_lo
	v_add_co_ci_u32_e64 v4, null, 0, v4, vcc_lo
	v_add_f64 v[11:12], v[11:12], v[13:14]
	v_add_f64 v[13:14], v[15:16], -v[37:38]
	v_add_f64 v[15:16], v[13:14], v[11:12]
	v_mul_f64 v[17:18], v[15:16], s[0:1]
	v_add_f64 v[13:14], v[15:16], -v[13:14]
	v_fma_f64 v[23:24], v[15:16], s[0:1], -v[17:18]
	v_add_f64 v[11:12], v[11:12], -v[13:14]
	v_fma_f64 v[13:14], v[15:16], s[12:13], v[23:24]
	v_fma_f64 v[13:14], v[11:12], s[0:1], v[13:14]
	v_add_f64 v[11:12], v[17:18], v[13:14]
	v_add_f64 v[15:16], v[11:12], -v[17:18]
	v_add_f64 v[13:14], v[13:14], -v[15:16]
	s_andn2_saveexec_b32 s0, s3
	s_cbranch_execz .LBB7_109
	s_branch .LBB7_108
.LBB7_107:
	s_andn2_saveexec_b32 s0, s3
	s_cbranch_execz .LBB7_109
.LBB7_108:
	s_mov_b32 s12, 0x6dc9c883
	s_mov_b32 s13, 0x3fe45f30
	;; [unrolled: 1-line block ×3, first 2 shown]
	v_mul_f64 v[11:12], |v[8:9]|, s[12:13]
	s_mov_b32 s12, 0x54442d18
	s_mov_b32 s13, 0xbff921fb
	;; [unrolled: 1-line block ×3, first 2 shown]
	v_rndne_f64_e32 v[15:16], v[11:12]
	v_fma_f64 v[11:12], v[15:16], s[12:13], |v[8:9]|
	v_mul_f64 v[13:14], v[15:16], s[14:15]
	s_mov_b32 s12, 0x252049c0
	s_mov_b32 s13, 0xb97b839a
	v_cvt_i32_f64_e32 v4, v[15:16]
	v_fma_f64 v[23:24], v[15:16], s[14:15], v[11:12]
	v_add_f64 v[17:18], v[11:12], v[13:14]
	s_mov_b32 s15, 0x3c91a626
	v_add_f64 v[11:12], v[11:12], -v[17:18]
	v_add_f64 v[17:18], v[17:18], -v[23:24]
	v_add_f64 v[11:12], v[11:12], v[13:14]
	v_fma_f64 v[13:14], v[15:16], s[14:15], v[13:14]
	v_add_f64 v[11:12], v[17:18], v[11:12]
	v_add_f64 v[11:12], v[11:12], -v[13:14]
	v_fma_f64 v[13:14], v[15:16], s[12:13], v[11:12]
	v_add_f64 v[11:12], v[23:24], v[13:14]
	v_add_f64 v[17:18], v[11:12], -v[23:24]
	v_add_f64 v[13:14], v[13:14], -v[17:18]
.LBB7_109:
	s_or_b32 exec_lo, exec_lo, s0
                                        ; implicit-def: $vgpr25
                                        ; implicit-def: $vgpr15_vgpr16
                                        ; implicit-def: $vgpr17_vgpr18
	s_and_saveexec_b32 s0, s2
	s_xor_b32 s0, exec_lo, s0
	s_cbranch_execz .LBB7_111
; %bb.110:
	v_ldexp_f64 v[15:16], |v[8:9]|, 0xffffff80
	v_cmp_le_f64_e64 vcc_lo, 0x7b000000, |v[8:9]|
	v_trig_preop_f64 v[17:18], |v[8:9]|, 0
	v_and_b32_e32 v23, 0x7fffffff, v9
	v_trig_preop_f64 v[33:34], |v[8:9]|, 2
	v_mov_b32_e32 v41, 0
	s_mov_b32 s2, 0x54442d18
	s_mov_b32 s3, 0x3ff921fb
	;; [unrolled: 1-line block ×4, first 2 shown]
	v_cndmask_b32_e32 v16, v23, v16, vcc_lo
	v_cndmask_b32_e32 v15, v8, v15, vcc_lo
	v_trig_preop_f64 v[23:24], |v[8:9]|, 1
	v_mul_f64 v[25:26], v[17:18], v[15:16]
	v_mul_f64 v[39:40], v[33:34], v[15:16]
	;; [unrolled: 1-line block ×3, first 2 shown]
	v_fma_f64 v[17:18], v[17:18], v[15:16], -v[25:26]
	v_fma_f64 v[23:24], v[23:24], v[15:16], -v[27:28]
	;; [unrolled: 1-line block ×3, first 2 shown]
	v_add_f64 v[29:30], v[27:28], v[17:18]
	v_add_f64 v[31:32], v[29:30], -v[27:28]
	v_add_f64 v[37:38], v[25:26], v[29:30]
	v_add_f64 v[35:36], v[29:30], -v[31:32]
	v_add_f64 v[17:18], v[17:18], -v[31:32]
	v_ldexp_f64 v[31:32], v[37:38], -2
	v_add_f64 v[25:26], v[37:38], -v[25:26]
	v_add_f64 v[27:28], v[27:28], -v[35:36]
	v_add_f64 v[35:36], v[39:40], v[23:24]
	v_cmp_neq_f64_e64 vcc_lo, 0x7ff00000, |v[31:32]|
	v_add_f64 v[25:26], v[29:30], -v[25:26]
	v_add_f64 v[17:18], v[17:18], v[27:28]
	v_fract_f64_e32 v[27:28], v[31:32]
	v_add_f64 v[29:30], v[35:36], v[17:18]
	v_ldexp_f64 v[27:28], v[27:28], 2
	v_add_f64 v[31:32], v[25:26], v[29:30]
	v_cndmask_b32_e32 v28, 0, v28, vcc_lo
	v_cndmask_b32_e32 v27, 0, v27, vcc_lo
	v_add_f64 v[37:38], v[31:32], v[27:28]
	v_add_f64 v[25:26], v[31:32], -v[25:26]
	v_cmp_gt_f64_e32 vcc_lo, 0, v[37:38]
	v_add_f64 v[37:38], v[35:36], -v[39:40]
	v_add_f64 v[25:26], v[29:30], -v[25:26]
	v_cndmask_b32_e64 v42, 0, 0x40100000, vcc_lo
	v_add_f64 v[46:47], v[35:36], -v[37:38]
	v_add_f64 v[23:24], v[23:24], -v[37:38]
	v_add_f64 v[27:28], v[27:28], v[41:42]
	v_add_f64 v[42:43], v[29:30], -v[35:36]
	v_add_f64 v[37:38], v[39:40], -v[46:47]
	v_add_f64 v[44:45], v[31:32], v[27:28]
	;; [unrolled: 3-line block ×3, first 2 shown]
	v_cvt_i32_f64_e32 v44, v[44:45]
	v_add_f64 v[35:36], v[35:36], -v[48:49]
	v_cvt_f64_i32_e32 v[42:43], v44
	v_add_f64 v[17:18], v[17:18], v[35:36]
	v_add_f64 v[27:28], v[27:28], -v[42:43]
	v_add_f64 v[17:18], v[23:24], v[17:18]
	v_add_f64 v[23:24], v[31:32], v[27:28]
	;; [unrolled: 1-line block ×3, first 2 shown]
	v_add_f64 v[17:18], v[23:24], -v[27:28]
	v_cmp_le_f64_e32 vcc_lo, 0.5, v[23:24]
	v_add_f64 v[15:16], v[25:26], v[15:16]
	v_add_f64 v[17:18], v[31:32], -v[17:18]
	v_cndmask_b32_e64 v42, 0, 0x3ff00000, vcc_lo
	v_add_co_ci_u32_e64 v25, null, 0, v44, vcc_lo
	v_add_f64 v[15:16], v[15:16], v[17:18]
	v_add_f64 v[17:18], v[23:24], -v[41:42]
	v_add_f64 v[23:24], v[17:18], v[15:16]
	v_mul_f64 v[26:27], v[23:24], s[2:3]
	v_add_f64 v[17:18], v[23:24], -v[17:18]
	v_fma_f64 v[28:29], v[23:24], s[2:3], -v[26:27]
	v_add_f64 v[15:16], v[15:16], -v[17:18]
	v_fma_f64 v[17:18], v[23:24], s[12:13], v[28:29]
	v_fma_f64 v[17:18], v[15:16], s[2:3], v[17:18]
	v_add_f64 v[15:16], v[26:27], v[17:18]
	v_add_f64 v[23:24], v[15:16], -v[26:27]
	v_add_f64 v[17:18], v[17:18], -v[23:24]
	s_andn2_saveexec_b32 s0, s0
	s_cbranch_execnz .LBB7_112
	s_branch .LBB7_113
.LBB7_111:
	s_andn2_saveexec_b32 s0, s0
	s_cbranch_execz .LBB7_113
.LBB7_112:
	s_mov_b32 s2, 0x6dc9c883
	s_mov_b32 s3, 0x3fe45f30
	;; [unrolled: 1-line block ×3, first 2 shown]
	v_mul_f64 v[15:16], |v[8:9]|, s[2:3]
	s_mov_b32 s2, 0x54442d18
	s_mov_b32 s3, 0xbff921fb
	;; [unrolled: 1-line block ×3, first 2 shown]
	v_rndne_f64_e32 v[23:24], v[15:16]
	v_fma_f64 v[15:16], v[23:24], s[2:3], |v[8:9]|
	v_mul_f64 v[17:18], v[23:24], s[12:13]
	s_mov_b32 s2, 0x252049c0
	s_mov_b32 s3, 0xb97b839a
	v_fma_f64 v[27:28], v[23:24], s[12:13], v[15:16]
	v_add_f64 v[25:26], v[15:16], v[17:18]
	s_mov_b32 s13, 0x3c91a626
	v_add_f64 v[15:16], v[15:16], -v[25:26]
	v_add_f64 v[25:26], v[25:26], -v[27:28]
	v_add_f64 v[15:16], v[15:16], v[17:18]
	v_fma_f64 v[17:18], v[23:24], s[12:13], v[17:18]
	v_add_f64 v[15:16], v[25:26], v[15:16]
	v_add_f64 v[15:16], v[15:16], -v[17:18]
	v_fma_f64 v[17:18], v[23:24], s[2:3], v[15:16]
	v_add_f64 v[15:16], v[27:28], v[17:18]
	v_add_f64 v[25:26], v[15:16], -v[27:28]
	v_add_f64 v[17:18], v[17:18], -v[25:26]
	v_cvt_i32_f64_e32 v25, v[23:24]
.LBB7_113:
	s_or_b32 exec_lo, exec_lo, s0
	v_div_scale_f64 v[23:24], null, v[21:22], v[21:22], 1.0
	v_div_scale_f64 v[30:31], vcc_lo, 1.0, v[21:22], 1.0
	s_mov_b32 s0, 0xddcfbbde
	s_mov_b32 s1, 0x3f943525
	;; [unrolled: 1-line block ×8, first 2 shown]
	v_mul_f64 v[46:47], v[11:12], v[11:12]
	s_mov_b32 s16, 0x9037ab78
	s_mov_b32 s18, 0x46cc5e42
	;; [unrolled: 1-line block ×6, first 2 shown]
	v_rcp_f64_e32 v[26:27], v[23:24]
	v_fma_f64 v[28:29], -v[23:24], v[26:27], 1.0
	v_fma_f64 v[26:27], v[26:27], v[28:29], v[26:27]
	v_fma_f64 v[28:29], -v[23:24], v[26:27], 1.0
	v_fma_f64 v[26:27], v[26:27], v[28:29], v[26:27]
	v_mul_f64 v[28:29], v[30:31], v[26:27]
	v_fma_f64 v[23:24], -v[23:24], v[28:29], v[30:31]
	v_div_fmas_f64 v[23:24], v[23:24], v[26:27], v[28:29]
	v_cmp_gt_f64_e32 vcc_lo, 0x10000000, v[19:20]
	v_div_fixup_f64 v[21:22], v[23:24], v[21:22], 1.0
	v_cndmask_b32_e64 v28, 0, 0x100, vcc_lo
	v_ldexp_f64 v[19:20], v[19:20], v28
	v_mul_f64 v[23:24], v[21:22], v[21:22]
	v_rsq_f64_e32 v[32:33], v[19:20]
	v_fma_f64 v[26:27], v[23:24], 0, s[0:1]
	s_mov_b32 s0, 0x6437b7
	s_mov_b32 s1, 0x3fd907d5
	v_fma_f64 v[30:31], v[23:24], 0, s[12:13]
	s_mov_b32 s12, 0xa0ef1acb
	s_mov_b32 s13, 0x3fee0dac
	v_mul_f64 v[36:37], v[19:20], v[32:33]
	v_mul_f64 v[32:33], v[32:33], 0.5
	v_fma_f64 v[26:27], v[23:24], v[26:27], s[0:1]
	s_mov_b32 s0, 0xd50ae6fb
	s_mov_b32 s1, 0xbfc0db6c
	v_fma_f64 v[30:31], v[23:24], v[30:31], s[14:15]
	v_fma_f64 v[28:29], v[23:24], 0, s[0:1]
	s_mov_b32 s0, 0x98566852
	s_mov_b32 s1, 0xbfe40bee
	;; [unrolled: 1-line block ×4, first 2 shown]
	v_fma_f64 v[38:39], -v[32:33], v[36:37], 0.5
	v_fma_f64 v[26:27], v[23:24], v[26:27], s[2:3]
	s_mov_b32 s2, 0x2572edf2
	s_mov_b32 s3, 0x402ab64b
	v_fma_f64 v[30:31], v[23:24], v[30:31], s[14:15]
	v_fma_f64 v[34:35], v[23:24], 0, s[2:3]
	;; [unrolled: 1-line block ×3, first 2 shown]
	s_mov_b32 s0, 0xc2f79f7d
	s_mov_b32 s2, 0x44787b1a
	;; [unrolled: 1-line block ×6, first 2 shown]
	v_fma_f64 v[36:37], v[36:37], v[38:39], v[36:37]
	v_fma_f64 v[32:33], v[32:33], v[38:39], v[32:33]
	;; [unrolled: 1-line block ×3, first 2 shown]
	s_mov_b32 s12, 0xcea8fe1d
	s_mov_b32 s13, 0x3fd67e69
	v_fma_f64 v[30:31], v[23:24], v[30:31], s[14:15]
	v_fma_f64 v[34:35], v[23:24], v[34:35], s[2:3]
	;; [unrolled: 1-line block ×3, first 2 shown]
	s_mov_b32 s0, 0x4bb3f40b
	s_mov_b32 s2, 0xa3b73410
	;; [unrolled: 1-line block ×6, first 2 shown]
	v_fma_f64 v[38:39], -v[36:37], v[36:37], v[19:20]
	v_fma_f64 v[26:27], v[23:24], v[26:27], s[12:13]
	s_mov_b32 s12, 0x21e90978
	s_mov_b32 s13, 0x3fb03a41
	v_fma_f64 v[30:31], v[23:24], v[30:31], s[14:15]
	v_fma_f64 v[34:35], v[23:24], v[34:35], s[2:3]
	;; [unrolled: 1-line block ×3, first 2 shown]
	s_mov_b32 s0, 0xf47dbd8a
	s_mov_b32 s2, 0x2ac99873
	;; [unrolled: 1-line block ×6, first 2 shown]
	v_fma_f64 v[36:37], v[38:39], v[32:33], v[36:37]
	v_fma_f64 v[26:27], v[23:24], v[26:27], s[12:13]
	s_mov_b32 s12, 0xf12f5043
	s_mov_b32 s13, 0x3f77fe99
	v_fma_f64 v[30:31], v[23:24], v[30:31], s[14:15]
	v_fma_f64 v[34:35], v[23:24], v[34:35], s[2:3]
	;; [unrolled: 1-line block ×3, first 2 shown]
	s_mov_b32 s0, 0xc8d9e090
	s_mov_b32 s2, 0x39de9319
	;; [unrolled: 1-line block ×6, first 2 shown]
	v_fma_f64 v[38:39], -v[36:37], v[36:37], v[19:20]
	v_fma_f64 v[26:27], v[23:24], v[26:27], s[12:13]
	s_mov_b32 s12, 0x600e17a2
	s_mov_b32 s13, 0x3f328976
	v_fma_f64 v[30:31], v[23:24], v[30:31], s[14:15]
	v_fma_f64 v[34:35], v[23:24], v[34:35], s[2:3]
	;; [unrolled: 1-line block ×3, first 2 shown]
	s_mov_b32 s0, 0xaf4b009c
	s_mov_b32 s2, 0xb4045a2b
	;; [unrolled: 1-line block ×6, first 2 shown]
	v_fma_f64 v[32:33], v[38:39], v[32:33], v[36:37]
	v_cndmask_b32_e64 v36, 0, 0xffffff80, vcc_lo
	v_cmp_class_f64_e64 vcc_lo, v[19:20], 0x260
	v_fma_f64 v[26:27], v[23:24], v[26:27], s[12:13]
	s_mov_b32 s12, 0x69f8574e
	s_mov_b32 s13, 0x3edd4f3d
	v_fma_f64 v[30:31], v[23:24], v[30:31], s[14:15]
	v_fma_f64 v[34:35], v[23:24], v[34:35], s[2:3]
	;; [unrolled: 1-line block ×3, first 2 shown]
	s_mov_b32 s0, 0x1d42366d
	s_mov_b32 s2, 0xe03af617
	s_mov_b32 s1, 0xbec74a78
	s_mov_b32 s3, 0x3f7208ca
	s_mov_b32 s14, 0xdb0724e8
	s_mov_b32 s15, 0x3eb3a845
	v_ldexp_f64 v[32:33], v[32:33], v36
	v_fma_f64 v[26:27], v[23:24], v[26:27], s[12:13]
	s_mov_b32 s12, 0xbbad11c8
	s_mov_b32 s13, 0x3e75ca92
	v_fma_f64 v[30:31], v[23:24], v[30:31], s[14:15]
	v_fma_f64 v[34:35], v[23:24], v[34:35], s[2:3]
	;; [unrolled: 1-line block ×3, first 2 shown]
	s_mov_b32 s0, 0xaf76e73b
	s_mov_b32 s2, 0xf68ea2d2
	;; [unrolled: 1-line block ×6, first 2 shown]
	v_cndmask_b32_e32 v20, v33, v20, vcc_lo
	v_cndmask_b32_e32 v19, v32, v19, vcc_lo
	v_fma_f64 v[26:27], v[23:24], v[26:27], s[12:13]
	s_mov_b32 s12, 0x7d97ee7a
	s_mov_b32 s13, 0x3df778a4
	v_fma_f64 v[34:35], v[23:24], v[34:35], s[0:1]
	v_fma_f64 v[28:29], v[23:24], v[28:29], s[2:3]
	s_mov_b32 s0, 0xb99518a7
	s_mov_b32 s1, 0x3e9e52b9
	;; [unrolled: 1-line block ×4, first 2 shown]
	v_fma_f64 v[26:27], v[23:24], v[26:27], s[12:13]
	s_mov_b32 s12, 0xf9a43bb8
	s_mov_b32 s13, 0x3de5e0b2
	v_fma_f64 v[34:35], v[23:24], v[34:35], s[0:1]
	v_mul_f64 v[28:29], v[23:24], v[28:29]
	v_fma_f64 v[23:24], v[23:24], v[30:31], s[2:3]
	s_mov_b32 s2, 0x50429b6d
	s_mov_b32 s3, 0x3fe20dd7
	;; [unrolled: 1-line block ×3, first 2 shown]
	v_div_scale_f64 v[32:33], null, v[19:20], v[19:20], s[2:3]
	s_mov_b32 s1, 0xbe5ae600
	v_fma_f64 v[58:59], v[46:47], s[12:13], s[0:1]
	v_mul_f64 v[21:22], v[21:22], v[26:27]
	v_mul_f64 v[26:27], v[15:16], v[15:16]
	v_div_scale_f64 v[30:31], null, v[34:35], v[34:35], v[28:29]
	v_rcp_f64_e32 v[42:43], v[32:33]
	v_div_scale_f64 v[36:37], null, v[23:24], v[23:24], v[21:22]
	v_fma_f64 v[38:39], v[26:27], s[12:13], s[0:1]
	v_mul_f64 v[48:49], v[26:27], 0.5
	v_fma_f64 v[50:51], v[26:27], s[18:19], s[16:17]
	v_rcp_f64_e32 v[40:41], v[30:31]
	s_mov_b32 s0, 0xa17f65f6
	s_mov_b32 s1, 0xbe927e4f
	s_mov_b32 s12, 0x11110bb3
	s_mov_b32 s13, 0x3f811111
	v_mul_f64 v[62:63], v[15:16], -v[26:27]
	v_fma_f64 v[54:55], -v[32:33], v[42:43], 1.0
	v_rcp_f64_e32 v[44:45], v[36:37]
	v_fma_f64 v[38:39], v[26:27], v[38:39], s[14:15]
	v_add_f64 v[60:61], -v[48:49], 1.0
	v_fma_f64 v[50:51], v[26:27], v[50:51], s[0:1]
	v_fma_f64 v[52:53], -v[30:31], v[40:41], 1.0
	v_fma_f64 v[42:43], v[42:43], v[54:55], v[42:43]
	v_mul_f64 v[54:55], v[46:47], 0.5
	v_fma_f64 v[38:39], v[26:27], v[38:39], s[20:21]
	v_fma_f64 v[56:57], -v[36:37], v[44:45], 1.0
	v_add_f64 v[64:65], -v[60:61], 1.0
	v_fma_f64 v[40:41], v[40:41], v[52:53], v[40:41]
	v_fma_f64 v[52:53], v[46:47], s[18:19], s[16:17]
	s_mov_b32 s16, 0x16c16967
	s_mov_b32 s17, 0xbf56c16c
	v_fma_f64 v[68:69], -v[32:33], v[42:43], 1.0
	v_add_f64 v[72:73], -v[54:55], 1.0
	v_fma_f64 v[38:39], v[26:27], v[38:39], s[12:13]
	v_fma_f64 v[44:45], v[44:45], v[56:57], v[44:45]
	;; [unrolled: 1-line block ×3, first 2 shown]
	v_mul_f64 v[58:59], v[17:18], 0.5
	s_mov_b32 s14, 0x19f4ec90
	s_mov_b32 s15, 0x3efa01a0
	v_fma_f64 v[66:67], -v[30:31], v[40:41], 1.0
	v_fma_f64 v[50:51], v[26:27], v[50:51], s[14:15]
	v_fma_f64 v[52:53], v[46:47], v[52:53], s[0:1]
	v_add_f64 v[48:49], v[64:65], -v[48:49]
	v_div_scale_f64 v[64:65], s0, s[2:3], v[19:20], s[2:3]
	v_fma_f64 v[42:43], v[42:43], v[68:69], v[42:43]
	v_mul_f64 v[68:69], v[13:14], 0.5
	v_add_f64 v[74:75], -v[72:73], 1.0
	v_fma_f64 v[70:71], -v[36:37], v[44:45], 1.0
	v_fma_f64 v[56:57], v[46:47], v[56:57], s[20:21]
	v_fma_f64 v[38:39], v[62:63], v[38:39], v[58:59]
	v_div_scale_f64 v[58:59], vcc_lo, v[28:29], v[34:35], v[28:29]
	v_fma_f64 v[40:41], v[40:41], v[66:67], v[40:41]
	v_fma_f64 v[50:51], v[26:27], v[50:51], s[16:17]
	v_div_scale_f64 v[66:67], s1, v[21:22], v[23:24], v[21:22]
	v_fma_f64 v[52:53], v[46:47], v[52:53], s[14:15]
	s_mov_b32 s15, 0xbfc55555
	v_mul_f64 v[76:77], v[64:65], v[42:43]
	v_add_f64 v[54:55], v[74:75], -v[54:55]
	v_fma_f64 v[44:45], v[44:45], v[70:71], v[44:45]
	v_mul_f64 v[70:71], v[11:12], -v[46:47]
	v_fma_f64 v[56:57], v[46:47], v[56:57], s[12:13]
	v_fma_f64 v[38:39], v[26:27], v[38:39], -v[17:18]
	s_mov_b32 s12, 0x55555555
	s_mov_b32 s13, 0x3fa55555
	v_fma_f64 v[17:18], v[15:16], -v[17:18], v[48:49]
	v_fma_f64 v[48:49], v[26:27], v[50:51], s[12:13]
	v_mul_f64 v[26:27], v[26:27], v[26:27]
	v_mul_f64 v[50:51], v[58:59], v[40:41]
	v_fma_f64 v[52:53], v[46:47], v[52:53], s[16:17]
	s_mov_b32 s14, s12
	v_mul_f64 v[78:79], v[66:67], v[44:45]
	v_fma_f64 v[56:57], v[70:71], v[56:57], v[68:69]
	v_fma_f64 v[38:39], v[62:63], s[14:15], v[38:39]
	v_fma_f64 v[17:18], v[26:27], v[48:49], v[17:18]
	v_fma_f64 v[26:27], -v[30:31], v[50:51], v[58:59]
	v_fma_f64 v[30:31], -v[32:33], v[76:77], v[64:65]
	v_fma_f64 v[48:49], v[46:47], v[52:53], s[12:13]
	v_fma_f64 v[52:53], v[11:12], -v[13:14], v[54:55]
	v_fma_f64 v[32:33], -v[36:37], v[78:79], v[66:67]
	v_mul_f64 v[36:37], v[46:47], v[46:47]
	v_fma_f64 v[13:14], v[46:47], v[56:57], -v[13:14]
	v_add_f64 v[15:16], v[15:16], -v[38:39]
	v_and_b32_e32 v38, 1, v25
	v_add_f64 v[17:18], v[60:61], v[17:18]
	v_div_fmas_f64 v[26:27], v[26:27], v[40:41], v[50:51]
	s_mov_b32 vcc_lo, s0
	v_div_fmas_f64 v[30:31], v[30:31], v[42:43], v[76:77]
	s_mov_b32 vcc_lo, s1
	v_div_fmas_f64 v[32:33], v[32:33], v[44:45], v[78:79]
	v_fma_f64 v[36:37], v[36:37], v[48:49], v[52:53]
	v_fma_f64 v[13:14], v[70:71], s[14:15], v[13:14]
	v_xor_b32_e32 v16, 0x80000000, v16
	v_cmp_eq_u32_e32 vcc_lo, 0, v38
	v_cndmask_b32_e32 v38, v16, v18, vcc_lo
	v_cndmask_b32_e32 v39, v15, v17, vcc_lo
	v_cmp_class_f64_e64 vcc_lo, v[8:9], 0x1f8
	v_div_fixup_f64 v[15:16], v[26:27], v[34:35], v[28:29]
	v_lshlrev_b32_e32 v8, 30, v25
	v_and_b32_e32 v8, 0x80000000, v8
	v_div_fixup_f64 v[17:18], v[32:33], v[23:24], v[21:22]
	v_add_f64 v[21:22], v[72:73], v[36:37]
	v_add_f64 v[11:12], v[11:12], -v[13:14]
	v_xor_b32_e32 v8, v38, v8
	v_cndmask_b32_e32 v13, 0, v39, vcc_lo
	v_cndmask_b32_e32 v14, 0x7ff80000, v8, vcc_lo
	v_lshlrev_b32_e32 v8, 30, v4
	v_and_b32_e32 v4, 1, v4
	v_add_f64 v[15:16], v[15:16], 1.0
	v_xor_b32_e32 v8, v8, v9
	v_cmp_eq_u32_e64 s0, 0, v4
	v_mul_f64 v[13:14], v[17:18], v[13:14]
	v_and_b32_e32 v8, 0x80000000, v8
	v_cndmask_b32_e64 v4, v22, v12, s0
	v_cndmask_b32_e64 v9, v21, v11, s0
	v_div_fixup_f64 v[11:12], v[30:31], v[19:20], s[2:3]
	v_xor_b32_e32 v4, v4, v8
	v_cndmask_b32_e32 v8, 0, v9, vcc_lo
	v_cndmask_b32_e32 v9, 0x7ff80000, v4, vcc_lo
	v_fma_f64 v[8:9], v[15:16], v[8:9], -v[13:14]
	v_mul_f64 v[8:9], v[11:12], v[8:9]
.LBB7_114:
	s_or_b32 exec_lo, exec_lo, s10
.LBB7_115:
	s_or_b32 exec_lo, exec_lo, s9
.LBB7_116:
	s_or_b32 exec_lo, exec_lo, s8
	global_load_dwordx2 v[14:15], v10, s[6:7]
	v_mov_b32_e32 v10, 0
	v_mov_b32_e32 v12, 0
	;; [unrolled: 1-line block ×4, first 2 shown]
	s_mov_b32 s8, exec_lo
	s_waitcnt vmcnt(0)
	v_cmpx_neq_f64_e64 0x7ff00000, |v[14:15]|
	s_cbranch_execz .LBB7_138
; %bb.117:
	v_mov_b32_e32 v12, 0
	v_mov_b32_e32 v13, 0
	s_mov_b32 s0, 0x872b020c
	s_mov_b32 s1, 0x4059f916
	s_mov_b32 s9, exec_lo
	v_cmpx_nlt_f64_e32 s[0:1], v[14:15]
	s_cbranch_execz .LBB7_137
; %bb.118:
	s_mov_b32 s1, 0xc000b851
	s_mov_b32 s0, 0xeb851eb8
                                        ; implicit-def: $vgpr12_vgpr13
	v_cmp_ngt_f64_e32 vcc_lo, s[0:1], v[14:15]
	s_and_saveexec_b32 s1, vcc_lo
	s_xor_b32 s2, exec_lo, s1
	s_cbranch_execz .LBB7_126
; %bb.119:
	s_mov_b32 s1, 0x4000b851
	v_mov_b32_e32 v12, 0
	v_cmp_nle_f64_e64 s3, s[0:1], v[14:15]
	v_cmp_le_f64_e32 vcc_lo, s[0:1], v[14:15]
	v_mov_b32_e32 v13, 0
	s_mov_b32 s0, s3
	s_and_saveexec_b32 s10, vcc_lo
	s_cbranch_execz .LBB7_121
; %bb.120:
	v_cmp_gt_f64_e32 vcc_lo, 0x10000000, v[14:15]
	s_mov_b32 s0, 0x2537b658
	s_mov_b32 s12, 0x2624d31
	;; [unrolled: 1-line block ×4, first 2 shown]
	v_cndmask_b32_e64 v4, 0, 0x100, vcc_lo
	v_ldexp_f64 v[12:13], v[14:15], v4
	v_cndmask_b32_e64 v4, 0, 0xffffff80, vcc_lo
	v_rsq_f64_e32 v[16:17], v[12:13]
	v_cmp_class_f64_e64 vcc_lo, v[12:13], 0x260
	v_mul_f64 v[18:19], v[12:13], v[16:17]
	v_mul_f64 v[16:17], v[16:17], 0.5
	v_fma_f64 v[20:21], -v[16:17], v[18:19], 0.5
	v_fma_f64 v[18:19], v[18:19], v[20:21], v[18:19]
	v_fma_f64 v[16:17], v[16:17], v[20:21], v[16:17]
	v_fma_f64 v[20:21], -v[18:19], v[18:19], v[12:13]
	v_fma_f64 v[18:19], v[20:21], v[16:17], v[18:19]
	v_fma_f64 v[20:21], -v[18:19], v[18:19], v[12:13]
	v_fma_f64 v[16:17], v[20:21], v[16:17], v[18:19]
	v_add_f64 v[18:19], v[14:15], v[14:15]
	v_ldexp_f64 v[16:17], v[16:17], v4
	v_cndmask_b32_e32 v13, v17, v13, vcc_lo
	v_cndmask_b32_e32 v12, v16, v12, vcc_lo
	v_mul_f64 v[16:17], v[18:19], v[12:13]
	v_div_scale_f64 v[18:19], null, 0x40080000, 0x40080000, v[16:17]
	v_div_scale_f64 v[24:25], vcc_lo, v[16:17], 0x40080000, v[16:17]
	v_rcp_f64_e32 v[20:21], v[18:19]
	v_fma_f64 v[22:23], -v[18:19], v[20:21], 1.0
	v_fma_f64 v[20:21], v[20:21], v[22:23], v[20:21]
	v_fma_f64 v[22:23], -v[18:19], v[20:21], 1.0
	v_fma_f64 v[20:21], v[20:21], v[22:23], v[20:21]
	v_mul_f64 v[22:23], v[24:25], v[20:21]
	v_fma_f64 v[18:19], -v[18:19], v[22:23], v[24:25]
	v_div_fmas_f64 v[18:19], v[18:19], v[20:21], v[22:23]
	v_div_fixup_f64 v[16:17], v[18:19], 0x40080000, v[16:17]
	v_div_scale_f64 v[18:19], null, v[16:17], v[16:17], 1.0
	v_div_scale_f64 v[24:25], vcc_lo, 1.0, v[16:17], 1.0
	v_rcp_f64_e32 v[20:21], v[18:19]
	v_fma_f64 v[22:23], -v[18:19], v[20:21], 1.0
	v_fma_f64 v[20:21], v[20:21], v[22:23], v[20:21]
	v_fma_f64 v[22:23], -v[18:19], v[20:21], 1.0
	v_fma_f64 v[20:21], v[20:21], v[22:23], v[20:21]
	v_mul_f64 v[22:23], v[24:25], v[20:21]
	v_fma_f64 v[18:19], -v[18:19], v[22:23], v[24:25]
	v_div_fmas_f64 v[18:19], v[18:19], v[20:21], v[22:23]
	v_cmp_gt_f64_e32 vcc_lo, 0x10000000, v[12:13]
	v_div_fixup_f64 v[18:19], v[18:19], v[16:17], 1.0
	v_cndmask_b32_e64 v4, 0, 0x100, vcc_lo
	v_ldexp_f64 v[12:13], v[12:13], v4
	v_fma_f64 v[20:21], v[18:19], 0, s[12:13]
	v_fma_f64 v[22:23], v[18:19], 0, s[0:1]
	s_mov_b32 s0, 0x652b82fe
	s_mov_b32 s1, 0x3ff71547
	;; [unrolled: 1-line block ×3, first 2 shown]
	v_mul_f64 v[24:25], v[16:17], s[0:1]
	s_mov_b32 s0, 0x871a9067
	s_mov_b32 s1, 0x402803e3
	;; [unrolled: 1-line block ×3, first 2 shown]
	v_fma_f64 v[20:21], v[18:19], v[20:21], s[12:13]
	v_fma_f64 v[22:23], v[18:19], v[22:23], s[0:1]
	s_mov_b32 s0, 0xde2e1e3
	s_mov_b32 s12, 0xb04d51a0
	;; [unrolled: 1-line block ×3, first 2 shown]
	v_rndne_f64_e32 v[24:25], v[24:25]
	s_mov_b32 s13, 0x405520e3
	v_fma_f64 v[20:21], v[18:19], v[20:21], s[12:13]
	v_fma_f64 v[22:23], v[18:19], v[22:23], s[0:1]
	s_mov_b32 s0, 0xfefa39ef
	s_mov_b32 s1, 0xbfe62e42
	;; [unrolled: 1-line block ×3, first 2 shown]
	v_fma_f64 v[26:27], v[24:25], s[0:1], v[16:17]
	s_mov_b32 s0, 0xee40073c
	s_mov_b32 s1, 0x406502da
	;; [unrolled: 1-line block ×3, first 2 shown]
	v_cvt_i32_f64_e32 v4, v[24:25]
	v_fma_f64 v[20:21], v[18:19], v[20:21], s[12:13]
	v_fma_f64 v[22:23], v[18:19], v[22:23], s[0:1]
	s_mov_b32 s0, 0x3b39803f
	s_mov_b32 s1, 0xbc7abc9e
	;; [unrolled: 1-line block ×3, first 2 shown]
	v_fma_f64 v[26:27], v[24:25], s[0:1], v[26:27]
	s_mov_b32 s0, 0x5ba1fddf
	s_mov_b32 s1, 0x4063f834
	s_mov_b32 s13, 0x40648782
	v_fma_f64 v[20:21], v[18:19], v[20:21], s[12:13]
	v_fma_f64 v[22:23], v[18:19], v[22:23], s[0:1]
	s_mov_b32 s0, 0xfca7ab0c
	s_mov_b32 s12, 0x6a5dcb37
	;; [unrolled: 1-line block ×4, first 2 shown]
	v_fma_f64 v[28:29], v[26:27], s[12:13], s[0:1]
	s_mov_b32 s0, 0x4f4cea4f
	s_mov_b32 s12, 0xee91d35f
	;; [unrolled: 1-line block ×4, first 2 shown]
	v_fma_f64 v[20:21], v[18:19], v[20:21], s[12:13]
	v_fma_f64 v[22:23], v[18:19], v[22:23], s[0:1]
	s_mov_b32 s0, 0x623fde64
	s_mov_b32 s1, 0x3ec71dee
	;; [unrolled: 1-line block ×4, first 2 shown]
	v_fma_f64 v[28:29], v[26:27], v[28:29], s[0:1]
	s_mov_b32 s0, 0x5c2a0f4d
	s_mov_b32 s1, 0x402c0d8d
	v_fma_f64 v[20:21], v[18:19], v[20:21], s[12:13]
	v_fma_f64 v[22:23], v[18:19], v[22:23], s[0:1]
	s_mov_b32 s0, 0x7c89e6b0
	s_mov_b32 s1, 0x3efa0199
	v_fma_f64 v[28:29], v[26:27], v[28:29], s[0:1]
	s_mov_b32 s0, 0x14761f6e
	s_mov_b32 s1, 0x3f2a01a0
	v_fma_f64 v[20:21], v[18:19], v[20:21], 1.0
	v_fma_f64 v[18:19], v[18:19], v[22:23], 1.0
	v_rsq_f64_e32 v[22:23], v[12:13]
	v_fma_f64 v[28:29], v[26:27], v[28:29], s[0:1]
	s_mov_b32 s0, 0x1852b7b0
	s_mov_b32 s1, 0x3f56c16c
	v_div_scale_f64 v[30:31], null, v[20:21], v[20:21], v[18:19]
	v_mul_f64 v[32:33], v[12:13], v[22:23]
	v_mul_f64 v[22:23], v[22:23], 0.5
	v_fma_f64 v[28:29], v[26:27], v[28:29], s[0:1]
	s_mov_b32 s0, 0x11122322
	s_mov_b32 s1, 0x3f811111
	v_rcp_f64_e32 v[34:35], v[30:31]
	v_fma_f64 v[36:37], -v[22:23], v[32:33], 0.5
	v_fma_f64 v[28:29], v[26:27], v[28:29], s[0:1]
	s_mov_b32 s0, 0x555502a1
	s_mov_b32 s1, 0x3fa55555
	v_fma_f64 v[38:39], -v[30:31], v[34:35], 1.0
	v_fma_f64 v[32:33], v[32:33], v[36:37], v[32:33]
	v_fma_f64 v[22:23], v[22:23], v[36:37], v[22:23]
	;; [unrolled: 1-line block ×3, first 2 shown]
	s_mov_b32 s0, 0x55555511
	s_mov_b32 s1, 0x3fc55555
	v_fma_f64 v[34:35], v[34:35], v[38:39], v[34:35]
	v_fma_f64 v[36:37], -v[32:33], v[32:33], v[12:13]
	v_fma_f64 v[28:29], v[26:27], v[28:29], s[0:1]
	s_mov_b32 s0, 11
	s_mov_b32 s1, 0x3fe00000
	v_fma_f64 v[38:39], -v[30:31], v[34:35], 1.0
	v_fma_f64 v[32:33], v[36:37], v[22:23], v[32:33]
	v_fma_f64 v[28:29], v[26:27], v[28:29], s[0:1]
	v_div_scale_f64 v[36:37], s0, v[18:19], v[20:21], v[18:19]
	v_cmp_class_f64_e64 s1, v[12:13], 0x260
	v_fma_f64 v[34:35], v[34:35], v[38:39], v[34:35]
	v_fma_f64 v[38:39], -v[32:33], v[32:33], v[12:13]
	v_fma_f64 v[28:29], v[26:27], v[28:29], 1.0
	v_mul_f64 v[40:41], v[36:37], v[34:35]
	v_fma_f64 v[22:23], v[38:39], v[22:23], v[32:33]
	v_fma_f64 v[24:25], v[26:27], v[28:29], 1.0
	v_cndmask_b32_e64 v28, 0, 0xffffff80, vcc_lo
	s_mov_b32 vcc_lo, s0
	v_cmp_ngt_f64_e64 s0, 0xc090cc00, v[16:17]
	v_fma_f64 v[26:27], -v[30:31], v[40:41], v[36:37]
	v_ldexp_f64 v[22:23], v[22:23], v28
	v_ldexp_f64 v[24:25], v[24:25], v4
	v_div_fmas_f64 v[26:27], v[26:27], v[34:35], v[40:41]
	v_cmp_nlt_f64_e32 vcc_lo, 0x40900000, v[16:17]
	v_cndmask_b32_e64 v13, v23, v13, s1
	v_cndmask_b32_e64 v12, v22, v12, s1
	v_add_f64 v[12:13], v[12:13], v[12:13]
	v_div_fixup_f64 v[16:17], v[26:27], v[20:21], v[18:19]
	v_cndmask_b32_e32 v4, 0x7ff00000, v25, vcc_lo
	s_and_b32 vcc_lo, s0, vcc_lo
	v_cndmask_b32_e32 v18, 0, v24, vcc_lo
	v_cndmask_b32_e64 v19, 0, v4, s0
	s_mov_b32 s0, 0x50429b6d
	s_mov_b32 s1, 0x3fe20dd7
	v_mul_f64 v[12:13], v[12:13], v[18:19]
	v_mul_f64 v[16:17], v[16:17], s[0:1]
	s_mov_b32 s0, 0xfd0a823a
	s_mov_b32 s1, 0x4020a402
	v_div_scale_f64 v[18:19], null, v[12:13], v[12:13], v[16:17]
	v_rcp_f64_e32 v[20:21], v[18:19]
	v_fma_f64 v[22:23], -v[18:19], v[20:21], 1.0
	v_fma_f64 v[20:21], v[20:21], v[22:23], v[20:21]
	v_fma_f64 v[22:23], -v[18:19], v[20:21], 1.0
	v_fma_f64 v[20:21], v[20:21], v[22:23], v[20:21]
	v_div_scale_f64 v[22:23], vcc_lo, v[16:17], v[12:13], v[16:17]
	v_mul_f64 v[24:25], v[22:23], v[20:21]
	v_fma_f64 v[18:19], -v[18:19], v[24:25], v[22:23]
	v_div_fmas_f64 v[18:19], v[18:19], v[20:21], v[24:25]
	v_cmp_nlt_f64_e32 vcc_lo, s[0:1], v[14:15]
	s_andn2_b32 s0, s3, exec_lo
	v_div_fixup_f64 v[12:13], v[18:19], v[12:13], v[16:17]
	s_and_b32 s1, vcc_lo, exec_lo
	s_or_b32 s0, s0, s1
.LBB7_121:
	s_or_b32 exec_lo, exec_lo, s10
	s_and_saveexec_b32 s1, s0
	s_cbranch_execz .LBB7_125
; %bb.122:
	v_mul_f64 v[16:17], v[14:15], v[14:15]
	v_mov_b32_e32 v22, 0
	v_mov_b32_e32 v24, 0
	;; [unrolled: 1-line block ×6, first 2 shown]
	s_mov_b32 s10, 0
	v_mul_f64 v[18:19], v[14:15], v[16:17]
	v_mov_b32_e32 v16, 0
	v_mov_b32_e32 v17, 0x3ff00000
.LBB7_123:                              ; =>This Inner Loop Header: Depth=1
	v_mul_f64 v[22:23], v[18:19], v[22:23]
	v_add_f64 v[24:25], v[24:25], 1.0
	v_mul_f64 v[14:15], v[18:19], v[14:15]
	v_div_scale_f64 v[26:27], null, v[24:25], v[24:25], v[22:23]
	v_div_scale_f64 v[32:33], vcc_lo, v[22:23], v[24:25], v[22:23]
	v_rcp_f64_e32 v[28:29], v[26:27]
	v_fma_f64 v[30:31], -v[26:27], v[28:29], 1.0
	v_fma_f64 v[28:29], v[28:29], v[30:31], v[28:29]
	v_fma_f64 v[30:31], -v[26:27], v[28:29], 1.0
	v_fma_f64 v[28:29], v[28:29], v[30:31], v[28:29]
	v_mul_f64 v[30:31], v[32:33], v[28:29]
	v_fma_f64 v[26:27], -v[26:27], v[30:31], v[32:33]
	v_div_fmas_f64 v[26:27], v[26:27], v[28:29], v[30:31]
	v_add_f64 v[28:29], v[24:25], 1.0
	v_div_fixup_f64 v[22:23], v[26:27], v[24:25], v[22:23]
	v_div_scale_f64 v[24:25], null, v[28:29], v[28:29], v[14:15]
	v_div_scale_f64 v[38:39], vcc_lo, v[14:15], v[28:29], v[14:15]
	v_div_scale_f64 v[26:27], null, v[28:29], v[28:29], v[22:23]
	v_rcp_f64_e32 v[30:31], v[24:25]
	v_rcp_f64_e32 v[32:33], v[26:27]
	v_fma_f64 v[34:35], -v[24:25], v[30:31], 1.0
	v_fma_f64 v[36:37], -v[26:27], v[32:33], 1.0
	v_fma_f64 v[30:31], v[30:31], v[34:35], v[30:31]
	v_fma_f64 v[32:33], v[32:33], v[36:37], v[32:33]
	v_fma_f64 v[34:35], -v[24:25], v[30:31], 1.0
	v_fma_f64 v[36:37], -v[26:27], v[32:33], 1.0
	v_fma_f64 v[30:31], v[30:31], v[34:35], v[30:31]
	v_div_scale_f64 v[34:35], s0, v[22:23], v[28:29], v[22:23]
	v_fma_f64 v[32:33], v[32:33], v[36:37], v[32:33]
	v_mul_f64 v[36:37], v[38:39], v[30:31]
	v_mul_f64 v[40:41], v[34:35], v[32:33]
	v_fma_f64 v[24:25], -v[24:25], v[36:37], v[38:39]
	v_fma_f64 v[26:27], -v[26:27], v[40:41], v[34:35]
	v_div_fmas_f64 v[30:31], v[24:25], v[30:31], v[36:37]
	s_mov_b32 vcc_lo, s0
	v_div_fmas_f64 v[24:25], v[26:27], v[32:33], v[40:41]
	v_div_fixup_f64 v[14:15], v[30:31], v[28:29], v[14:15]
	v_div_fixup_f64 v[22:23], v[24:25], v[28:29], v[22:23]
	v_add_f64 v[24:25], v[28:29], 1.0
	v_add_f64 v[16:17], v[16:17], v[22:23]
	v_div_scale_f64 v[26:27], null, v[24:25], v[24:25], v[14:15]
	v_div_scale_f64 v[38:39], vcc_lo, v[14:15], v[24:25], v[14:15]
	v_div_scale_f64 v[28:29], null, v[16:17], v[16:17], v[22:23]
	v_rcp_f64_e32 v[30:31], v[26:27]
	v_rcp_f64_e32 v[32:33], v[28:29]
	v_fma_f64 v[34:35], -v[26:27], v[30:31], 1.0
	v_fma_f64 v[36:37], -v[28:29], v[32:33], 1.0
	v_fma_f64 v[30:31], v[30:31], v[34:35], v[30:31]
	v_fma_f64 v[32:33], v[32:33], v[36:37], v[32:33]
	v_fma_f64 v[34:35], -v[26:27], v[30:31], 1.0
	v_fma_f64 v[36:37], -v[28:29], v[32:33], 1.0
	v_fma_f64 v[30:31], v[30:31], v[34:35], v[30:31]
	v_div_scale_f64 v[34:35], s0, v[22:23], v[16:17], v[22:23]
	v_fma_f64 v[32:33], v[32:33], v[36:37], v[32:33]
	v_mul_f64 v[36:37], v[38:39], v[30:31]
	v_mul_f64 v[40:41], v[34:35], v[32:33]
	v_fma_f64 v[26:27], -v[26:27], v[36:37], v[38:39]
	v_fma_f64 v[28:29], -v[28:29], v[40:41], v[34:35]
	v_div_fmas_f64 v[26:27], v[26:27], v[30:31], v[36:37]
	s_mov_b32 vcc_lo, s0
	v_div_fmas_f64 v[28:29], v[28:29], v[32:33], v[40:41]
	v_div_fixup_f64 v[14:15], v[26:27], v[24:25], v[14:15]
	v_div_fixup_f64 v[28:29], v[28:29], v[16:17], v[22:23]
	v_add_f64 v[20:21], v[20:21], v[14:15]
	v_cmp_nlt_f64_e64 s0, 0x3cb00000, |v[28:29]|
	s_or_b32 s10, s0, s10
	s_andn2_b32 exec_lo, exec_lo, s10
	s_cbranch_execnz .LBB7_123
; %bb.124:
	s_or_b32 exec_lo, exec_lo, s10
	s_mov_b32 s10, 0x42b70f8b
	s_mov_b32 s11, 0xbfd0907f
	v_mul_f64 v[14:15], v[20:21], s[10:11]
	s_mov_b32 s10, 0x962715b8
	s_mov_b32 s11, 0x3fd6b8c7
	v_fma_f64 v[14:15], v[16:17], s[10:11], v[14:15]
	v_cndmask_b32_e64 v13, v13, v15, s3
	v_cndmask_b32_e64 v12, v12, v14, s3
.LBB7_125:
	s_or_b32 exec_lo, exec_lo, s1
                                        ; implicit-def: $vgpr14_vgpr15
.LBB7_126:
	s_andn2_saveexec_b32 s10, s2
	s_cbranch_execz .LBB7_136
; %bb.127:
	v_cmp_lt_f64_e32 vcc_lo, 0x90000000, v[14:15]
	s_mov_b32 s1, 0x3fe921fb
	s_mov_b32 s0, 0x54442d18
	v_cndmask_b32_e64 v4, 0, 0x100, vcc_lo
	v_ldexp_f64 v[12:13], -v[14:15], v4
	v_cndmask_b32_e64 v4, 0, 0xffffff80, vcc_lo
	v_mul_f64 v[14:15], v[14:15], -2.0
	v_rsq_f64_e32 v[16:17], v[12:13]
	v_cmp_class_f64_e64 vcc_lo, v[12:13], 0x260
	v_mul_f64 v[18:19], v[12:13], v[16:17]
	v_mul_f64 v[16:17], v[16:17], 0.5
	v_fma_f64 v[20:21], -v[16:17], v[18:19], 0.5
	v_fma_f64 v[18:19], v[18:19], v[20:21], v[18:19]
	v_fma_f64 v[16:17], v[16:17], v[20:21], v[16:17]
	v_fma_f64 v[20:21], -v[18:19], v[18:19], v[12:13]
	v_fma_f64 v[18:19], v[20:21], v[16:17], v[18:19]
	v_fma_f64 v[20:21], -v[18:19], v[18:19], v[12:13]
	v_fma_f64 v[16:17], v[20:21], v[16:17], v[18:19]
	v_ldexp_f64 v[16:17], v[16:17], v4
                                        ; implicit-def: $vgpr4
	v_cndmask_b32_e32 v23, v17, v13, vcc_lo
	v_cndmask_b32_e32 v22, v16, v12, vcc_lo
	v_mul_f64 v[12:13], v[14:15], v[22:23]
	v_div_scale_f64 v[14:15], null, 0x40080000, 0x40080000, v[12:13]
	v_rcp_f64_e32 v[16:17], v[14:15]
	v_fma_f64 v[18:19], -v[14:15], v[16:17], 1.0
	v_fma_f64 v[16:17], v[16:17], v[18:19], v[16:17]
	v_fma_f64 v[18:19], -v[14:15], v[16:17], 1.0
	v_fma_f64 v[16:17], v[16:17], v[18:19], v[16:17]
	v_div_scale_f64 v[18:19], vcc_lo, v[12:13], 0x40080000, v[12:13]
	v_mul_f64 v[20:21], v[18:19], v[16:17]
	v_fma_f64 v[14:15], -v[14:15], v[20:21], v[18:19]
	v_div_fmas_f64 v[14:15], v[14:15], v[16:17], v[20:21]
                                        ; implicit-def: $vgpr16_vgpr17
	v_div_fixup_f64 v[24:25], v[14:15], 0x40080000, v[12:13]
                                        ; implicit-def: $vgpr14_vgpr15
	v_add_f64 v[12:13], v[24:25], s[0:1]
	v_cmp_ngt_f64_e64 s2, 0x41d00000, |v[12:13]|
	s_and_saveexec_b32 s1, s2
	s_xor_b32 s3, exec_lo, s1
	s_cbranch_execz .LBB7_129
; %bb.128:
	v_ldexp_f64 v[14:15], |v[12:13]|, 0xffffff80
	v_cmp_le_f64_e64 vcc_lo, 0x7b000000, |v[12:13]|
	v_trig_preop_f64 v[16:17], |v[12:13]|, 0
	v_and_b32_e32 v4, 0x7fffffff, v13
	v_trig_preop_f64 v[18:19], |v[12:13]|, 1
	v_trig_preop_f64 v[32:33], |v[12:13]|, 2
	v_mov_b32_e32 v40, 0
	s_mov_b32 s1, 0x3ff921fb
	s_mov_b32 s12, 0x33145c07
	;; [unrolled: 1-line block ×3, first 2 shown]
	v_cndmask_b32_e32 v15, v4, v15, vcc_lo
	v_cndmask_b32_e32 v14, v12, v14, vcc_lo
	v_mul_f64 v[20:21], v[16:17], v[14:15]
	v_mul_f64 v[26:27], v[18:19], v[14:15]
	;; [unrolled: 1-line block ×3, first 2 shown]
	v_fma_f64 v[16:17], v[16:17], v[14:15], -v[20:21]
	v_fma_f64 v[18:19], v[18:19], v[14:15], -v[26:27]
	;; [unrolled: 1-line block ×3, first 2 shown]
	v_add_f64 v[28:29], v[26:27], v[16:17]
	v_add_f64 v[30:31], v[28:29], -v[26:27]
	v_add_f64 v[36:37], v[20:21], v[28:29]
	v_add_f64 v[34:35], v[28:29], -v[30:31]
	v_add_f64 v[16:17], v[16:17], -v[30:31]
	v_ldexp_f64 v[30:31], v[36:37], -2
	v_add_f64 v[20:21], v[36:37], -v[20:21]
	v_add_f64 v[26:27], v[26:27], -v[34:35]
	v_add_f64 v[34:35], v[38:39], v[18:19]
	v_cmp_neq_f64_e64 vcc_lo, 0x7ff00000, |v[30:31]|
	v_add_f64 v[20:21], v[28:29], -v[20:21]
	v_add_f64 v[16:17], v[16:17], v[26:27]
	v_fract_f64_e32 v[26:27], v[30:31]
	v_add_f64 v[28:29], v[34:35], v[16:17]
	v_ldexp_f64 v[26:27], v[26:27], 2
	v_add_f64 v[30:31], v[20:21], v[28:29]
	v_cndmask_b32_e32 v27, 0, v27, vcc_lo
	v_cndmask_b32_e32 v26, 0, v26, vcc_lo
	v_add_f64 v[36:37], v[30:31], v[26:27]
	v_add_f64 v[20:21], v[30:31], -v[20:21]
	v_cmp_gt_f64_e32 vcc_lo, 0, v[36:37]
	v_add_f64 v[36:37], v[34:35], -v[38:39]
	v_add_f64 v[20:21], v[28:29], -v[20:21]
	v_cndmask_b32_e64 v41, 0, 0x40100000, vcc_lo
	v_add_f64 v[45:46], v[34:35], -v[36:37]
	v_add_f64 v[18:19], v[18:19], -v[36:37]
	v_add_f64 v[26:27], v[26:27], v[40:41]
	v_add_f64 v[41:42], v[28:29], -v[34:35]
	v_add_f64 v[36:37], v[38:39], -v[45:46]
	v_add_f64 v[43:44], v[30:31], v[26:27]
	;; [unrolled: 3-line block ×3, first 2 shown]
	v_cvt_i32_f64_e32 v4, v[43:44]
	v_add_f64 v[34:35], v[34:35], -v[47:48]
	v_cvt_f64_i32_e32 v[41:42], v4
	v_add_f64 v[16:17], v[16:17], v[34:35]
	v_add_f64 v[26:27], v[26:27], -v[41:42]
	v_add_f64 v[16:17], v[18:19], v[16:17]
	v_add_f64 v[18:19], v[30:31], v[26:27]
	;; [unrolled: 1-line block ×3, first 2 shown]
	v_add_f64 v[16:17], v[18:19], -v[26:27]
	v_cmp_le_f64_e32 vcc_lo, 0.5, v[18:19]
	v_add_f64 v[14:15], v[20:21], v[14:15]
	v_add_f64 v[16:17], v[30:31], -v[16:17]
	v_cndmask_b32_e64 v41, 0, 0x3ff00000, vcc_lo
	v_add_co_ci_u32_e64 v4, null, 0, v4, vcc_lo
	v_add_f64 v[14:15], v[14:15], v[16:17]
	v_add_f64 v[16:17], v[18:19], -v[40:41]
	v_add_f64 v[18:19], v[16:17], v[14:15]
	v_mul_f64 v[20:21], v[18:19], s[0:1]
	v_add_f64 v[16:17], v[18:19], -v[16:17]
	v_fma_f64 v[26:27], v[18:19], s[0:1], -v[20:21]
	v_add_f64 v[14:15], v[14:15], -v[16:17]
	v_fma_f64 v[16:17], v[18:19], s[12:13], v[26:27]
	v_fma_f64 v[16:17], v[14:15], s[0:1], v[16:17]
	v_add_f64 v[14:15], v[20:21], v[16:17]
	v_add_f64 v[18:19], v[14:15], -v[20:21]
	v_add_f64 v[16:17], v[16:17], -v[18:19]
	s_andn2_saveexec_b32 s0, s3
	s_cbranch_execz .LBB7_131
	s_branch .LBB7_130
.LBB7_129:
	s_andn2_saveexec_b32 s0, s3
	s_cbranch_execz .LBB7_131
.LBB7_130:
	s_mov_b32 s12, 0x6dc9c883
	s_mov_b32 s13, 0x3fe45f30
	;; [unrolled: 1-line block ×3, first 2 shown]
	v_mul_f64 v[14:15], |v[12:13]|, s[12:13]
	s_mov_b32 s12, 0x54442d18
	s_mov_b32 s13, 0xbff921fb
	;; [unrolled: 1-line block ×3, first 2 shown]
	v_rndne_f64_e32 v[18:19], v[14:15]
	v_fma_f64 v[14:15], v[18:19], s[12:13], |v[12:13]|
	v_mul_f64 v[16:17], v[18:19], s[14:15]
	s_mov_b32 s12, 0x252049c0
	s_mov_b32 s13, 0xb97b839a
	v_cvt_i32_f64_e32 v4, v[18:19]
	v_fma_f64 v[26:27], v[18:19], s[14:15], v[14:15]
	v_add_f64 v[20:21], v[14:15], v[16:17]
	s_mov_b32 s15, 0x3c91a626
	v_add_f64 v[14:15], v[14:15], -v[20:21]
	v_add_f64 v[20:21], v[20:21], -v[26:27]
	v_add_f64 v[14:15], v[14:15], v[16:17]
	v_fma_f64 v[16:17], v[18:19], s[14:15], v[16:17]
	v_add_f64 v[14:15], v[20:21], v[14:15]
	v_add_f64 v[14:15], v[14:15], -v[16:17]
	v_fma_f64 v[16:17], v[18:19], s[12:13], v[14:15]
	v_add_f64 v[14:15], v[26:27], v[16:17]
	v_add_f64 v[20:21], v[14:15], -v[26:27]
	v_add_f64 v[16:17], v[16:17], -v[20:21]
.LBB7_131:
	s_or_b32 exec_lo, exec_lo, s0
                                        ; implicit-def: $vgpr28
                                        ; implicit-def: $vgpr18_vgpr19
                                        ; implicit-def: $vgpr20_vgpr21
	s_and_saveexec_b32 s0, s2
	s_xor_b32 s0, exec_lo, s0
	s_cbranch_execz .LBB7_133
; %bb.132:
	v_ldexp_f64 v[18:19], |v[12:13]|, 0xffffff80
	v_cmp_le_f64_e64 vcc_lo, 0x7b000000, |v[12:13]|
	v_trig_preop_f64 v[20:21], |v[12:13]|, 0
	v_and_b32_e32 v26, 0x7fffffff, v13
	v_trig_preop_f64 v[36:37], |v[12:13]|, 2
	v_mov_b32_e32 v44, 0
	s_mov_b32 s2, 0x54442d18
	s_mov_b32 s3, 0x3ff921fb
	;; [unrolled: 1-line block ×4, first 2 shown]
	v_cndmask_b32_e32 v19, v26, v19, vcc_lo
	v_cndmask_b32_e32 v18, v12, v18, vcc_lo
	v_trig_preop_f64 v[26:27], |v[12:13]|, 1
	v_mul_f64 v[28:29], v[20:21], v[18:19]
	v_mul_f64 v[42:43], v[36:37], v[18:19]
	v_mul_f64 v[30:31], v[26:27], v[18:19]
	v_fma_f64 v[20:21], v[20:21], v[18:19], -v[28:29]
	v_fma_f64 v[26:27], v[26:27], v[18:19], -v[30:31]
	;; [unrolled: 1-line block ×3, first 2 shown]
	v_add_f64 v[32:33], v[30:31], v[20:21]
	v_add_f64 v[34:35], v[32:33], -v[30:31]
	v_add_f64 v[40:41], v[28:29], v[32:33]
	v_add_f64 v[38:39], v[32:33], -v[34:35]
	v_add_f64 v[20:21], v[20:21], -v[34:35]
	v_ldexp_f64 v[34:35], v[40:41], -2
	v_add_f64 v[28:29], v[40:41], -v[28:29]
	v_add_f64 v[30:31], v[30:31], -v[38:39]
	v_add_f64 v[38:39], v[42:43], v[26:27]
	v_cmp_neq_f64_e64 vcc_lo, 0x7ff00000, |v[34:35]|
	v_add_f64 v[28:29], v[32:33], -v[28:29]
	v_add_f64 v[20:21], v[20:21], v[30:31]
	v_fract_f64_e32 v[30:31], v[34:35]
	v_add_f64 v[32:33], v[38:39], v[20:21]
	v_ldexp_f64 v[30:31], v[30:31], 2
	v_add_f64 v[34:35], v[28:29], v[32:33]
	v_cndmask_b32_e32 v31, 0, v31, vcc_lo
	v_cndmask_b32_e32 v30, 0, v30, vcc_lo
	v_add_f64 v[40:41], v[34:35], v[30:31]
	v_add_f64 v[28:29], v[34:35], -v[28:29]
	v_cmp_gt_f64_e32 vcc_lo, 0, v[40:41]
	v_add_f64 v[40:41], v[38:39], -v[42:43]
	v_add_f64 v[28:29], v[32:33], -v[28:29]
	v_cndmask_b32_e64 v45, 0, 0x40100000, vcc_lo
	v_add_f64 v[49:50], v[38:39], -v[40:41]
	v_add_f64 v[26:27], v[26:27], -v[40:41]
	v_add_f64 v[30:31], v[30:31], v[44:45]
	v_add_f64 v[45:46], v[32:33], -v[38:39]
	v_add_f64 v[40:41], v[42:43], -v[49:50]
	v_add_f64 v[47:48], v[34:35], v[30:31]
	v_add_f64 v[51:52], v[32:33], -v[45:46]
	v_add_f64 v[20:21], v[20:21], -v[45:46]
	v_add_f64 v[26:27], v[26:27], v[40:41]
	v_cvt_i32_f64_e32 v47, v[47:48]
	v_add_f64 v[38:39], v[38:39], -v[51:52]
	v_cvt_f64_i32_e32 v[45:46], v47
	v_add_f64 v[20:21], v[20:21], v[38:39]
	v_add_f64 v[30:31], v[30:31], -v[45:46]
	v_add_f64 v[20:21], v[26:27], v[20:21]
	v_add_f64 v[26:27], v[34:35], v[30:31]
	;; [unrolled: 1-line block ×3, first 2 shown]
	v_add_f64 v[20:21], v[26:27], -v[30:31]
	v_cmp_le_f64_e32 vcc_lo, 0.5, v[26:27]
	v_add_f64 v[18:19], v[28:29], v[18:19]
	v_add_f64 v[20:21], v[34:35], -v[20:21]
	v_cndmask_b32_e64 v45, 0, 0x3ff00000, vcc_lo
	v_add_co_ci_u32_e64 v28, null, 0, v47, vcc_lo
	v_add_f64 v[18:19], v[18:19], v[20:21]
	v_add_f64 v[20:21], v[26:27], -v[44:45]
	v_add_f64 v[26:27], v[20:21], v[18:19]
	v_mul_f64 v[29:30], v[26:27], s[2:3]
	v_add_f64 v[20:21], v[26:27], -v[20:21]
	v_fma_f64 v[31:32], v[26:27], s[2:3], -v[29:30]
	v_add_f64 v[18:19], v[18:19], -v[20:21]
	v_fma_f64 v[20:21], v[26:27], s[12:13], v[31:32]
	v_fma_f64 v[20:21], v[18:19], s[2:3], v[20:21]
	v_add_f64 v[18:19], v[29:30], v[20:21]
	v_add_f64 v[26:27], v[18:19], -v[29:30]
	v_add_f64 v[20:21], v[20:21], -v[26:27]
	s_andn2_saveexec_b32 s0, s0
	s_cbranch_execnz .LBB7_134
	s_branch .LBB7_135
.LBB7_133:
	s_andn2_saveexec_b32 s0, s0
	s_cbranch_execz .LBB7_135
.LBB7_134:
	s_mov_b32 s2, 0x6dc9c883
	s_mov_b32 s3, 0x3fe45f30
	;; [unrolled: 1-line block ×3, first 2 shown]
	v_mul_f64 v[18:19], |v[12:13]|, s[2:3]
	s_mov_b32 s2, 0x54442d18
	s_mov_b32 s3, 0xbff921fb
	;; [unrolled: 1-line block ×3, first 2 shown]
	v_rndne_f64_e32 v[26:27], v[18:19]
	v_fma_f64 v[18:19], v[26:27], s[2:3], |v[12:13]|
	v_mul_f64 v[20:21], v[26:27], s[12:13]
	s_mov_b32 s2, 0x252049c0
	s_mov_b32 s3, 0xb97b839a
	v_fma_f64 v[30:31], v[26:27], s[12:13], v[18:19]
	v_add_f64 v[28:29], v[18:19], v[20:21]
	s_mov_b32 s13, 0x3c91a626
	v_add_f64 v[18:19], v[18:19], -v[28:29]
	v_add_f64 v[28:29], v[28:29], -v[30:31]
	v_add_f64 v[18:19], v[18:19], v[20:21]
	v_fma_f64 v[20:21], v[26:27], s[12:13], v[20:21]
	v_add_f64 v[18:19], v[28:29], v[18:19]
	v_add_f64 v[18:19], v[18:19], -v[20:21]
	v_fma_f64 v[20:21], v[26:27], s[2:3], v[18:19]
	v_add_f64 v[18:19], v[30:31], v[20:21]
	v_add_f64 v[28:29], v[18:19], -v[30:31]
	v_add_f64 v[20:21], v[20:21], -v[28:29]
	v_cvt_i32_f64_e32 v28, v[26:27]
.LBB7_135:
	s_or_b32 exec_lo, exec_lo, s0
	v_div_scale_f64 v[26:27], null, v[24:25], v[24:25], 1.0
	v_div_scale_f64 v[33:34], vcc_lo, 1.0, v[24:25], 1.0
	s_mov_b32 s0, 0xddcfbbde
	s_mov_b32 s1, 0x3f943525
	;; [unrolled: 1-line block ×8, first 2 shown]
	v_mul_f64 v[49:50], v[14:15], v[14:15]
	s_mov_b32 s16, 0x9037ab78
	s_mov_b32 s18, 0x46cc5e42
	;; [unrolled: 1-line block ×6, first 2 shown]
	v_rcp_f64_e32 v[29:30], v[26:27]
	v_fma_f64 v[31:32], -v[26:27], v[29:30], 1.0
	v_fma_f64 v[29:30], v[29:30], v[31:32], v[29:30]
	v_fma_f64 v[31:32], -v[26:27], v[29:30], 1.0
	v_fma_f64 v[29:30], v[29:30], v[31:32], v[29:30]
	v_mul_f64 v[31:32], v[33:34], v[29:30]
	v_fma_f64 v[26:27], -v[26:27], v[31:32], v[33:34]
	v_div_fmas_f64 v[26:27], v[26:27], v[29:30], v[31:32]
	v_cmp_gt_f64_e32 vcc_lo, 0x10000000, v[22:23]
	v_div_fixup_f64 v[24:25], v[26:27], v[24:25], 1.0
	v_cndmask_b32_e64 v31, 0, 0x100, vcc_lo
	v_ldexp_f64 v[22:23], v[22:23], v31
	v_mul_f64 v[26:27], v[24:25], v[24:25]
	v_rsq_f64_e32 v[35:36], v[22:23]
	v_fma_f64 v[29:30], v[26:27], 0, s[0:1]
	s_mov_b32 s0, 0x6437b7
	s_mov_b32 s1, 0x3fd907d5
	v_fma_f64 v[33:34], v[26:27], 0, s[12:13]
	s_mov_b32 s12, 0xa0ef1acb
	s_mov_b32 s13, 0x3fee0dac
	v_mul_f64 v[39:40], v[22:23], v[35:36]
	v_mul_f64 v[35:36], v[35:36], 0.5
	v_fma_f64 v[29:30], v[26:27], v[29:30], s[0:1]
	s_mov_b32 s0, 0xd50ae6fb
	s_mov_b32 s1, 0xbfc0db6c
	v_fma_f64 v[33:34], v[26:27], v[33:34], s[14:15]
	v_fma_f64 v[31:32], v[26:27], 0, s[0:1]
	s_mov_b32 s0, 0x98566852
	s_mov_b32 s1, 0xbfe40bee
	;; [unrolled: 1-line block ×4, first 2 shown]
	v_fma_f64 v[41:42], -v[35:36], v[39:40], 0.5
	v_fma_f64 v[29:30], v[26:27], v[29:30], s[2:3]
	s_mov_b32 s2, 0x2572edf2
	s_mov_b32 s3, 0x402ab64b
	v_fma_f64 v[33:34], v[26:27], v[33:34], s[14:15]
	v_fma_f64 v[37:38], v[26:27], 0, s[2:3]
	;; [unrolled: 1-line block ×3, first 2 shown]
	s_mov_b32 s0, 0xc2f79f7d
	s_mov_b32 s2, 0x44787b1a
	;; [unrolled: 1-line block ×6, first 2 shown]
	v_fma_f64 v[39:40], v[39:40], v[41:42], v[39:40]
	v_fma_f64 v[35:36], v[35:36], v[41:42], v[35:36]
	;; [unrolled: 1-line block ×3, first 2 shown]
	s_mov_b32 s12, 0xcea8fe1d
	s_mov_b32 s13, 0x3fd67e69
	v_fma_f64 v[33:34], v[26:27], v[33:34], s[14:15]
	v_fma_f64 v[37:38], v[26:27], v[37:38], s[2:3]
	;; [unrolled: 1-line block ×3, first 2 shown]
	s_mov_b32 s0, 0x4bb3f40b
	s_mov_b32 s2, 0xa3b73410
	;; [unrolled: 1-line block ×6, first 2 shown]
	v_fma_f64 v[41:42], -v[39:40], v[39:40], v[22:23]
	v_fma_f64 v[29:30], v[26:27], v[29:30], s[12:13]
	s_mov_b32 s12, 0x21e90978
	s_mov_b32 s13, 0x3fb03a41
	v_fma_f64 v[33:34], v[26:27], v[33:34], s[14:15]
	v_fma_f64 v[37:38], v[26:27], v[37:38], s[2:3]
	;; [unrolled: 1-line block ×3, first 2 shown]
	s_mov_b32 s0, 0xf47dbd8a
	s_mov_b32 s2, 0x2ac99873
	;; [unrolled: 1-line block ×6, first 2 shown]
	v_fma_f64 v[39:40], v[41:42], v[35:36], v[39:40]
	v_fma_f64 v[29:30], v[26:27], v[29:30], s[12:13]
	s_mov_b32 s12, 0xf12f5043
	s_mov_b32 s13, 0x3f77fe99
	v_fma_f64 v[33:34], v[26:27], v[33:34], s[14:15]
	v_fma_f64 v[37:38], v[26:27], v[37:38], s[2:3]
	;; [unrolled: 1-line block ×3, first 2 shown]
	s_mov_b32 s0, 0xc8d9e090
	s_mov_b32 s2, 0x39de9319
	s_mov_b32 s1, 0xbf70a401
	s_mov_b32 s3, 0x3ff79acb
	s_mov_b32 s14, 0x6be393bb
	s_mov_b32 s15, 0x3f70e704
	v_fma_f64 v[41:42], -v[39:40], v[39:40], v[22:23]
	v_fma_f64 v[29:30], v[26:27], v[29:30], s[12:13]
	s_mov_b32 s12, 0x600e17a2
	s_mov_b32 s13, 0x3f328976
	v_fma_f64 v[33:34], v[26:27], v[33:34], s[14:15]
	v_fma_f64 v[37:38], v[26:27], v[37:38], s[2:3]
	;; [unrolled: 1-line block ×3, first 2 shown]
	s_mov_b32 s0, 0xaf4b009c
	s_mov_b32 s2, 0xb4045a2b
	;; [unrolled: 1-line block ×6, first 2 shown]
	v_fma_f64 v[35:36], v[41:42], v[35:36], v[39:40]
	v_cndmask_b32_e64 v39, 0, 0xffffff80, vcc_lo
	v_cmp_class_f64_e64 vcc_lo, v[22:23], 0x260
	v_fma_f64 v[29:30], v[26:27], v[29:30], s[12:13]
	s_mov_b32 s12, 0x69f8574e
	s_mov_b32 s13, 0x3edd4f3d
	v_fma_f64 v[33:34], v[26:27], v[33:34], s[14:15]
	v_fma_f64 v[37:38], v[26:27], v[37:38], s[2:3]
	;; [unrolled: 1-line block ×3, first 2 shown]
	s_mov_b32 s0, 0x1d42366d
	s_mov_b32 s2, 0xe03af617
	;; [unrolled: 1-line block ×6, first 2 shown]
	v_ldexp_f64 v[35:36], v[35:36], v39
	v_fma_f64 v[29:30], v[26:27], v[29:30], s[12:13]
	s_mov_b32 s12, 0xbbad11c8
	s_mov_b32 s13, 0x3e75ca92
	v_fma_f64 v[33:34], v[26:27], v[33:34], s[14:15]
	v_fma_f64 v[37:38], v[26:27], v[37:38], s[2:3]
	;; [unrolled: 1-line block ×3, first 2 shown]
	s_mov_b32 s0, 0xaf76e73b
	s_mov_b32 s2, 0xf68ea2d2
	;; [unrolled: 1-line block ×6, first 2 shown]
	v_cndmask_b32_e32 v23, v36, v23, vcc_lo
	v_cndmask_b32_e32 v22, v35, v22, vcc_lo
	v_fma_f64 v[29:30], v[26:27], v[29:30], s[12:13]
	s_mov_b32 s12, 0x7d97ee7a
	s_mov_b32 s13, 0x3df778a4
	v_fma_f64 v[37:38], v[26:27], v[37:38], s[0:1]
	v_fma_f64 v[31:32], v[26:27], v[31:32], s[2:3]
	s_mov_b32 s0, 0xb99518a7
	s_mov_b32 s1, 0x3e9e52b9
	;; [unrolled: 1-line block ×4, first 2 shown]
	v_fma_f64 v[29:30], v[26:27], v[29:30], s[12:13]
	s_mov_b32 s12, 0xf9a43bb8
	s_mov_b32 s13, 0x3de5e0b2
	v_fma_f64 v[37:38], v[26:27], v[37:38], s[0:1]
	v_mul_f64 v[31:32], v[26:27], v[31:32]
	v_fma_f64 v[26:27], v[26:27], v[33:34], s[2:3]
	s_mov_b32 s2, 0x50429b6d
	s_mov_b32 s3, 0x3fe20dd7
	;; [unrolled: 1-line block ×3, first 2 shown]
	v_div_scale_f64 v[35:36], null, v[22:23], v[22:23], s[2:3]
	s_mov_b32 s1, 0xbe5ae600
	v_fma_f64 v[61:62], v[49:50], s[12:13], s[0:1]
	v_mul_f64 v[24:25], v[24:25], v[29:30]
	v_mul_f64 v[29:30], v[18:19], v[18:19]
	v_div_scale_f64 v[33:34], null, v[37:38], v[37:38], v[31:32]
	v_rcp_f64_e32 v[45:46], v[35:36]
	v_div_scale_f64 v[39:40], null, v[26:27], v[26:27], v[24:25]
	v_fma_f64 v[41:42], v[29:30], s[12:13], s[0:1]
	v_mul_f64 v[51:52], v[29:30], 0.5
	v_fma_f64 v[53:54], v[29:30], s[18:19], s[16:17]
	v_rcp_f64_e32 v[43:44], v[33:34]
	s_mov_b32 s0, 0xa17f65f6
	s_mov_b32 s1, 0xbe927e4f
	;; [unrolled: 1-line block ×4, first 2 shown]
	v_mul_f64 v[65:66], v[18:19], -v[29:30]
	v_fma_f64 v[57:58], -v[35:36], v[45:46], 1.0
	v_rcp_f64_e32 v[47:48], v[39:40]
	v_fma_f64 v[41:42], v[29:30], v[41:42], s[14:15]
	v_add_f64 v[63:64], -v[51:52], 1.0
	v_fma_f64 v[53:54], v[29:30], v[53:54], s[0:1]
	v_fma_f64 v[55:56], -v[33:34], v[43:44], 1.0
	v_fma_f64 v[45:46], v[45:46], v[57:58], v[45:46]
	v_mul_f64 v[57:58], v[49:50], 0.5
	v_fma_f64 v[41:42], v[29:30], v[41:42], s[20:21]
	v_fma_f64 v[59:60], -v[39:40], v[47:48], 1.0
	v_add_f64 v[67:68], -v[63:64], 1.0
	v_fma_f64 v[43:44], v[43:44], v[55:56], v[43:44]
	v_fma_f64 v[55:56], v[49:50], s[18:19], s[16:17]
	s_mov_b32 s16, 0x16c16967
	s_mov_b32 s17, 0xbf56c16c
	v_fma_f64 v[71:72], -v[35:36], v[45:46], 1.0
	v_add_f64 v[75:76], -v[57:58], 1.0
	v_fma_f64 v[41:42], v[29:30], v[41:42], s[12:13]
	v_fma_f64 v[47:48], v[47:48], v[59:60], v[47:48]
	;; [unrolled: 1-line block ×3, first 2 shown]
	v_mul_f64 v[61:62], v[20:21], 0.5
	s_mov_b32 s14, 0x19f4ec90
	s_mov_b32 s15, 0x3efa01a0
	v_fma_f64 v[69:70], -v[33:34], v[43:44], 1.0
	v_fma_f64 v[53:54], v[29:30], v[53:54], s[14:15]
	v_fma_f64 v[55:56], v[49:50], v[55:56], s[0:1]
	v_add_f64 v[51:52], v[67:68], -v[51:52]
	v_div_scale_f64 v[67:68], s0, s[2:3], v[22:23], s[2:3]
	v_fma_f64 v[45:46], v[45:46], v[71:72], v[45:46]
	v_mul_f64 v[71:72], v[16:17], 0.5
	v_add_f64 v[77:78], -v[75:76], 1.0
	v_fma_f64 v[73:74], -v[39:40], v[47:48], 1.0
	v_fma_f64 v[59:60], v[49:50], v[59:60], s[20:21]
	v_fma_f64 v[41:42], v[65:66], v[41:42], v[61:62]
	v_div_scale_f64 v[61:62], vcc_lo, v[31:32], v[37:38], v[31:32]
	v_fma_f64 v[43:44], v[43:44], v[69:70], v[43:44]
	v_fma_f64 v[53:54], v[29:30], v[53:54], s[16:17]
	v_div_scale_f64 v[69:70], s1, v[24:25], v[26:27], v[24:25]
	v_fma_f64 v[55:56], v[49:50], v[55:56], s[14:15]
	s_mov_b32 s15, 0xbfc55555
	v_mul_f64 v[79:80], v[67:68], v[45:46]
	v_add_f64 v[57:58], v[77:78], -v[57:58]
	v_fma_f64 v[47:48], v[47:48], v[73:74], v[47:48]
	v_mul_f64 v[73:74], v[14:15], -v[49:50]
	v_fma_f64 v[59:60], v[49:50], v[59:60], s[12:13]
	v_fma_f64 v[41:42], v[29:30], v[41:42], -v[20:21]
	s_mov_b32 s12, 0x55555555
	s_mov_b32 s13, 0x3fa55555
	v_fma_f64 v[20:21], v[18:19], -v[20:21], v[51:52]
	v_fma_f64 v[51:52], v[29:30], v[53:54], s[12:13]
	v_mul_f64 v[29:30], v[29:30], v[29:30]
	v_mul_f64 v[53:54], v[61:62], v[43:44]
	v_fma_f64 v[55:56], v[49:50], v[55:56], s[16:17]
	s_mov_b32 s14, s12
	v_mul_f64 v[81:82], v[69:70], v[47:48]
	v_fma_f64 v[59:60], v[73:74], v[59:60], v[71:72]
	v_fma_f64 v[41:42], v[65:66], s[14:15], v[41:42]
	;; [unrolled: 1-line block ×3, first 2 shown]
	v_fma_f64 v[29:30], -v[33:34], v[53:54], v[61:62]
	v_fma_f64 v[33:34], -v[35:36], v[79:80], v[67:68]
	v_fma_f64 v[51:52], v[49:50], v[55:56], s[12:13]
	v_fma_f64 v[55:56], v[14:15], -v[16:17], v[57:58]
	v_fma_f64 v[35:36], -v[39:40], v[81:82], v[69:70]
	v_mul_f64 v[39:40], v[49:50], v[49:50]
	v_fma_f64 v[16:17], v[49:50], v[59:60], -v[16:17]
	v_add_f64 v[18:19], v[18:19], -v[41:42]
	v_and_b32_e32 v41, 1, v28
	v_add_f64 v[20:21], v[63:64], v[20:21]
	v_div_fmas_f64 v[29:30], v[29:30], v[43:44], v[53:54]
	s_mov_b32 vcc_lo, s0
	v_div_fmas_f64 v[33:34], v[33:34], v[45:46], v[79:80]
	s_mov_b32 vcc_lo, s1
	v_div_fmas_f64 v[35:36], v[35:36], v[47:48], v[81:82]
	v_fma_f64 v[39:40], v[39:40], v[51:52], v[55:56]
	v_fma_f64 v[16:17], v[73:74], s[14:15], v[16:17]
	v_xor_b32_e32 v19, 0x80000000, v19
	v_cmp_eq_u32_e32 vcc_lo, 0, v41
	v_cndmask_b32_e32 v41, v19, v21, vcc_lo
	v_cndmask_b32_e32 v42, v18, v20, vcc_lo
	v_cmp_class_f64_e64 vcc_lo, v[12:13], 0x1f8
	v_div_fixup_f64 v[18:19], v[29:30], v[37:38], v[31:32]
	v_lshlrev_b32_e32 v12, 30, v28
	v_and_b32_e32 v12, 0x80000000, v12
	v_div_fixup_f64 v[20:21], v[35:36], v[26:27], v[24:25]
	v_add_f64 v[24:25], v[75:76], v[39:40]
	v_add_f64 v[14:15], v[14:15], -v[16:17]
	v_xor_b32_e32 v12, v41, v12
	v_cndmask_b32_e32 v16, 0, v42, vcc_lo
	v_cndmask_b32_e32 v17, 0x7ff80000, v12, vcc_lo
	v_lshlrev_b32_e32 v12, 30, v4
	v_and_b32_e32 v4, 1, v4
	v_add_f64 v[18:19], v[18:19], 1.0
	v_xor_b32_e32 v12, v12, v13
	v_cmp_eq_u32_e64 s0, 0, v4
	v_mul_f64 v[16:17], v[20:21], v[16:17]
	v_and_b32_e32 v12, 0x80000000, v12
	v_cndmask_b32_e64 v4, v25, v15, s0
	v_cndmask_b32_e64 v13, v24, v14, s0
	v_div_fixup_f64 v[14:15], v[33:34], v[22:23], s[2:3]
	v_xor_b32_e32 v4, v4, v12
	v_cndmask_b32_e32 v12, 0, v13, vcc_lo
	v_cndmask_b32_e32 v13, 0x7ff80000, v4, vcc_lo
	v_fma_f64 v[12:13], v[18:19], v[12:13], -v[16:17]
	v_mul_f64 v[12:13], v[14:15], v[12:13]
.LBB7_136:
	s_or_b32 exec_lo, exec_lo, s10
.LBB7_137:
	s_or_b32 exec_lo, exec_lo, s9
.LBB7_138:
	s_or_b32 exec_lo, exec_lo, s8
	global_load_dwordx2 v[4:5], v5, s[6:7]
	s_mov_b32 s6, exec_lo
	s_waitcnt vmcnt(0)
	v_cmpx_neq_f64_e64 0x7ff00000, |v[4:5]|
	s_cbranch_execz .LBB7_160
; %bb.139:
	v_mov_b32_e32 v10, 0
	v_mov_b32_e32 v11, 0
	s_mov_b32 s0, 0x872b020c
	s_mov_b32 s1, 0x4059f916
	s_mov_b32 s7, exec_lo
	v_cmpx_nlt_f64_e32 s[0:1], v[4:5]
	s_cbranch_execz .LBB7_159
; %bb.140:
	s_mov_b32 s1, 0xc000b851
	s_mov_b32 s0, 0xeb851eb8
                                        ; implicit-def: $vgpr10_vgpr11
	v_cmp_ngt_f64_e32 vcc_lo, s[0:1], v[4:5]
	s_and_saveexec_b32 s1, vcc_lo
	s_xor_b32 s2, exec_lo, s1
	s_cbranch_execz .LBB7_148
; %bb.141:
	s_mov_b32 s1, 0x4000b851
	v_mov_b32_e32 v10, 0
	v_cmp_nle_f64_e64 s3, s[0:1], v[4:5]
	v_cmp_le_f64_e32 vcc_lo, s[0:1], v[4:5]
	v_mov_b32_e32 v11, 0
	s_mov_b32 s0, s3
	s_and_saveexec_b32 s8, vcc_lo
	s_cbranch_execz .LBB7_143
; %bb.142:
	v_cmp_gt_f64_e32 vcc_lo, 0x10000000, v[4:5]
	s_mov_b32 s0, 0x2537b658
	s_mov_b32 s10, 0x2624d31
	s_mov_b32 s1, 0x3fd62dae
	s_mov_b32 s11, 0x3fe229bc
	v_cndmask_b32_e64 v10, 0, 0x100, vcc_lo
	v_ldexp_f64 v[10:11], v[4:5], v10
	v_rsq_f64_e32 v[14:15], v[10:11]
	v_mul_f64 v[16:17], v[10:11], v[14:15]
	v_mul_f64 v[14:15], v[14:15], 0.5
	v_fma_f64 v[18:19], -v[14:15], v[16:17], 0.5
	v_fma_f64 v[16:17], v[16:17], v[18:19], v[16:17]
	v_fma_f64 v[14:15], v[14:15], v[18:19], v[14:15]
	v_fma_f64 v[18:19], -v[16:17], v[16:17], v[10:11]
	v_fma_f64 v[16:17], v[18:19], v[14:15], v[16:17]
	v_fma_f64 v[18:19], -v[16:17], v[16:17], v[10:11]
	v_fma_f64 v[14:15], v[18:19], v[14:15], v[16:17]
	v_cndmask_b32_e64 v16, 0, 0xffffff80, vcc_lo
	v_cmp_class_f64_e64 vcc_lo, v[10:11], 0x260
	v_ldexp_f64 v[14:15], v[14:15], v16
	v_add_f64 v[16:17], v[4:5], v[4:5]
	v_cndmask_b32_e32 v11, v15, v11, vcc_lo
	v_cndmask_b32_e32 v10, v14, v10, vcc_lo
	v_mul_f64 v[14:15], v[16:17], v[10:11]
	v_div_scale_f64 v[16:17], null, 0x40080000, 0x40080000, v[14:15]
	v_div_scale_f64 v[22:23], vcc_lo, v[14:15], 0x40080000, v[14:15]
	v_rcp_f64_e32 v[18:19], v[16:17]
	v_fma_f64 v[20:21], -v[16:17], v[18:19], 1.0
	v_fma_f64 v[18:19], v[18:19], v[20:21], v[18:19]
	v_fma_f64 v[20:21], -v[16:17], v[18:19], 1.0
	v_fma_f64 v[18:19], v[18:19], v[20:21], v[18:19]
	v_mul_f64 v[20:21], v[22:23], v[18:19]
	v_fma_f64 v[16:17], -v[16:17], v[20:21], v[22:23]
	v_div_fmas_f64 v[16:17], v[16:17], v[18:19], v[20:21]
	v_div_fixup_f64 v[14:15], v[16:17], 0x40080000, v[14:15]
	v_div_scale_f64 v[16:17], null, v[14:15], v[14:15], 1.0
	v_div_scale_f64 v[22:23], vcc_lo, 1.0, v[14:15], 1.0
	v_rcp_f64_e32 v[18:19], v[16:17]
	v_fma_f64 v[20:21], -v[16:17], v[18:19], 1.0
	v_fma_f64 v[18:19], v[18:19], v[20:21], v[18:19]
	v_fma_f64 v[20:21], -v[16:17], v[18:19], 1.0
	v_fma_f64 v[18:19], v[18:19], v[20:21], v[18:19]
	v_mul_f64 v[20:21], v[22:23], v[18:19]
	v_fma_f64 v[16:17], -v[16:17], v[20:21], v[22:23]
	v_div_fmas_f64 v[16:17], v[16:17], v[18:19], v[20:21]
	v_cmp_gt_f64_e32 vcc_lo, 0x10000000, v[10:11]
	v_div_fixup_f64 v[16:17], v[16:17], v[14:15], 1.0
	v_cndmask_b32_e64 v28, 0, 0x100, vcc_lo
	v_ldexp_f64 v[10:11], v[10:11], v28
	v_fma_f64 v[18:19], v[16:17], 0, s[10:11]
	v_fma_f64 v[20:21], v[16:17], 0, s[0:1]
	s_mov_b32 s0, 0x652b82fe
	s_mov_b32 s1, 0x3ff71547
	;; [unrolled: 1-line block ×3, first 2 shown]
	v_mul_f64 v[22:23], v[14:15], s[0:1]
	s_mov_b32 s0, 0x871a9067
	s_mov_b32 s1, 0x402803e3
	;; [unrolled: 1-line block ×3, first 2 shown]
	v_fma_f64 v[18:19], v[16:17], v[18:19], s[10:11]
	v_fma_f64 v[20:21], v[16:17], v[20:21], s[0:1]
	s_mov_b32 s0, 0xde2e1e3
	s_mov_b32 s10, 0xb04d51a0
	s_mov_b32 s1, 0x405311e5
	v_rndne_f64_e32 v[22:23], v[22:23]
	s_mov_b32 s11, 0x405520e3
	v_fma_f64 v[18:19], v[16:17], v[18:19], s[10:11]
	v_fma_f64 v[20:21], v[16:17], v[20:21], s[0:1]
	s_mov_b32 s0, 0xfefa39ef
	s_mov_b32 s1, 0xbfe62e42
	;; [unrolled: 1-line block ×3, first 2 shown]
	v_fma_f64 v[24:25], v[22:23], s[0:1], v[14:15]
	s_mov_b32 s0, 0xee40073c
	s_mov_b32 s1, 0x406502da
	;; [unrolled: 1-line block ×3, first 2 shown]
	v_fma_f64 v[18:19], v[16:17], v[18:19], s[10:11]
	v_fma_f64 v[20:21], v[16:17], v[20:21], s[0:1]
	s_mov_b32 s0, 0x3b39803f
	s_mov_b32 s1, 0xbc7abc9e
	;; [unrolled: 1-line block ×3, first 2 shown]
	v_fma_f64 v[24:25], v[22:23], s[0:1], v[24:25]
	s_mov_b32 s0, 0x5ba1fddf
	s_mov_b32 s1, 0x4063f834
	;; [unrolled: 1-line block ×3, first 2 shown]
	v_fma_f64 v[18:19], v[16:17], v[18:19], s[10:11]
	v_fma_f64 v[20:21], v[16:17], v[20:21], s[0:1]
	s_mov_b32 s0, 0xfca7ab0c
	s_mov_b32 s10, 0x6a5dcb37
	;; [unrolled: 1-line block ×4, first 2 shown]
	v_fma_f64 v[26:27], v[24:25], s[10:11], s[0:1]
	s_mov_b32 s0, 0x4f4cea4f
	s_mov_b32 s10, 0xee91d35f
	;; [unrolled: 1-line block ×4, first 2 shown]
	v_fma_f64 v[18:19], v[16:17], v[18:19], s[10:11]
	v_fma_f64 v[20:21], v[16:17], v[20:21], s[0:1]
	s_mov_b32 s0, 0x623fde64
	s_mov_b32 s1, 0x3ec71dee
	;; [unrolled: 1-line block ×4, first 2 shown]
	v_fma_f64 v[26:27], v[24:25], v[26:27], s[0:1]
	s_mov_b32 s0, 0x5c2a0f4d
	s_mov_b32 s1, 0x402c0d8d
	v_fma_f64 v[18:19], v[16:17], v[18:19], s[10:11]
	v_fma_f64 v[20:21], v[16:17], v[20:21], s[0:1]
	s_mov_b32 s0, 0x7c89e6b0
	s_mov_b32 s1, 0x3efa0199
	v_fma_f64 v[26:27], v[24:25], v[26:27], s[0:1]
	s_mov_b32 s0, 0x14761f6e
	s_mov_b32 s1, 0x3f2a01a0
	v_fma_f64 v[18:19], v[16:17], v[18:19], 1.0
	v_fma_f64 v[16:17], v[16:17], v[20:21], 1.0
	v_rsq_f64_e32 v[20:21], v[10:11]
	v_fma_f64 v[26:27], v[24:25], v[26:27], s[0:1]
	s_mov_b32 s0, 0x1852b7b0
	s_mov_b32 s1, 0x3f56c16c
	v_div_scale_f64 v[28:29], null, v[18:19], v[18:19], v[16:17]
	v_mul_f64 v[30:31], v[10:11], v[20:21]
	v_mul_f64 v[20:21], v[20:21], 0.5
	v_fma_f64 v[26:27], v[24:25], v[26:27], s[0:1]
	s_mov_b32 s0, 0x11122322
	s_mov_b32 s1, 0x3f811111
	v_rcp_f64_e32 v[32:33], v[28:29]
	v_fma_f64 v[34:35], -v[20:21], v[30:31], 0.5
	v_fma_f64 v[26:27], v[24:25], v[26:27], s[0:1]
	s_mov_b32 s0, 0x555502a1
	s_mov_b32 s1, 0x3fa55555
	v_fma_f64 v[36:37], -v[28:29], v[32:33], 1.0
	v_fma_f64 v[30:31], v[30:31], v[34:35], v[30:31]
	v_fma_f64 v[20:21], v[20:21], v[34:35], v[20:21]
	;; [unrolled: 1-line block ×3, first 2 shown]
	s_mov_b32 s0, 0x55555511
	s_mov_b32 s1, 0x3fc55555
	v_fma_f64 v[32:33], v[32:33], v[36:37], v[32:33]
	v_fma_f64 v[34:35], -v[30:31], v[30:31], v[10:11]
	v_fma_f64 v[26:27], v[24:25], v[26:27], s[0:1]
	s_mov_b32 s0, 11
	s_mov_b32 s1, 0x3fe00000
	v_fma_f64 v[36:37], -v[28:29], v[32:33], 1.0
	v_fma_f64 v[30:31], v[34:35], v[20:21], v[30:31]
	v_fma_f64 v[26:27], v[24:25], v[26:27], s[0:1]
	v_div_scale_f64 v[34:35], s0, v[16:17], v[18:19], v[16:17]
	v_cmp_class_f64_e64 s1, v[10:11], 0x260
	v_fma_f64 v[32:33], v[32:33], v[36:37], v[32:33]
	v_fma_f64 v[36:37], -v[30:31], v[30:31], v[10:11]
	v_fma_f64 v[26:27], v[24:25], v[26:27], 1.0
	v_mul_f64 v[38:39], v[34:35], v[32:33]
	v_fma_f64 v[20:21], v[36:37], v[20:21], v[30:31]
	v_cvt_i32_f64_e32 v30, v[22:23]
	v_fma_f64 v[22:23], v[24:25], v[26:27], 1.0
	v_cndmask_b32_e64 v26, 0, 0xffffff80, vcc_lo
	s_mov_b32 vcc_lo, s0
	v_cmp_ngt_f64_e64 s0, 0xc090cc00, v[14:15]
	v_fma_f64 v[24:25], -v[28:29], v[38:39], v[34:35]
	v_ldexp_f64 v[20:21], v[20:21], v26
	v_ldexp_f64 v[22:23], v[22:23], v30
	v_div_fmas_f64 v[24:25], v[24:25], v[32:33], v[38:39]
	v_cmp_nlt_f64_e32 vcc_lo, 0x40900000, v[14:15]
	v_cndmask_b32_e64 v11, v21, v11, s1
	v_cndmask_b32_e64 v10, v20, v10, s1
	v_add_f64 v[10:11], v[10:11], v[10:11]
	v_div_fixup_f64 v[14:15], v[24:25], v[18:19], v[16:17]
	v_cndmask_b32_e32 v21, 0x7ff00000, v23, vcc_lo
	s_and_b32 vcc_lo, s0, vcc_lo
	v_cndmask_b32_e32 v16, 0, v22, vcc_lo
	v_cndmask_b32_e64 v17, 0, v21, s0
	s_mov_b32 s0, 0x50429b6d
	s_mov_b32 s1, 0x3fe20dd7
	v_mul_f64 v[10:11], v[10:11], v[16:17]
	v_mul_f64 v[14:15], v[14:15], s[0:1]
	s_mov_b32 s0, 0xfd0a823a
	s_mov_b32 s1, 0x4020a402
	v_div_scale_f64 v[16:17], null, v[10:11], v[10:11], v[14:15]
	v_rcp_f64_e32 v[18:19], v[16:17]
	v_fma_f64 v[20:21], -v[16:17], v[18:19], 1.0
	v_fma_f64 v[18:19], v[18:19], v[20:21], v[18:19]
	v_fma_f64 v[20:21], -v[16:17], v[18:19], 1.0
	v_fma_f64 v[18:19], v[18:19], v[20:21], v[18:19]
	v_div_scale_f64 v[20:21], vcc_lo, v[14:15], v[10:11], v[14:15]
	v_mul_f64 v[22:23], v[20:21], v[18:19]
	v_fma_f64 v[16:17], -v[16:17], v[22:23], v[20:21]
	v_div_fmas_f64 v[16:17], v[16:17], v[18:19], v[22:23]
	v_cmp_nlt_f64_e32 vcc_lo, s[0:1], v[4:5]
	s_andn2_b32 s0, s3, exec_lo
	v_div_fixup_f64 v[10:11], v[16:17], v[10:11], v[14:15]
	s_and_b32 s1, vcc_lo, exec_lo
	s_or_b32 s0, s0, s1
.LBB7_143:
	s_or_b32 exec_lo, exec_lo, s8
	s_and_saveexec_b32 s1, s0
	s_cbranch_execz .LBB7_147
; %bb.144:
	v_mul_f64 v[14:15], v[4:5], v[4:5]
	v_mov_b32_e32 v20, 0
	v_mov_b32_e32 v22, 0
	;; [unrolled: 1-line block ×6, first 2 shown]
	s_mov_b32 s8, 0
	v_mul_f64 v[16:17], v[4:5], v[14:15]
	v_mov_b32_e32 v14, 0
	v_mov_b32_e32 v15, 0x3ff00000
.LBB7_145:                              ; =>This Inner Loop Header: Depth=1
	v_mul_f64 v[20:21], v[16:17], v[20:21]
	v_add_f64 v[22:23], v[22:23], 1.0
	v_mul_f64 v[4:5], v[16:17], v[4:5]
	v_div_scale_f64 v[24:25], null, v[22:23], v[22:23], v[20:21]
	v_div_scale_f64 v[30:31], vcc_lo, v[20:21], v[22:23], v[20:21]
	v_rcp_f64_e32 v[26:27], v[24:25]
	v_fma_f64 v[28:29], -v[24:25], v[26:27], 1.0
	v_fma_f64 v[26:27], v[26:27], v[28:29], v[26:27]
	v_fma_f64 v[28:29], -v[24:25], v[26:27], 1.0
	v_fma_f64 v[26:27], v[26:27], v[28:29], v[26:27]
	v_mul_f64 v[28:29], v[30:31], v[26:27]
	v_fma_f64 v[24:25], -v[24:25], v[28:29], v[30:31]
	v_div_fmas_f64 v[24:25], v[24:25], v[26:27], v[28:29]
	v_add_f64 v[26:27], v[22:23], 1.0
	v_div_fixup_f64 v[20:21], v[24:25], v[22:23], v[20:21]
	v_div_scale_f64 v[22:23], null, v[26:27], v[26:27], v[4:5]
	v_div_scale_f64 v[36:37], vcc_lo, v[4:5], v[26:27], v[4:5]
	v_div_scale_f64 v[24:25], null, v[26:27], v[26:27], v[20:21]
	v_rcp_f64_e32 v[28:29], v[22:23]
	v_rcp_f64_e32 v[30:31], v[24:25]
	v_fma_f64 v[32:33], -v[22:23], v[28:29], 1.0
	v_fma_f64 v[34:35], -v[24:25], v[30:31], 1.0
	v_fma_f64 v[28:29], v[28:29], v[32:33], v[28:29]
	v_fma_f64 v[30:31], v[30:31], v[34:35], v[30:31]
	v_fma_f64 v[32:33], -v[22:23], v[28:29], 1.0
	v_fma_f64 v[34:35], -v[24:25], v[30:31], 1.0
	v_fma_f64 v[28:29], v[28:29], v[32:33], v[28:29]
	v_div_scale_f64 v[32:33], s0, v[20:21], v[26:27], v[20:21]
	v_fma_f64 v[30:31], v[30:31], v[34:35], v[30:31]
	v_mul_f64 v[34:35], v[36:37], v[28:29]
	v_mul_f64 v[38:39], v[32:33], v[30:31]
	v_fma_f64 v[22:23], -v[22:23], v[34:35], v[36:37]
	v_fma_f64 v[24:25], -v[24:25], v[38:39], v[32:33]
	v_div_fmas_f64 v[28:29], v[22:23], v[28:29], v[34:35]
	s_mov_b32 vcc_lo, s0
	v_div_fmas_f64 v[22:23], v[24:25], v[30:31], v[38:39]
	v_div_fixup_f64 v[4:5], v[28:29], v[26:27], v[4:5]
	v_div_fixup_f64 v[20:21], v[22:23], v[26:27], v[20:21]
	v_add_f64 v[22:23], v[26:27], 1.0
	v_add_f64 v[14:15], v[14:15], v[20:21]
	v_div_scale_f64 v[24:25], null, v[22:23], v[22:23], v[4:5]
	v_div_scale_f64 v[36:37], vcc_lo, v[4:5], v[22:23], v[4:5]
	v_div_scale_f64 v[26:27], null, v[14:15], v[14:15], v[20:21]
	v_rcp_f64_e32 v[28:29], v[24:25]
	v_rcp_f64_e32 v[30:31], v[26:27]
	v_fma_f64 v[32:33], -v[24:25], v[28:29], 1.0
	v_fma_f64 v[34:35], -v[26:27], v[30:31], 1.0
	v_fma_f64 v[28:29], v[28:29], v[32:33], v[28:29]
	v_fma_f64 v[30:31], v[30:31], v[34:35], v[30:31]
	v_fma_f64 v[32:33], -v[24:25], v[28:29], 1.0
	v_fma_f64 v[34:35], -v[26:27], v[30:31], 1.0
	v_fma_f64 v[28:29], v[28:29], v[32:33], v[28:29]
	v_div_scale_f64 v[32:33], s0, v[20:21], v[14:15], v[20:21]
	v_fma_f64 v[30:31], v[30:31], v[34:35], v[30:31]
	v_mul_f64 v[34:35], v[36:37], v[28:29]
	v_mul_f64 v[38:39], v[32:33], v[30:31]
	v_fma_f64 v[24:25], -v[24:25], v[34:35], v[36:37]
	v_fma_f64 v[26:27], -v[26:27], v[38:39], v[32:33]
	v_div_fmas_f64 v[24:25], v[24:25], v[28:29], v[34:35]
	s_mov_b32 vcc_lo, s0
	v_div_fmas_f64 v[26:27], v[26:27], v[30:31], v[38:39]
	v_div_fixup_f64 v[4:5], v[24:25], v[22:23], v[4:5]
	v_div_fixup_f64 v[26:27], v[26:27], v[14:15], v[20:21]
	v_add_f64 v[18:19], v[18:19], v[4:5]
	v_cmp_nlt_f64_e64 s0, 0x3cb00000, |v[26:27]|
	s_or_b32 s8, s0, s8
	s_andn2_b32 exec_lo, exec_lo, s8
	s_cbranch_execnz .LBB7_145
; %bb.146:
	s_or_b32 exec_lo, exec_lo, s8
	s_mov_b32 s8, 0x42b70f8b
	s_mov_b32 s9, 0xbfd0907f
	v_mul_f64 v[4:5], v[18:19], s[8:9]
	s_mov_b32 s8, 0x962715b8
	s_mov_b32 s9, 0x3fd6b8c7
	v_fma_f64 v[4:5], v[14:15], s[8:9], v[4:5]
	v_cndmask_b32_e64 v11, v11, v5, s3
	v_cndmask_b32_e64 v10, v10, v4, s3
.LBB7_147:
	s_or_b32 exec_lo, exec_lo, s1
                                        ; implicit-def: $vgpr4_vgpr5
.LBB7_148:
	s_andn2_saveexec_b32 s8, s2
	s_cbranch_execz .LBB7_158
; %bb.149:
	v_cmp_lt_f64_e32 vcc_lo, 0x90000000, v[4:5]
	s_mov_b32 s1, 0x3fe921fb
	s_mov_b32 s0, 0x54442d18
                                        ; implicit-def: $vgpr24
	v_cndmask_b32_e64 v10, 0, 0x100, vcc_lo
	v_ldexp_f64 v[10:11], -v[4:5], v10
	v_mul_f64 v[4:5], v[4:5], -2.0
	v_rsq_f64_e32 v[14:15], v[10:11]
	v_mul_f64 v[16:17], v[10:11], v[14:15]
	v_mul_f64 v[14:15], v[14:15], 0.5
	v_fma_f64 v[18:19], -v[14:15], v[16:17], 0.5
	v_fma_f64 v[16:17], v[16:17], v[18:19], v[16:17]
	v_fma_f64 v[14:15], v[14:15], v[18:19], v[14:15]
	v_fma_f64 v[18:19], -v[16:17], v[16:17], v[10:11]
	v_fma_f64 v[16:17], v[18:19], v[14:15], v[16:17]
	v_fma_f64 v[18:19], -v[16:17], v[16:17], v[10:11]
	v_fma_f64 v[14:15], v[18:19], v[14:15], v[16:17]
	v_cndmask_b32_e64 v16, 0, 0xffffff80, vcc_lo
	v_cmp_class_f64_e64 vcc_lo, v[10:11], 0x260
	v_ldexp_f64 v[14:15], v[14:15], v16
	v_cndmask_b32_e32 v17, v15, v11, vcc_lo
	v_cndmask_b32_e32 v16, v14, v10, vcc_lo
	v_mul_f64 v[4:5], v[4:5], v[16:17]
	v_div_scale_f64 v[10:11], null, 0x40080000, 0x40080000, v[4:5]
	v_rcp_f64_e32 v[14:15], v[10:11]
	v_fma_f64 v[18:19], -v[10:11], v[14:15], 1.0
	v_fma_f64 v[14:15], v[14:15], v[18:19], v[14:15]
	v_fma_f64 v[18:19], -v[10:11], v[14:15], 1.0
	v_fma_f64 v[14:15], v[14:15], v[18:19], v[14:15]
	v_div_scale_f64 v[18:19], vcc_lo, v[4:5], 0x40080000, v[4:5]
	v_mul_f64 v[20:21], v[18:19], v[14:15]
	v_fma_f64 v[10:11], -v[10:11], v[20:21], v[18:19]
	v_div_fmas_f64 v[10:11], v[10:11], v[14:15], v[20:21]
                                        ; implicit-def: $vgpr14_vgpr15
	v_div_fixup_f64 v[22:23], v[10:11], 0x40080000, v[4:5]
                                        ; implicit-def: $vgpr10_vgpr11
	v_add_f64 v[4:5], v[22:23], s[0:1]
	v_cmp_ngt_f64_e64 s2, 0x41d00000, |v[4:5]|
	s_and_saveexec_b32 s1, s2
	s_xor_b32 s3, exec_lo, s1
	s_cbranch_execz .LBB7_151
; %bb.150:
	v_ldexp_f64 v[10:11], |v[4:5]|, 0xffffff80
	v_cmp_le_f64_e64 vcc_lo, 0x7b000000, |v[4:5]|
	v_trig_preop_f64 v[14:15], |v[4:5]|, 0
	v_and_b32_e32 v18, 0x7fffffff, v5
	v_trig_preop_f64 v[30:31], |v[4:5]|, 2
	v_mov_b32_e32 v38, 0
	s_mov_b32 s1, 0x3ff921fb
	s_mov_b32 s10, 0x33145c07
	;; [unrolled: 1-line block ×3, first 2 shown]
	v_cndmask_b32_e32 v11, v18, v11, vcc_lo
	v_cndmask_b32_e32 v10, v4, v10, vcc_lo
	v_trig_preop_f64 v[18:19], |v[4:5]|, 1
	v_mul_f64 v[20:21], v[14:15], v[10:11]
	v_mul_f64 v[36:37], v[30:31], v[10:11]
	;; [unrolled: 1-line block ×3, first 2 shown]
	v_fma_f64 v[14:15], v[14:15], v[10:11], -v[20:21]
	v_fma_f64 v[18:19], v[18:19], v[10:11], -v[24:25]
	;; [unrolled: 1-line block ×3, first 2 shown]
	v_add_f64 v[26:27], v[24:25], v[14:15]
	v_add_f64 v[28:29], v[26:27], -v[24:25]
	v_add_f64 v[34:35], v[20:21], v[26:27]
	v_add_f64 v[32:33], v[26:27], -v[28:29]
	v_add_f64 v[14:15], v[14:15], -v[28:29]
	v_ldexp_f64 v[28:29], v[34:35], -2
	v_add_f64 v[20:21], v[34:35], -v[20:21]
	v_add_f64 v[24:25], v[24:25], -v[32:33]
	v_add_f64 v[32:33], v[36:37], v[18:19]
	v_cmp_neq_f64_e64 vcc_lo, 0x7ff00000, |v[28:29]|
	v_add_f64 v[20:21], v[26:27], -v[20:21]
	v_add_f64 v[14:15], v[14:15], v[24:25]
	v_fract_f64_e32 v[24:25], v[28:29]
	v_add_f64 v[26:27], v[32:33], v[14:15]
	v_ldexp_f64 v[24:25], v[24:25], 2
	v_add_f64 v[28:29], v[20:21], v[26:27]
	v_cndmask_b32_e32 v25, 0, v25, vcc_lo
	v_cndmask_b32_e32 v24, 0, v24, vcc_lo
	v_add_f64 v[34:35], v[28:29], v[24:25]
	v_add_f64 v[20:21], v[28:29], -v[20:21]
	v_cmp_gt_f64_e32 vcc_lo, 0, v[34:35]
	v_add_f64 v[34:35], v[32:33], -v[36:37]
	v_add_f64 v[20:21], v[26:27], -v[20:21]
	v_cndmask_b32_e64 v39, 0, 0x40100000, vcc_lo
	v_add_f64 v[43:44], v[32:33], -v[34:35]
	v_add_f64 v[18:19], v[18:19], -v[34:35]
	v_add_f64 v[24:25], v[24:25], v[38:39]
	v_add_f64 v[39:40], v[26:27], -v[32:33]
	v_add_f64 v[34:35], v[36:37], -v[43:44]
	v_add_f64 v[41:42], v[28:29], v[24:25]
	;; [unrolled: 3-line block ×3, first 2 shown]
	v_cvt_i32_f64_e32 v41, v[41:42]
	v_add_f64 v[32:33], v[32:33], -v[45:46]
	v_cvt_f64_i32_e32 v[39:40], v41
	v_add_f64 v[14:15], v[14:15], v[32:33]
	v_add_f64 v[24:25], v[24:25], -v[39:40]
	v_add_f64 v[14:15], v[18:19], v[14:15]
	v_add_f64 v[18:19], v[28:29], v[24:25]
	;; [unrolled: 1-line block ×3, first 2 shown]
	v_add_f64 v[14:15], v[18:19], -v[24:25]
	v_cmp_le_f64_e32 vcc_lo, 0.5, v[18:19]
	v_add_f64 v[10:11], v[20:21], v[10:11]
	v_add_f64 v[14:15], v[28:29], -v[14:15]
	v_cndmask_b32_e64 v39, 0, 0x3ff00000, vcc_lo
	v_add_co_ci_u32_e64 v24, null, 0, v41, vcc_lo
	v_add_f64 v[10:11], v[10:11], v[14:15]
	v_add_f64 v[14:15], v[18:19], -v[38:39]
	v_add_f64 v[18:19], v[14:15], v[10:11]
	v_mul_f64 v[20:21], v[18:19], s[0:1]
	v_add_f64 v[14:15], v[18:19], -v[14:15]
	v_fma_f64 v[25:26], v[18:19], s[0:1], -v[20:21]
	v_add_f64 v[10:11], v[10:11], -v[14:15]
	v_fma_f64 v[14:15], v[18:19], s[10:11], v[25:26]
	v_fma_f64 v[14:15], v[10:11], s[0:1], v[14:15]
	v_add_f64 v[10:11], v[20:21], v[14:15]
	v_add_f64 v[18:19], v[10:11], -v[20:21]
	v_add_f64 v[14:15], v[14:15], -v[18:19]
	s_andn2_saveexec_b32 s0, s3
	s_cbranch_execz .LBB7_153
	s_branch .LBB7_152
.LBB7_151:
	s_andn2_saveexec_b32 s0, s3
	s_cbranch_execz .LBB7_153
.LBB7_152:
	s_mov_b32 s10, 0x6dc9c883
	s_mov_b32 s11, 0x3fe45f30
	;; [unrolled: 1-line block ×3, first 2 shown]
	v_mul_f64 v[10:11], |v[4:5]|, s[10:11]
	s_mov_b32 s10, 0x54442d18
	s_mov_b32 s11, 0xbff921fb
	;; [unrolled: 1-line block ×3, first 2 shown]
	v_rndne_f64_e32 v[18:19], v[10:11]
	v_fma_f64 v[10:11], v[18:19], s[10:11], |v[4:5]|
	v_mul_f64 v[14:15], v[18:19], s[12:13]
	s_mov_b32 s10, 0x252049c0
	s_mov_b32 s11, 0xb97b839a
	v_fma_f64 v[24:25], v[18:19], s[12:13], v[10:11]
	v_add_f64 v[20:21], v[10:11], v[14:15]
	s_mov_b32 s13, 0x3c91a626
	v_add_f64 v[10:11], v[10:11], -v[20:21]
	v_add_f64 v[20:21], v[20:21], -v[24:25]
	v_add_f64 v[10:11], v[10:11], v[14:15]
	v_fma_f64 v[14:15], v[18:19], s[12:13], v[14:15]
	v_add_f64 v[10:11], v[20:21], v[10:11]
	v_add_f64 v[10:11], v[10:11], -v[14:15]
	v_fma_f64 v[14:15], v[18:19], s[10:11], v[10:11]
	v_add_f64 v[10:11], v[24:25], v[14:15]
	v_add_f64 v[20:21], v[10:11], -v[24:25]
	v_cvt_i32_f64_e32 v24, v[18:19]
	v_add_f64 v[14:15], v[14:15], -v[20:21]
.LBB7_153:
	s_or_b32 exec_lo, exec_lo, s0
                                        ; implicit-def: $vgpr25
                                        ; implicit-def: $vgpr18_vgpr19
                                        ; implicit-def: $vgpr20_vgpr21
	s_and_saveexec_b32 s0, s2
	s_xor_b32 s0, exec_lo, s0
	s_cbranch_execz .LBB7_155
; %bb.154:
	v_ldexp_f64 v[18:19], |v[4:5]|, 0xffffff80
	v_cmp_le_f64_e64 vcc_lo, 0x7b000000, |v[4:5]|
	v_trig_preop_f64 v[20:21], |v[4:5]|, 0
	v_and_b32_e32 v25, 0x7fffffff, v5
	v_trig_preop_f64 v[35:36], |v[4:5]|, 2
	v_mov_b32_e32 v43, 0
	s_mov_b32 s2, 0x54442d18
	s_mov_b32 s3, 0x3ff921fb
	;; [unrolled: 1-line block ×4, first 2 shown]
	v_cndmask_b32_e32 v19, v25, v19, vcc_lo
	v_cndmask_b32_e32 v18, v4, v18, vcc_lo
	v_trig_preop_f64 v[25:26], |v[4:5]|, 1
	v_mul_f64 v[27:28], v[20:21], v[18:19]
	v_mul_f64 v[41:42], v[35:36], v[18:19]
	;; [unrolled: 1-line block ×3, first 2 shown]
	v_fma_f64 v[20:21], v[20:21], v[18:19], -v[27:28]
	v_fma_f64 v[25:26], v[25:26], v[18:19], -v[29:30]
	;; [unrolled: 1-line block ×3, first 2 shown]
	v_add_f64 v[31:32], v[29:30], v[20:21]
	v_add_f64 v[33:34], v[31:32], -v[29:30]
	v_add_f64 v[39:40], v[27:28], v[31:32]
	v_add_f64 v[37:38], v[31:32], -v[33:34]
	v_add_f64 v[20:21], v[20:21], -v[33:34]
	v_ldexp_f64 v[33:34], v[39:40], -2
	v_add_f64 v[27:28], v[39:40], -v[27:28]
	v_add_f64 v[29:30], v[29:30], -v[37:38]
	v_add_f64 v[37:38], v[41:42], v[25:26]
	v_cmp_neq_f64_e64 vcc_lo, 0x7ff00000, |v[33:34]|
	v_add_f64 v[27:28], v[31:32], -v[27:28]
	v_add_f64 v[20:21], v[20:21], v[29:30]
	v_fract_f64_e32 v[29:30], v[33:34]
	v_add_f64 v[31:32], v[37:38], v[20:21]
	v_ldexp_f64 v[29:30], v[29:30], 2
	v_add_f64 v[33:34], v[27:28], v[31:32]
	v_cndmask_b32_e32 v30, 0, v30, vcc_lo
	v_cndmask_b32_e32 v29, 0, v29, vcc_lo
	v_add_f64 v[39:40], v[33:34], v[29:30]
	v_add_f64 v[27:28], v[33:34], -v[27:28]
	v_cmp_gt_f64_e32 vcc_lo, 0, v[39:40]
	v_add_f64 v[39:40], v[37:38], -v[41:42]
	v_cndmask_b32_e64 v44, 0, 0x40100000, vcc_lo
	v_add_f64 v[48:49], v[37:38], -v[39:40]
	v_add_f64 v[25:26], v[25:26], -v[39:40]
	v_add_f64 v[29:30], v[29:30], v[43:44]
	v_add_f64 v[44:45], v[31:32], -v[37:38]
	v_add_f64 v[39:40], v[41:42], -v[48:49]
	v_add_f64 v[46:47], v[33:34], v[29:30]
	;; [unrolled: 3-line block ×3, first 2 shown]
	v_cvt_i32_f64_e32 v46, v[46:47]
	v_add_f64 v[37:38], v[37:38], -v[50:51]
	v_cvt_f64_i32_e32 v[44:45], v46
	v_add_f64 v[20:21], v[20:21], v[37:38]
	v_add_f64 v[29:30], v[29:30], -v[44:45]
	v_add_f64 v[20:21], v[25:26], v[20:21]
	v_add_f64 v[25:26], v[31:32], -v[27:28]
	v_add_f64 v[35:36], v[33:34], v[29:30]
	v_add_f64 v[18:19], v[18:19], v[20:21]
	v_add_f64 v[20:21], v[35:36], -v[29:30]
	v_cmp_le_f64_e32 vcc_lo, 0.5, v[35:36]
	v_add_f64 v[18:19], v[25:26], v[18:19]
	v_add_f64 v[20:21], v[33:34], -v[20:21]
	v_cndmask_b32_e64 v44, 0, 0x3ff00000, vcc_lo
	v_add_co_ci_u32_e64 v25, null, 0, v46, vcc_lo
	v_add_f64 v[18:19], v[18:19], v[20:21]
	v_add_f64 v[20:21], v[35:36], -v[43:44]
	v_add_f64 v[26:27], v[20:21], v[18:19]
	v_mul_f64 v[28:29], v[26:27], s[2:3]
	v_add_f64 v[20:21], v[26:27], -v[20:21]
	v_fma_f64 v[30:31], v[26:27], s[2:3], -v[28:29]
	v_add_f64 v[18:19], v[18:19], -v[20:21]
	v_fma_f64 v[20:21], v[26:27], s[10:11], v[30:31]
	v_fma_f64 v[20:21], v[18:19], s[2:3], v[20:21]
	v_add_f64 v[18:19], v[28:29], v[20:21]
	v_add_f64 v[26:27], v[18:19], -v[28:29]
	v_add_f64 v[20:21], v[20:21], -v[26:27]
	s_andn2_saveexec_b32 s0, s0
	s_cbranch_execnz .LBB7_156
	s_branch .LBB7_157
.LBB7_155:
	s_andn2_saveexec_b32 s0, s0
	s_cbranch_execz .LBB7_157
.LBB7_156:
	s_mov_b32 s2, 0x6dc9c883
	s_mov_b32 s3, 0x3fe45f30
	;; [unrolled: 1-line block ×3, first 2 shown]
	v_mul_f64 v[18:19], |v[4:5]|, s[2:3]
	s_mov_b32 s2, 0x54442d18
	s_mov_b32 s3, 0xbff921fb
	;; [unrolled: 1-line block ×3, first 2 shown]
	v_rndne_f64_e32 v[25:26], v[18:19]
	v_fma_f64 v[18:19], v[25:26], s[2:3], |v[4:5]|
	v_mul_f64 v[20:21], v[25:26], s[10:11]
	s_mov_b32 s2, 0x252049c0
	s_mov_b32 s3, 0xb97b839a
	v_fma_f64 v[29:30], v[25:26], s[10:11], v[18:19]
	v_add_f64 v[27:28], v[18:19], v[20:21]
	s_mov_b32 s11, 0x3c91a626
	v_add_f64 v[18:19], v[18:19], -v[27:28]
	v_add_f64 v[27:28], v[27:28], -v[29:30]
	v_add_f64 v[18:19], v[18:19], v[20:21]
	v_fma_f64 v[20:21], v[25:26], s[10:11], v[20:21]
	v_add_f64 v[18:19], v[27:28], v[18:19]
	v_add_f64 v[18:19], v[18:19], -v[20:21]
	v_fma_f64 v[20:21], v[25:26], s[2:3], v[18:19]
	v_cvt_i32_f64_e32 v25, v[25:26]
	v_add_f64 v[18:19], v[29:30], v[20:21]
	v_add_f64 v[27:28], v[18:19], -v[29:30]
	v_add_f64 v[20:21], v[20:21], -v[27:28]
.LBB7_157:
	s_or_b32 exec_lo, exec_lo, s0
	v_div_scale_f64 v[26:27], null, v[22:23], v[22:23], 1.0
	v_div_scale_f64 v[32:33], vcc_lo, 1.0, v[22:23], 1.0
	s_mov_b32 s0, 0xddcfbbde
	s_mov_b32 s1, 0x3f943525
	;; [unrolled: 1-line block ×8, first 2 shown]
	v_mul_f64 v[72:73], v[20:21], 0.5
	v_rcp_f64_e32 v[28:29], v[26:27]
	v_fma_f64 v[30:31], -v[26:27], v[28:29], 1.0
	v_fma_f64 v[28:29], v[28:29], v[30:31], v[28:29]
	v_fma_f64 v[30:31], -v[26:27], v[28:29], 1.0
	v_fma_f64 v[28:29], v[28:29], v[30:31], v[28:29]
	v_mul_f64 v[30:31], v[32:33], v[28:29]
	v_fma_f64 v[26:27], -v[26:27], v[30:31], v[32:33]
	v_div_fmas_f64 v[26:27], v[26:27], v[28:29], v[30:31]
	v_cmp_gt_f64_e32 vcc_lo, 0x10000000, v[16:17]
	v_div_fixup_f64 v[22:23], v[26:27], v[22:23], 1.0
	v_cndmask_b32_e64 v30, 0, 0x100, vcc_lo
	v_ldexp_f64 v[16:17], v[16:17], v30
	v_mul_f64 v[26:27], v[22:23], v[22:23]
	v_rsq_f64_e32 v[34:35], v[16:17]
	v_fma_f64 v[28:29], v[26:27], 0, s[0:1]
	s_mov_b32 s0, 0x6437b7
	s_mov_b32 s1, 0x3fd907d5
	v_mul_f64 v[38:39], v[16:17], v[34:35]
	v_mul_f64 v[34:35], v[34:35], 0.5
	v_fma_f64 v[28:29], v[26:27], v[28:29], s[0:1]
	s_mov_b32 s0, 0xd50ae6fb
	s_mov_b32 s1, 0xbfc0db6c
	v_fma_f64 v[30:31], v[26:27], 0, s[0:1]
	s_mov_b32 s0, 0xf3d56b40
	s_mov_b32 s1, 0x40229e2b
	v_fma_f64 v[32:33], v[26:27], 0, s[0:1]
	s_mov_b32 s0, 0x98566852
	s_mov_b32 s1, 0xbfe40bee
	v_fma_f64 v[40:41], -v[34:35], v[38:39], 0.5
	v_fma_f64 v[28:29], v[26:27], v[28:29], s[2:3]
	s_mov_b32 s2, 0x2572edf2
	s_mov_b32 s3, 0x402ab64b
	v_fma_f64 v[36:37], v[26:27], 0, s[2:3]
	v_fma_f64 v[30:31], v[26:27], v[30:31], s[0:1]
	s_mov_b32 s0, 0xc0ef18d4
	s_mov_b32 s1, 0x4033d5d5
	;; [unrolled: 1-line block ×3, first 2 shown]
	v_fma_f64 v[32:33], v[26:27], v[32:33], s[0:1]
	s_mov_b32 s0, 0xc2f79f7d
	s_mov_b32 s1, 0xbfe62e59
	;; [unrolled: 1-line block ×3, first 2 shown]
	v_fma_f64 v[38:39], v[38:39], v[40:41], v[38:39]
	v_fma_f64 v[34:35], v[34:35], v[40:41], v[34:35]
	;; [unrolled: 1-line block ×3, first 2 shown]
	s_mov_b32 s10, 0xcea8fe1d
	s_mov_b32 s11, 0x3fd67e69
	v_fma_f64 v[36:37], v[26:27], v[36:37], s[2:3]
	v_fma_f64 v[30:31], v[26:27], v[30:31], s[0:1]
	s_mov_b32 s0, 0x7ea7dc35
	s_mov_b32 s1, 0x402f211b
	;; [unrolled: 1-line block ×3, first 2 shown]
	v_fma_f64 v[32:33], v[26:27], v[32:33], s[0:1]
	s_mov_b32 s0, 0x4bb3f40b
	s_mov_b32 s1, 0xbfd1e7ea
	;; [unrolled: 1-line block ×3, first 2 shown]
	v_fma_f64 v[40:41], -v[38:39], v[38:39], v[16:17]
	v_fma_f64 v[28:29], v[26:27], v[28:29], s[10:11]
	s_mov_b32 s10, 0x21e90978
	s_mov_b32 s11, 0x3fb03a41
	v_fma_f64 v[36:37], v[26:27], v[36:37], s[2:3]
	v_fma_f64 v[30:31], v[26:27], v[30:31], s[0:1]
	s_mov_b32 s0, 0x2b79dbce
	s_mov_b32 s1, 0x4015e84e
	;; [unrolled: 1-line block ×3, first 2 shown]
	v_fma_f64 v[32:33], v[26:27], v[32:33], s[0:1]
	s_mov_b32 s0, 0xf47dbd8a
	s_mov_b32 s1, 0xbfa92f6e
	;; [unrolled: 1-line block ×3, first 2 shown]
	v_fma_f64 v[38:39], v[40:41], v[34:35], v[38:39]
	v_fma_f64 v[28:29], v[26:27], v[28:29], s[10:11]
	s_mov_b32 s10, 0xf12f5043
	s_mov_b32 s11, 0x3f77fe99
	v_fma_f64 v[36:37], v[26:27], v[36:37], s[2:3]
	v_fma_f64 v[30:31], v[26:27], v[30:31], s[0:1]
	s_mov_b32 s0, 0xc195ece3
	s_mov_b32 s1, 0x3fee8992
	;; [unrolled: 1-line block ×3, first 2 shown]
	v_fma_f64 v[32:33], v[26:27], v[32:33], s[0:1]
	s_mov_b32 s0, 0xc8d9e090
	s_mov_b32 s1, 0xbf70a401
	;; [unrolled: 1-line block ×3, first 2 shown]
	v_fma_f64 v[40:41], -v[38:39], v[38:39], v[16:17]
	v_fma_f64 v[28:29], v[26:27], v[28:29], s[10:11]
	s_mov_b32 s10, 0x600e17a2
	s_mov_b32 s11, 0x3f328976
	v_fma_f64 v[36:37], v[26:27], v[36:37], s[2:3]
	v_fma_f64 v[30:31], v[26:27], v[30:31], s[0:1]
	s_mov_b32 s0, 0xed64a9ee
	s_mov_b32 s1, 0x3fb6221d
	;; [unrolled: 1-line block ×3, first 2 shown]
	v_fma_f64 v[32:33], v[26:27], v[32:33], s[0:1]
	s_mov_b32 s0, 0xaf4b009c
	s_mov_b32 s1, 0xbf24e06e
	;; [unrolled: 1-line block ×3, first 2 shown]
	v_fma_f64 v[34:35], v[40:41], v[34:35], v[38:39]
	v_cndmask_b32_e64 v38, 0, 0xffffff80, vcc_lo
	v_cmp_class_f64_e64 vcc_lo, v[16:17], 0x260
	v_mul_f64 v[40:41], v[18:19], v[18:19]
	v_fma_f64 v[28:29], v[26:27], v[28:29], s[10:11]
	s_mov_b32 s10, 0x69f8574e
	s_mov_b32 s11, 0x3edd4f3d
	v_fma_f64 v[36:37], v[26:27], v[36:37], s[2:3]
	v_fma_f64 v[30:31], v[26:27], v[30:31], s[0:1]
	s_mov_b32 s0, 0x6be393bb
	s_mov_b32 s1, 0x3f70e704
	;; [unrolled: 1-line block ×3, first 2 shown]
	v_fma_f64 v[32:33], v[26:27], v[32:33], s[0:1]
	s_mov_b32 s0, 0x1d42366d
	s_mov_b32 s1, 0xbec74a78
	;; [unrolled: 1-line block ×3, first 2 shown]
	v_ldexp_f64 v[34:35], v[34:35], v38
	v_mul_f64 v[64:65], v[40:41], 0.5
	v_mul_f64 v[74:75], v[18:19], -v[40:41]
	v_fma_f64 v[28:29], v[26:27], v[28:29], s[10:11]
	s_mov_b32 s10, 0xbbad11c8
	s_mov_b32 s11, 0x3e75ca92
	v_fma_f64 v[36:37], v[26:27], v[36:37], s[2:3]
	v_fma_f64 v[30:31], v[26:27], v[30:31], s[0:1]
	s_mov_b32 s0, 0xd603a5a0
	s_mov_b32 s1, 0x3f1a8b61
	;; [unrolled: 1-line block ×3, first 2 shown]
	v_fma_f64 v[32:33], v[26:27], v[32:33], s[0:1]
	s_mov_b32 s0, 0xaf76e73b
	s_mov_b32 s1, 0x3f13c8d7
	;; [unrolled: 1-line block ×3, first 2 shown]
	v_cndmask_b32_e32 v17, v35, v17, vcc_lo
	v_cndmask_b32_e32 v16, v34, v16, vcc_lo
	v_fma_f64 v[28:29], v[26:27], v[28:29], s[10:11]
	s_mov_b32 s10, 0x7d97ee7a
	s_mov_b32 s11, 0x3df778a4
	v_fma_f64 v[36:37], v[26:27], v[36:37], s[0:1]
	v_fma_f64 v[30:31], v[26:27], v[30:31], s[2:3]
	s_mov_b32 s0, 0xdb0724e8
	s_mov_b32 s1, 0x3eb3a845
	;; [unrolled: 1-line block ×3, first 2 shown]
	v_fma_f64 v[32:33], v[26:27], v[32:33], s[0:1]
	s_mov_b32 s0, 0xb99518a7
	s_mov_b32 s1, 0x3e9e52b9
	;; [unrolled: 1-line block ×3, first 2 shown]
	v_div_scale_f64 v[34:35], null, v[16:17], v[16:17], s[2:3]
	v_fma_f64 v[28:29], v[26:27], v[28:29], s[10:11]
	s_mov_b32 s10, 0xf9a43bb8
	s_mov_b32 s11, 0x3de5e0b2
	v_fma_f64 v[36:37], v[26:27], v[36:37], s[0:1]
	v_mul_f64 v[30:31], v[26:27], v[30:31]
	s_mov_b32 s0, 0x3dd589d4
	s_mov_b32 s1, 0x3e351fc7
	v_fma_f64 v[26:27], v[26:27], v[32:33], s[0:1]
	s_mov_b32 s0, 0xb42fdfa7
	s_mov_b32 s1, 0xbe5ae600
	v_fma_f64 v[50:51], v[40:41], s[10:11], s[0:1]
	v_rcp_f64_e32 v[46:47], v[34:35]
	v_mul_f64 v[22:23], v[22:23], v[28:29]
	v_mul_f64 v[28:29], v[10:11], v[10:11]
	v_div_scale_f64 v[32:33], null, v[36:37], v[36:37], v[30:31]
	v_fma_f64 v[50:51], v[40:41], v[50:51], s[12:13]
	v_fma_f64 v[58:59], -v[34:35], v[46:47], 1.0
	v_div_scale_f64 v[38:39], null, v[26:27], v[26:27], v[22:23]
	v_fma_f64 v[42:43], v[28:29], s[10:11], s[0:1]
	s_mov_b32 s0, 0x9037ab78
	s_mov_b32 s10, 0x46cc5e42
	v_rcp_f64_e32 v[44:45], v[32:33]
	s_mov_b32 s1, 0x3e21eeb6
	s_mov_b32 s11, 0xbda907db
	v_mul_f64 v[54:55], v[28:29], 0.5
	v_fma_f64 v[52:53], v[28:29], s[10:11], s[0:1]
	v_fma_f64 v[62:63], v[40:41], s[10:11], s[0:1]
	s_mov_b32 s0, 0xa17f65f6
	s_mov_b32 s10, 0x19e83e5c
	;; [unrolled: 1-line block ×4, first 2 shown]
	v_fma_f64 v[46:47], v[46:47], v[58:59], v[46:47]
	v_fma_f64 v[50:51], v[40:41], v[50:51], s[10:11]
	v_add_f64 v[58:59], -v[64:65], 1.0
	v_rcp_f64_e32 v[48:49], v[38:39]
	v_fma_f64 v[42:43], v[28:29], v[42:43], s[12:13]
	v_fma_f64 v[56:57], -v[32:33], v[44:45], 1.0
	v_add_f64 v[66:67], -v[54:55], 1.0
	v_fma_f64 v[52:53], v[28:29], v[52:53], s[0:1]
	v_fma_f64 v[76:77], -v[34:35], v[46:47], 1.0
	v_add_f64 v[80:81], -v[58:59], 1.0
	v_fma_f64 v[42:43], v[28:29], v[42:43], s[10:11]
	v_fma_f64 v[60:61], -v[38:39], v[48:49], 1.0
	s_mov_b32 s10, 0x19f4ec90
	s_mov_b32 s11, 0x3efa01a0
	v_fma_f64 v[44:45], v[44:45], v[56:57], v[44:45]
	v_fma_f64 v[56:57], v[40:41], v[62:63], s[0:1]
	s_mov_b32 s0, 0x11110bb3
	s_mov_b32 s1, 0x3f811111
	v_mul_f64 v[62:63], v[10:11], -v[28:29]
	v_fma_f64 v[52:53], v[28:29], v[52:53], s[10:11]
	v_add_f64 v[68:69], -v[66:67], 1.0
	v_fma_f64 v[50:51], v[40:41], v[50:51], s[0:1]
	v_fma_f64 v[46:47], v[46:47], v[76:77], v[46:47]
	v_add_f64 v[64:65], v[80:81], -v[64:65]
	v_fma_f64 v[42:43], v[28:29], v[42:43], s[0:1]
	v_fma_f64 v[48:49], v[48:49], v[60:61], v[48:49]
	v_mul_f64 v[60:61], v[14:15], 0.5
	v_fma_f64 v[70:71], -v[32:33], v[44:45], 1.0
	v_fma_f64 v[56:57], v[40:41], v[56:57], s[10:11]
	s_mov_b32 s10, 0x16c16967
	s_mov_b32 s11, 0xbf56c16c
	v_fma_f64 v[52:53], v[28:29], v[52:53], s[10:11]
	v_add_f64 v[54:55], v[68:69], -v[54:55]
	v_div_scale_f64 v[68:69], s0, s[2:3], v[16:17], s[2:3]
	v_fma_f64 v[50:51], v[74:75], v[50:51], v[72:73]
	v_mul_f64 v[72:73], v[28:29], v[28:29]
	v_fma_f64 v[78:79], -v[38:39], v[48:49], 1.0
	v_fma_f64 v[42:43], v[62:63], v[42:43], v[60:61]
	v_div_scale_f64 v[60:61], vcc_lo, v[30:31], v[36:37], v[30:31]
	v_fma_f64 v[44:45], v[44:45], v[70:71], v[44:45]
	v_div_scale_f64 v[70:71], s1, v[22:23], v[26:27], v[22:23]
	v_fma_f64 v[56:57], v[40:41], v[56:57], s[10:11]
	s_mov_b32 s10, 0x55555555
	s_mov_b32 s11, 0x3fa55555
	v_fma_f64 v[54:55], v[10:11], -v[14:15], v[54:55]
	v_fma_f64 v[52:53], v[28:29], v[52:53], s[10:11]
	v_fma_f64 v[50:51], v[40:41], v[50:51], -v[20:21]
	v_fma_f64 v[20:21], v[18:19], -v[20:21], v[64:65]
	v_fma_f64 v[48:49], v[48:49], v[78:79], v[48:49]
	v_fma_f64 v[14:15], v[28:29], v[42:43], -v[14:15]
	v_mul_f64 v[42:43], v[68:69], v[46:47]
	v_mul_f64 v[78:79], v[40:41], v[40:41]
	;; [unrolled: 1-line block ×3, first 2 shown]
	v_fma_f64 v[40:41], v[40:41], v[56:57], s[10:11]
	s_mov_b32 s11, 0xbfc55555
	v_fma_f64 v[52:53], v[72:73], v[52:53], v[54:55]
	v_fma_f64 v[50:51], v[74:75], s[10:11], v[50:51]
	v_mul_f64 v[76:77], v[70:71], v[48:49]
	v_fma_f64 v[14:15], v[62:63], s[10:11], v[14:15]
	v_fma_f64 v[34:35], -v[34:35], v[42:43], v[68:69]
	v_fma_f64 v[32:33], -v[32:33], v[28:29], v[60:61]
	v_fma_f64 v[20:21], v[78:79], v[40:41], v[20:21]
	v_add_f64 v[40:41], v[66:67], v[52:53]
	v_add_f64 v[18:19], v[18:19], -v[50:51]
	v_fma_f64 v[38:39], -v[38:39], v[76:77], v[70:71]
	v_add_f64 v[10:11], v[10:11], -v[14:15]
	v_div_fmas_f64 v[14:15], v[32:33], v[44:45], v[28:29]
	s_mov_b32 vcc_lo, s0
	v_cmp_class_f64_e64 s0, v[4:5], 0x1f8
	v_div_fmas_f64 v[28:29], v[34:35], v[46:47], v[42:43]
	s_mov_b32 vcc_lo, s1
	v_add_f64 v[20:21], v[58:59], v[20:21]
	v_and_b32_e32 v4, 1, v25
	v_and_b32_e32 v34, 1, v24
	v_xor_b32_e32 v19, 0x80000000, v19
	v_cmp_eq_u32_e64 s1, 0, v4
	v_lshlrev_b32_e32 v4, 30, v25
	v_and_b32_e32 v4, 0x80000000, v4
	v_div_fmas_f64 v[32:33], v[38:39], v[48:49], v[76:77]
	v_cmp_eq_u32_e32 vcc_lo, 0, v34
	v_div_fixup_f64 v[14:15], v[14:15], v[36:37], v[30:31]
	v_cndmask_b32_e32 v10, v40, v10, vcc_lo
	v_cndmask_b32_e64 v19, v19, v21, s1
	v_cndmask_b32_e64 v18, v18, v20, s1
	v_xor_b32_e32 v19, v19, v4
	v_cndmask_b32_e64 v18, 0, v18, s0
	v_cndmask_b32_e64 v4, 0, v10, s0
	v_lshlrev_b32_e32 v10, 30, v24
	v_cndmask_b32_e64 v19, 0x7ff80000, v19, s0
	v_xor_b32_e32 v5, v10, v5
	v_div_fixup_f64 v[22:23], v[32:33], v[26:27], v[22:23]
	v_cndmask_b32_e32 v10, v41, v11, vcc_lo
	v_add_f64 v[14:15], v[14:15], 1.0
	v_and_b32_e32 v5, 0x80000000, v5
	v_xor_b32_e32 v5, v10, v5
	v_div_fixup_f64 v[10:11], v[28:29], v[16:17], s[2:3]
	v_cndmask_b32_e64 v5, 0x7ff80000, v5, s0
	v_mul_f64 v[18:19], v[22:23], v[18:19]
	v_fma_f64 v[4:5], v[14:15], v[4:5], -v[18:19]
	v_mul_f64 v[10:11], v[10:11], v[4:5]
.LBB7_158:
	s_or_b32 exec_lo, exec_lo, s8
.LBB7_159:
	s_or_b32 exec_lo, exec_lo, s7
.LBB7_160:
	s_or_b32 exec_lo, exec_lo, s6
	global_store_dwordx2 v0, v[6:7], s[4:5]
	global_store_dwordx2 v1, v[8:9], s[4:5]
	;; [unrolled: 1-line block ×4, first 2 shown]
	s_endpgm
.LBB7_161:
	v_mov_b32_e32 v0, 0
	v_mov_b32_e32 v2, 0
	s_branch .LBB7_167
.LBB7_162:
	v_mov_b32_e32 v0, 0
	v_mov_b32_e32 v2, 0
	s_branch .LBB7_187
.LBB7_163:
	v_mov_b32_e32 v0, 0
	v_mov_b32_e32 v2, 0
	v_mov_b32_e32 v1, v15
	s_mov_b32 s31, 0
.LBB7_164:
	s_and_b32 s33, s33, 3
	s_cmp_eq_u32 s33, 0
	s_cbranch_scc1 .LBB7_167
; %bb.165:
	s_lshl_b32 s0, s31, 3
	s_mul_i32 s20, s31, 12
	s_add_u32 s0, s2, s0
	s_addc_u32 s1, s3, 0
	s_add_u32 s0, s0, 0xc4
	s_addc_u32 s1, s1, 0
	s_add_u32 s20, s2, s20
	s_addc_u32 s21, s3, 0
	.p2align	6
.LBB7_166:                              ; =>This Inner Loop Header: Depth=1
	s_clause 0x1
	s_load_dwordx2 s[34:35], s[20:21], 0x4
	s_load_dword s31, s[20:21], 0xc
	s_load_dwordx2 s[36:37], s[0:1], 0x0
	s_add_u32 s20, s20, 12
	s_addc_u32 s21, s21, 0
	s_add_u32 s0, s0, 8
	s_addc_u32 s1, s1, 0
	s_add_i32 s33, s33, -1
	s_cmp_lg_u32 s33, 0
	s_waitcnt lgkmcnt(0)
	v_mul_hi_u32 v3, s35, v1
	v_add_nc_u32_e32 v3, v1, v3
	v_lshrrev_b32_e32 v4, s31, v3
	v_mul_lo_u32 v3, v4, s34
	v_sub_nc_u32_e32 v3, v1, v3
	v_mad_u64_u32 v[0:1], null, v3, s36, v[0:1]
	v_mad_u64_u32 v[2:3], null, v3, s37, v[2:3]
	v_mov_b32_e32 v1, v4
	s_cbranch_scc1 .LBB7_166
.LBB7_167:
	s_cbranch_execnz .LBB7_170
.LBB7_168:
	s_waitcnt lgkmcnt(0)
	v_mul_hi_u32 v0, s13, v15
	s_andn2_b32 vcc_lo, exec_lo, s26
	v_add_nc_u32_e32 v0, v15, v0
	v_lshrrev_b32_e32 v1, s14, v0
	v_mul_lo_u32 v0, v1, s12
	v_sub_nc_u32_e32 v2, v15, v0
	v_mul_lo_u32 v0, v2, s8
	v_mul_lo_u32 v2, v2, s9
	s_cbranch_vccnz .LBB7_170
; %bb.169:
	v_mul_hi_u32 v3, s16, v1
	v_add_nc_u32_e32 v3, v1, v3
	v_lshrrev_b32_e32 v3, s17, v3
	v_mul_lo_u32 v3, v3, s15
	v_sub_nc_u32_e32 v3, v1, v3
	v_mad_u64_u32 v[0:1], null, v3, s10, v[0:1]
	v_mad_u64_u32 v[2:3], null, v3, s11, v[2:3]
.LBB7_170:
	s_waitcnt lgkmcnt(0)
	global_load_dwordx2 v[1:2], v2, s[6:7]
	v_mov_b32_e32 v3, 0
	v_mov_b32_e32 v4, 0x7ff80000
	s_mov_b32 s31, exec_lo
	s_waitcnt vmcnt(0)
	v_cmpx_neq_f64_e64 0x7ff00000, |v[1:2]|
	s_cbranch_execz .LBB7_216
; %bb.171:
	v_mov_b32_e32 v3, 0
	v_mov_b32_e32 v4, 0
	s_mov_b32 s0, 0x872b020c
	s_mov_b32 s1, 0x4059f916
	s_mov_b32 s33, exec_lo
	v_cmpx_nlt_f64_e32 s[0:1], v[1:2]
	s_cbranch_execz .LBB7_215
; %bb.172:
	s_mov_b32 s1, 0xc000b851
	s_mov_b32 s0, 0xeb851eb8
                                        ; implicit-def: $vgpr3_vgpr4
	v_cmp_ngt_f64_e32 vcc_lo, s[0:1], v[1:2]
	s_and_saveexec_b32 s1, vcc_lo
	s_xor_b32 s20, exec_lo, s1
	s_cbranch_execz .LBB7_180
; %bb.173:
	s_mov_b32 s1, 0x4000b851
	v_mov_b32_e32 v3, 0
	v_cmp_nle_f64_e64 s21, s[0:1], v[1:2]
	v_cmp_le_f64_e32 vcc_lo, s[0:1], v[1:2]
	v_mov_b32_e32 v4, 0
	s_mov_b32 s0, s21
	s_and_saveexec_b32 s34, vcc_lo
	s_cbranch_execz .LBB7_175
; %bb.174:
	v_cmp_gt_f64_e32 vcc_lo, 0x10000000, v[1:2]
	s_mov_b32 s0, 0x2537b658
	s_mov_b32 s36, 0x2624d31
	;; [unrolled: 1-line block ×4, first 2 shown]
	v_cndmask_b32_e64 v3, 0, 0x100, vcc_lo
	v_ldexp_f64 v[3:4], v[1:2], v3
	v_rsq_f64_e32 v[5:6], v[3:4]
	v_mul_f64 v[7:8], v[3:4], v[5:6]
	v_mul_f64 v[5:6], v[5:6], 0.5
	v_fma_f64 v[9:10], -v[5:6], v[7:8], 0.5
	v_fma_f64 v[7:8], v[7:8], v[9:10], v[7:8]
	v_fma_f64 v[5:6], v[5:6], v[9:10], v[5:6]
	v_fma_f64 v[9:10], -v[7:8], v[7:8], v[3:4]
	v_fma_f64 v[7:8], v[9:10], v[5:6], v[7:8]
	v_fma_f64 v[9:10], -v[7:8], v[7:8], v[3:4]
	v_fma_f64 v[5:6], v[9:10], v[5:6], v[7:8]
	v_cndmask_b32_e64 v7, 0, 0xffffff80, vcc_lo
	v_cmp_class_f64_e64 vcc_lo, v[3:4], 0x260
	v_ldexp_f64 v[5:6], v[5:6], v7
	v_add_f64 v[7:8], v[1:2], v[1:2]
	v_cndmask_b32_e32 v4, v6, v4, vcc_lo
	v_cndmask_b32_e32 v3, v5, v3, vcc_lo
	v_mul_f64 v[5:6], v[7:8], v[3:4]
	v_div_scale_f64 v[7:8], null, 0x40080000, 0x40080000, v[5:6]
	v_div_scale_f64 v[13:14], vcc_lo, v[5:6], 0x40080000, v[5:6]
	v_rcp_f64_e32 v[9:10], v[7:8]
	v_fma_f64 v[11:12], -v[7:8], v[9:10], 1.0
	v_fma_f64 v[9:10], v[9:10], v[11:12], v[9:10]
	v_fma_f64 v[11:12], -v[7:8], v[9:10], 1.0
	v_fma_f64 v[9:10], v[9:10], v[11:12], v[9:10]
	v_mul_f64 v[11:12], v[13:14], v[9:10]
	v_fma_f64 v[7:8], -v[7:8], v[11:12], v[13:14]
	v_div_fmas_f64 v[7:8], v[7:8], v[9:10], v[11:12]
	v_div_fixup_f64 v[5:6], v[7:8], 0x40080000, v[5:6]
	v_div_scale_f64 v[7:8], null, v[5:6], v[5:6], 1.0
	v_div_scale_f64 v[13:14], vcc_lo, 1.0, v[5:6], 1.0
	v_rcp_f64_e32 v[9:10], v[7:8]
	v_fma_f64 v[11:12], -v[7:8], v[9:10], 1.0
	v_fma_f64 v[9:10], v[9:10], v[11:12], v[9:10]
	v_fma_f64 v[11:12], -v[7:8], v[9:10], 1.0
	v_fma_f64 v[9:10], v[9:10], v[11:12], v[9:10]
	v_mul_f64 v[11:12], v[13:14], v[9:10]
	v_fma_f64 v[7:8], -v[7:8], v[11:12], v[13:14]
	v_div_fmas_f64 v[7:8], v[7:8], v[9:10], v[11:12]
	v_cmp_gt_f64_e32 vcc_lo, 0x10000000, v[3:4]
	v_div_fixup_f64 v[7:8], v[7:8], v[5:6], 1.0
	v_cndmask_b32_e64 v20, 0, 0x100, vcc_lo
	v_ldexp_f64 v[3:4], v[3:4], v20
	v_fma_f64 v[9:10], v[7:8], 0, s[36:37]
	v_fma_f64 v[11:12], v[7:8], 0, s[0:1]
	s_mov_b32 s0, 0x652b82fe
	s_mov_b32 s1, 0x3ff71547
	;; [unrolled: 1-line block ×3, first 2 shown]
	v_mul_f64 v[13:14], v[5:6], s[0:1]
	s_mov_b32 s0, 0x871a9067
	s_mov_b32 s1, 0x402803e3
	s_mov_b32 s37, 0x402d8334
	v_fma_f64 v[9:10], v[7:8], v[9:10], s[36:37]
	v_fma_f64 v[11:12], v[7:8], v[11:12], s[0:1]
	s_mov_b32 s0, 0xde2e1e3
	s_mov_b32 s36, 0xb04d51a0
	;; [unrolled: 1-line block ×3, first 2 shown]
	v_rndne_f64_e32 v[13:14], v[13:14]
	s_mov_b32 s37, 0x405520e3
	v_fma_f64 v[9:10], v[7:8], v[9:10], s[36:37]
	v_fma_f64 v[11:12], v[7:8], v[11:12], s[0:1]
	s_mov_b32 s0, 0xfefa39ef
	s_mov_b32 s1, 0xbfe62e42
	;; [unrolled: 1-line block ×3, first 2 shown]
	v_fma_f64 v[16:17], v[13:14], s[0:1], v[5:6]
	s_mov_b32 s0, 0xee40073c
	s_mov_b32 s1, 0x406502da
	;; [unrolled: 1-line block ×3, first 2 shown]
	v_fma_f64 v[9:10], v[7:8], v[9:10], s[36:37]
	v_fma_f64 v[11:12], v[7:8], v[11:12], s[0:1]
	s_mov_b32 s0, 0x3b39803f
	s_mov_b32 s1, 0xbc7abc9e
	;; [unrolled: 1-line block ×3, first 2 shown]
	v_fma_f64 v[16:17], v[13:14], s[0:1], v[16:17]
	s_mov_b32 s0, 0x5ba1fddf
	s_mov_b32 s1, 0x4063f834
	;; [unrolled: 1-line block ×3, first 2 shown]
	v_fma_f64 v[9:10], v[7:8], v[9:10], s[36:37]
	v_fma_f64 v[11:12], v[7:8], v[11:12], s[0:1]
	s_mov_b32 s0, 0xfca7ab0c
	s_mov_b32 s36, 0x6a5dcb37
	;; [unrolled: 1-line block ×4, first 2 shown]
	v_fma_f64 v[18:19], v[16:17], s[36:37], s[0:1]
	s_mov_b32 s0, 0x4f4cea4f
	s_mov_b32 s36, 0xee91d35f
	;; [unrolled: 1-line block ×4, first 2 shown]
	v_fma_f64 v[9:10], v[7:8], v[9:10], s[36:37]
	v_fma_f64 v[11:12], v[7:8], v[11:12], s[0:1]
	s_mov_b32 s0, 0x623fde64
	s_mov_b32 s1, 0x3ec71dee
	;; [unrolled: 1-line block ×4, first 2 shown]
	v_fma_f64 v[18:19], v[16:17], v[18:19], s[0:1]
	s_mov_b32 s0, 0x5c2a0f4d
	s_mov_b32 s1, 0x402c0d8d
	v_fma_f64 v[9:10], v[7:8], v[9:10], s[36:37]
	v_fma_f64 v[11:12], v[7:8], v[11:12], s[0:1]
	s_mov_b32 s0, 0x7c89e6b0
	s_mov_b32 s1, 0x3efa0199
	v_fma_f64 v[18:19], v[16:17], v[18:19], s[0:1]
	s_mov_b32 s0, 0x14761f6e
	s_mov_b32 s1, 0x3f2a01a0
	v_fma_f64 v[9:10], v[7:8], v[9:10], 1.0
	v_fma_f64 v[7:8], v[7:8], v[11:12], 1.0
	v_rsq_f64_e32 v[11:12], v[3:4]
	v_fma_f64 v[18:19], v[16:17], v[18:19], s[0:1]
	s_mov_b32 s0, 0x1852b7b0
	s_mov_b32 s1, 0x3f56c16c
	v_div_scale_f64 v[20:21], null, v[9:10], v[9:10], v[7:8]
	v_mul_f64 v[22:23], v[3:4], v[11:12]
	v_mul_f64 v[11:12], v[11:12], 0.5
	v_fma_f64 v[18:19], v[16:17], v[18:19], s[0:1]
	s_mov_b32 s0, 0x11122322
	s_mov_b32 s1, 0x3f811111
	v_rcp_f64_e32 v[24:25], v[20:21]
	v_fma_f64 v[26:27], -v[11:12], v[22:23], 0.5
	v_fma_f64 v[18:19], v[16:17], v[18:19], s[0:1]
	s_mov_b32 s0, 0x555502a1
	s_mov_b32 s1, 0x3fa55555
	v_fma_f64 v[28:29], -v[20:21], v[24:25], 1.0
	v_fma_f64 v[22:23], v[22:23], v[26:27], v[22:23]
	v_fma_f64 v[11:12], v[11:12], v[26:27], v[11:12]
	;; [unrolled: 1-line block ×3, first 2 shown]
	s_mov_b32 s0, 0x55555511
	s_mov_b32 s1, 0x3fc55555
	v_fma_f64 v[24:25], v[24:25], v[28:29], v[24:25]
	v_fma_f64 v[26:27], -v[22:23], v[22:23], v[3:4]
	v_fma_f64 v[18:19], v[16:17], v[18:19], s[0:1]
	s_mov_b32 s0, 11
	s_mov_b32 s1, 0x3fe00000
	v_fma_f64 v[28:29], -v[20:21], v[24:25], 1.0
	v_fma_f64 v[22:23], v[26:27], v[11:12], v[22:23]
	v_fma_f64 v[18:19], v[16:17], v[18:19], s[0:1]
	v_div_scale_f64 v[26:27], s0, v[7:8], v[9:10], v[7:8]
	v_cmp_class_f64_e64 s1, v[3:4], 0x260
	v_fma_f64 v[24:25], v[24:25], v[28:29], v[24:25]
	v_fma_f64 v[28:29], -v[22:23], v[22:23], v[3:4]
	v_fma_f64 v[18:19], v[16:17], v[18:19], 1.0
	v_mul_f64 v[30:31], v[26:27], v[24:25]
	v_fma_f64 v[11:12], v[28:29], v[11:12], v[22:23]
	v_cvt_i32_f64_e32 v22, v[13:14]
	v_fma_f64 v[13:14], v[16:17], v[18:19], 1.0
	v_cndmask_b32_e64 v18, 0, 0xffffff80, vcc_lo
	s_mov_b32 vcc_lo, s0
	v_cmp_ngt_f64_e64 s0, 0xc090cc00, v[5:6]
	v_fma_f64 v[16:17], -v[20:21], v[30:31], v[26:27]
	v_ldexp_f64 v[11:12], v[11:12], v18
	v_ldexp_f64 v[13:14], v[13:14], v22
	v_div_fmas_f64 v[16:17], v[16:17], v[24:25], v[30:31]
	v_cmp_nlt_f64_e32 vcc_lo, 0x40900000, v[5:6]
	v_cndmask_b32_e64 v4, v12, v4, s1
	v_cndmask_b32_e64 v3, v11, v3, s1
	v_add_f64 v[3:4], v[3:4], v[3:4]
	v_div_fixup_f64 v[5:6], v[16:17], v[9:10], v[7:8]
	v_cndmask_b32_e32 v12, 0x7ff00000, v14, vcc_lo
	s_and_b32 vcc_lo, s0, vcc_lo
	v_cndmask_b32_e32 v7, 0, v13, vcc_lo
	v_cndmask_b32_e64 v8, 0, v12, s0
	s_mov_b32 s0, 0x50429b6d
	s_mov_b32 s1, 0x3fe20dd7
	v_mul_f64 v[3:4], v[3:4], v[7:8]
	v_mul_f64 v[5:6], v[5:6], s[0:1]
	s_mov_b32 s0, 0xfd0a823a
	s_mov_b32 s1, 0x4020a402
	v_div_scale_f64 v[7:8], null, v[3:4], v[3:4], v[5:6]
	v_rcp_f64_e32 v[9:10], v[7:8]
	v_fma_f64 v[11:12], -v[7:8], v[9:10], 1.0
	v_fma_f64 v[9:10], v[9:10], v[11:12], v[9:10]
	v_fma_f64 v[11:12], -v[7:8], v[9:10], 1.0
	v_fma_f64 v[9:10], v[9:10], v[11:12], v[9:10]
	v_div_scale_f64 v[11:12], vcc_lo, v[5:6], v[3:4], v[5:6]
	v_mul_f64 v[13:14], v[11:12], v[9:10]
	v_fma_f64 v[7:8], -v[7:8], v[13:14], v[11:12]
	v_div_fmas_f64 v[7:8], v[7:8], v[9:10], v[13:14]
	v_cmp_nlt_f64_e32 vcc_lo, s[0:1], v[1:2]
	s_andn2_b32 s0, s21, exec_lo
	v_div_fixup_f64 v[3:4], v[7:8], v[3:4], v[5:6]
	s_and_b32 s1, vcc_lo, exec_lo
	s_or_b32 s0, s0, s1
.LBB7_175:
	s_or_b32 exec_lo, exec_lo, s34
	s_and_saveexec_b32 s1, s0
	s_cbranch_execz .LBB7_179
; %bb.176:
	v_mul_f64 v[5:6], v[1:2], v[1:2]
	v_mov_b32_e32 v11, 0
	v_mov_b32_e32 v13, 0
	;; [unrolled: 1-line block ×6, first 2 shown]
	s_mov_b32 s34, 0
	v_mul_f64 v[7:8], v[1:2], v[5:6]
	v_mov_b32_e32 v5, 0
	v_mov_b32_e32 v6, 0x3ff00000
.LBB7_177:                              ; =>This Inner Loop Header: Depth=1
	v_mul_f64 v[11:12], v[7:8], v[11:12]
	v_add_f64 v[13:14], v[13:14], 1.0
	v_mul_f64 v[1:2], v[7:8], v[1:2]
	v_div_scale_f64 v[16:17], null, v[13:14], v[13:14], v[11:12]
	v_div_scale_f64 v[22:23], vcc_lo, v[11:12], v[13:14], v[11:12]
	v_rcp_f64_e32 v[18:19], v[16:17]
	v_fma_f64 v[20:21], -v[16:17], v[18:19], 1.0
	v_fma_f64 v[18:19], v[18:19], v[20:21], v[18:19]
	v_fma_f64 v[20:21], -v[16:17], v[18:19], 1.0
	v_fma_f64 v[18:19], v[18:19], v[20:21], v[18:19]
	v_mul_f64 v[20:21], v[22:23], v[18:19]
	v_fma_f64 v[16:17], -v[16:17], v[20:21], v[22:23]
	v_div_fmas_f64 v[16:17], v[16:17], v[18:19], v[20:21]
	v_add_f64 v[18:19], v[13:14], 1.0
	v_div_fixup_f64 v[11:12], v[16:17], v[13:14], v[11:12]
	v_div_scale_f64 v[13:14], null, v[18:19], v[18:19], v[1:2]
	v_div_scale_f64 v[28:29], vcc_lo, v[1:2], v[18:19], v[1:2]
	v_div_scale_f64 v[16:17], null, v[18:19], v[18:19], v[11:12]
	v_rcp_f64_e32 v[20:21], v[13:14]
	v_rcp_f64_e32 v[22:23], v[16:17]
	v_fma_f64 v[24:25], -v[13:14], v[20:21], 1.0
	v_fma_f64 v[26:27], -v[16:17], v[22:23], 1.0
	v_fma_f64 v[20:21], v[20:21], v[24:25], v[20:21]
	v_fma_f64 v[22:23], v[22:23], v[26:27], v[22:23]
	v_fma_f64 v[24:25], -v[13:14], v[20:21], 1.0
	v_fma_f64 v[26:27], -v[16:17], v[22:23], 1.0
	v_fma_f64 v[20:21], v[20:21], v[24:25], v[20:21]
	v_div_scale_f64 v[24:25], s0, v[11:12], v[18:19], v[11:12]
	v_fma_f64 v[22:23], v[22:23], v[26:27], v[22:23]
	v_mul_f64 v[26:27], v[28:29], v[20:21]
	v_mul_f64 v[30:31], v[24:25], v[22:23]
	v_fma_f64 v[13:14], -v[13:14], v[26:27], v[28:29]
	v_fma_f64 v[16:17], -v[16:17], v[30:31], v[24:25]
	v_div_fmas_f64 v[20:21], v[13:14], v[20:21], v[26:27]
	s_mov_b32 vcc_lo, s0
	v_div_fmas_f64 v[13:14], v[16:17], v[22:23], v[30:31]
	v_div_fixup_f64 v[1:2], v[20:21], v[18:19], v[1:2]
	v_div_fixup_f64 v[11:12], v[13:14], v[18:19], v[11:12]
	v_add_f64 v[13:14], v[18:19], 1.0
	v_add_f64 v[5:6], v[5:6], v[11:12]
	v_div_scale_f64 v[16:17], null, v[13:14], v[13:14], v[1:2]
	v_div_scale_f64 v[28:29], vcc_lo, v[1:2], v[13:14], v[1:2]
	v_div_scale_f64 v[18:19], null, v[5:6], v[5:6], v[11:12]
	v_rcp_f64_e32 v[20:21], v[16:17]
	v_rcp_f64_e32 v[22:23], v[18:19]
	v_fma_f64 v[24:25], -v[16:17], v[20:21], 1.0
	v_fma_f64 v[26:27], -v[18:19], v[22:23], 1.0
	v_fma_f64 v[20:21], v[20:21], v[24:25], v[20:21]
	v_fma_f64 v[22:23], v[22:23], v[26:27], v[22:23]
	v_fma_f64 v[24:25], -v[16:17], v[20:21], 1.0
	v_fma_f64 v[26:27], -v[18:19], v[22:23], 1.0
	v_fma_f64 v[20:21], v[20:21], v[24:25], v[20:21]
	v_div_scale_f64 v[24:25], s0, v[11:12], v[5:6], v[11:12]
	v_fma_f64 v[22:23], v[22:23], v[26:27], v[22:23]
	v_mul_f64 v[26:27], v[28:29], v[20:21]
	v_mul_f64 v[30:31], v[24:25], v[22:23]
	v_fma_f64 v[16:17], -v[16:17], v[26:27], v[28:29]
	v_fma_f64 v[18:19], -v[18:19], v[30:31], v[24:25]
	v_div_fmas_f64 v[16:17], v[16:17], v[20:21], v[26:27]
	s_mov_b32 vcc_lo, s0
	v_div_fmas_f64 v[18:19], v[18:19], v[22:23], v[30:31]
	v_div_fixup_f64 v[1:2], v[16:17], v[13:14], v[1:2]
	v_div_fixup_f64 v[18:19], v[18:19], v[5:6], v[11:12]
	v_add_f64 v[9:10], v[9:10], v[1:2]
	v_cmp_nlt_f64_e64 s0, 0x3cb00000, |v[18:19]|
	s_or_b32 s34, s0, s34
	s_andn2_b32 exec_lo, exec_lo, s34
	s_cbranch_execnz .LBB7_177
; %bb.178:
	s_or_b32 exec_lo, exec_lo, s34
	s_mov_b32 s34, 0x42b70f8b
	s_mov_b32 s35, 0xbfd0907f
	v_mul_f64 v[1:2], v[9:10], s[34:35]
	s_mov_b32 s34, 0x962715b8
	s_mov_b32 s35, 0x3fd6b8c7
	v_fma_f64 v[1:2], v[5:6], s[34:35], v[1:2]
	v_cndmask_b32_e64 v4, v4, v2, s21
	v_cndmask_b32_e64 v3, v3, v1, s21
.LBB7_179:
	s_or_b32 exec_lo, exec_lo, s1
                                        ; implicit-def: $vgpr1_vgpr2
.LBB7_180:
	s_andn2_saveexec_b32 s34, s20
	s_cbranch_execz .LBB7_214
; %bb.181:
	v_cmp_lt_f64_e32 vcc_lo, 0x90000000, v[1:2]
	s_mov_b32 s1, 0x3fe921fb
	s_mov_b32 s0, 0x54442d18
                                        ; implicit-def: $vgpr16
	v_cndmask_b32_e64 v3, 0, 0x100, vcc_lo
	v_ldexp_f64 v[3:4], -v[1:2], v3
	v_mul_f64 v[1:2], v[1:2], -2.0
	v_rsq_f64_e32 v[5:6], v[3:4]
	v_mul_f64 v[7:8], v[3:4], v[5:6]
	v_mul_f64 v[5:6], v[5:6], 0.5
	v_fma_f64 v[9:10], -v[5:6], v[7:8], 0.5
	v_fma_f64 v[7:8], v[7:8], v[9:10], v[7:8]
	v_fma_f64 v[5:6], v[5:6], v[9:10], v[5:6]
	v_fma_f64 v[9:10], -v[7:8], v[7:8], v[3:4]
	v_fma_f64 v[7:8], v[9:10], v[5:6], v[7:8]
	v_fma_f64 v[9:10], -v[7:8], v[7:8], v[3:4]
	v_fma_f64 v[5:6], v[9:10], v[5:6], v[7:8]
	v_cndmask_b32_e64 v7, 0, 0xffffff80, vcc_lo
	v_cmp_class_f64_e64 vcc_lo, v[3:4], 0x260
	v_ldexp_f64 v[5:6], v[5:6], v7
	v_cndmask_b32_e32 v8, v6, v4, vcc_lo
	v_cndmask_b32_e32 v7, v5, v3, vcc_lo
	v_mul_f64 v[1:2], v[1:2], v[7:8]
	v_div_scale_f64 v[3:4], null, 0x40080000, 0x40080000, v[1:2]
	v_rcp_f64_e32 v[5:6], v[3:4]
	v_fma_f64 v[9:10], -v[3:4], v[5:6], 1.0
	v_fma_f64 v[5:6], v[5:6], v[9:10], v[5:6]
	v_fma_f64 v[9:10], -v[3:4], v[5:6], 1.0
	v_fma_f64 v[5:6], v[5:6], v[9:10], v[5:6]
	v_div_scale_f64 v[9:10], vcc_lo, v[1:2], 0x40080000, v[1:2]
	v_mul_f64 v[11:12], v[9:10], v[5:6]
	v_fma_f64 v[3:4], -v[3:4], v[11:12], v[9:10]
	v_div_fmas_f64 v[3:4], v[3:4], v[5:6], v[11:12]
                                        ; implicit-def: $vgpr5_vgpr6
	v_div_fixup_f64 v[13:14], v[3:4], 0x40080000, v[1:2]
                                        ; implicit-def: $vgpr3_vgpr4
	v_add_f64 v[1:2], v[13:14], s[0:1]
	v_cmp_ngt_f64_e64 s20, 0x41d00000, |v[1:2]|
	s_and_saveexec_b32 s1, s20
	s_xor_b32 s21, exec_lo, s1
	s_cbranch_execz .LBB7_203
; %bb.182:
	v_ldexp_f64 v[3:4], |v[1:2]|, 0xffffff80
	v_cmp_le_f64_e64 vcc_lo, 0x7b000000, |v[1:2]|
	v_trig_preop_f64 v[5:6], |v[1:2]|, 0
	v_and_b32_e32 v9, 0x7fffffff, v2
	v_trig_preop_f64 v[22:23], |v[1:2]|, 2
	v_mov_b32_e32 v30, 0
	s_mov_b32 s1, 0x3ff921fb
	s_mov_b32 s36, 0x33145c07
	;; [unrolled: 1-line block ×3, first 2 shown]
	v_cndmask_b32_e32 v4, v9, v4, vcc_lo
	v_cndmask_b32_e32 v3, v1, v3, vcc_lo
	v_trig_preop_f64 v[9:10], |v[1:2]|, 1
	v_mul_f64 v[11:12], v[5:6], v[3:4]
	v_mul_f64 v[28:29], v[22:23], v[3:4]
	;; [unrolled: 1-line block ×3, first 2 shown]
	v_fma_f64 v[5:6], v[5:6], v[3:4], -v[11:12]
	v_fma_f64 v[9:10], v[9:10], v[3:4], -v[16:17]
	;; [unrolled: 1-line block ×3, first 2 shown]
	v_add_f64 v[18:19], v[16:17], v[5:6]
	v_add_f64 v[20:21], v[18:19], -v[16:17]
	v_add_f64 v[26:27], v[11:12], v[18:19]
	v_add_f64 v[24:25], v[18:19], -v[20:21]
	v_add_f64 v[5:6], v[5:6], -v[20:21]
	v_ldexp_f64 v[20:21], v[26:27], -2
	v_add_f64 v[11:12], v[26:27], -v[11:12]
	v_add_f64 v[16:17], v[16:17], -v[24:25]
	v_add_f64 v[24:25], v[28:29], v[9:10]
	v_cmp_neq_f64_e64 vcc_lo, 0x7ff00000, |v[20:21]|
	v_add_f64 v[11:12], v[18:19], -v[11:12]
	v_add_f64 v[5:6], v[5:6], v[16:17]
	v_fract_f64_e32 v[16:17], v[20:21]
	v_add_f64 v[18:19], v[24:25], v[5:6]
	v_ldexp_f64 v[16:17], v[16:17], 2
	v_add_f64 v[20:21], v[11:12], v[18:19]
	v_cndmask_b32_e32 v17, 0, v17, vcc_lo
	v_cndmask_b32_e32 v16, 0, v16, vcc_lo
	v_add_f64 v[26:27], v[20:21], v[16:17]
	v_add_f64 v[11:12], v[20:21], -v[11:12]
	v_cmp_gt_f64_e32 vcc_lo, 0, v[26:27]
	v_add_f64 v[26:27], v[24:25], -v[28:29]
	v_add_f64 v[11:12], v[18:19], -v[11:12]
	v_cndmask_b32_e64 v31, 0, 0x40100000, vcc_lo
	v_add_f64 v[35:36], v[24:25], -v[26:27]
	v_add_f64 v[9:10], v[9:10], -v[26:27]
	v_add_f64 v[16:17], v[16:17], v[30:31]
	v_add_f64 v[31:32], v[18:19], -v[24:25]
	v_add_f64 v[26:27], v[28:29], -v[35:36]
	v_add_f64 v[33:34], v[20:21], v[16:17]
	;; [unrolled: 3-line block ×3, first 2 shown]
	v_cvt_i32_f64_e32 v33, v[33:34]
	v_add_f64 v[24:25], v[24:25], -v[37:38]
	v_cvt_f64_i32_e32 v[31:32], v33
	v_add_f64 v[5:6], v[5:6], v[24:25]
	v_add_f64 v[16:17], v[16:17], -v[31:32]
	v_add_f64 v[5:6], v[9:10], v[5:6]
	v_add_f64 v[9:10], v[20:21], v[16:17]
	;; [unrolled: 1-line block ×3, first 2 shown]
	v_add_f64 v[5:6], v[9:10], -v[16:17]
	v_cmp_le_f64_e32 vcc_lo, 0.5, v[9:10]
	v_add_f64 v[3:4], v[11:12], v[3:4]
	v_add_f64 v[5:6], v[20:21], -v[5:6]
	v_cndmask_b32_e64 v31, 0, 0x3ff00000, vcc_lo
	v_add_co_ci_u32_e64 v16, null, 0, v33, vcc_lo
	v_add_f64 v[3:4], v[3:4], v[5:6]
	v_add_f64 v[5:6], v[9:10], -v[30:31]
	v_add_f64 v[9:10], v[5:6], v[3:4]
	v_mul_f64 v[11:12], v[9:10], s[0:1]
	v_add_f64 v[5:6], v[9:10], -v[5:6]
	v_fma_f64 v[17:18], v[9:10], s[0:1], -v[11:12]
	v_add_f64 v[3:4], v[3:4], -v[5:6]
	v_fma_f64 v[5:6], v[9:10], s[36:37], v[17:18]
	v_fma_f64 v[5:6], v[3:4], s[0:1], v[5:6]
	v_add_f64 v[3:4], v[11:12], v[5:6]
	v_add_f64 v[9:10], v[3:4], -v[11:12]
	v_add_f64 v[5:6], v[5:6], -v[9:10]
	s_andn2_saveexec_b32 s0, s21
	s_cbranch_execz .LBB7_205
	s_branch .LBB7_204
.LBB7_183:
	v_mov_b32_e32 v0, 0
	v_mov_b32_e32 v2, 0
	;; [unrolled: 1-line block ×3, first 2 shown]
	s_mov_b32 s31, 0
.LBB7_184:
	s_and_b32 s33, s33, 3
	s_cmp_eq_u32 s33, 0
	s_cbranch_scc1 .LBB7_187
; %bb.185:
	s_lshl_b32 s0, s31, 3
	s_mul_i32 s20, s31, 12
	s_add_u32 s0, s2, s0
	s_addc_u32 s1, s3, 0
	s_add_u32 s0, s0, 0xc4
	s_addc_u32 s1, s1, 0
	;; [unrolled: 2-line block ×3, first 2 shown]
	.p2align	6
.LBB7_186:                              ; =>This Inner Loop Header: Depth=1
	s_clause 0x1
	s_load_dwordx2 s[34:35], s[20:21], 0x4
	s_load_dword s31, s[20:21], 0xc
	s_load_dwordx2 s[36:37], s[0:1], 0x0
	s_add_u32 s20, s20, 12
	s_addc_u32 s21, s21, 0
	s_add_u32 s0, s0, 8
	s_addc_u32 s1, s1, 0
	s_add_i32 s33, s33, -1
	s_cmp_lg_u32 s33, 0
	s_waitcnt lgkmcnt(0)
	v_mul_hi_u32 v3, s35, v1
	v_add_nc_u32_e32 v3, v1, v3
	v_lshrrev_b32_e32 v4, s31, v3
	v_mul_lo_u32 v3, v4, s34
	v_sub_nc_u32_e32 v3, v1, v3
	v_mad_u64_u32 v[0:1], null, v3, s36, v[0:1]
	v_mad_u64_u32 v[2:3], null, v3, s37, v[2:3]
	v_mov_b32_e32 v1, v4
	s_cbranch_scc1 .LBB7_186
.LBB7_187:
	s_cbranch_execnz .LBB7_190
.LBB7_188:
	s_waitcnt lgkmcnt(0)
	v_mul_hi_u32 v0, s13, v15
	s_andn2_b32 vcc_lo, exec_lo, s26
	v_add_nc_u32_e32 v0, v15, v0
	v_lshrrev_b32_e32 v1, s14, v0
	v_mul_lo_u32 v0, v1, s12
	v_sub_nc_u32_e32 v2, v15, v0
	v_mul_lo_u32 v0, v2, s8
	v_mul_lo_u32 v2, v2, s9
	s_cbranch_vccnz .LBB7_190
; %bb.189:
	v_mul_hi_u32 v3, s16, v1
	v_add_nc_u32_e32 v3, v1, v3
	v_lshrrev_b32_e32 v3, s17, v3
	v_mul_lo_u32 v3, v3, s15
	v_sub_nc_u32_e32 v3, v1, v3
	v_mad_u64_u32 v[0:1], null, v3, s10, v[0:1]
	v_mad_u64_u32 v[2:3], null, v3, s11, v[2:3]
.LBB7_190:
	s_waitcnt lgkmcnt(0)
	global_load_dwordx2 v[1:2], v2, s[6:7]
	v_mov_b32_e32 v3, 0
	v_mov_b32_e32 v4, 0x7ff80000
	s_mov_b32 s31, exec_lo
	s_waitcnt vmcnt(0)
	v_cmpx_neq_f64_e64 0x7ff00000, |v[1:2]|
	s_cbranch_execz .LBB7_250
; %bb.191:
	v_mov_b32_e32 v3, 0
	v_mov_b32_e32 v4, 0
	s_mov_b32 s0, 0x872b020c
	s_mov_b32 s1, 0x4059f916
	s_mov_b32 s33, exec_lo
	v_cmpx_nlt_f64_e32 s[0:1], v[1:2]
	s_cbranch_execz .LBB7_249
; %bb.192:
	s_mov_b32 s1, 0xc000b851
	s_mov_b32 s0, 0xeb851eb8
                                        ; implicit-def: $vgpr3_vgpr4
	v_cmp_ngt_f64_e32 vcc_lo, s[0:1], v[1:2]
	s_and_saveexec_b32 s1, vcc_lo
	s_xor_b32 s20, exec_lo, s1
	s_cbranch_execz .LBB7_200
; %bb.193:
	s_mov_b32 s1, 0x4000b851
	v_mov_b32_e32 v3, 0
	v_cmp_nle_f64_e64 s21, s[0:1], v[1:2]
	v_cmp_le_f64_e32 vcc_lo, s[0:1], v[1:2]
	v_mov_b32_e32 v4, 0
	s_mov_b32 s0, s21
	s_and_saveexec_b32 s34, vcc_lo
	s_cbranch_execz .LBB7_195
; %bb.194:
	v_cmp_gt_f64_e32 vcc_lo, 0x10000000, v[1:2]
	s_mov_b32 s0, 0x2537b658
	s_mov_b32 s36, 0x2624d31
	s_mov_b32 s1, 0x3fd62dae
	s_mov_b32 s37, 0x3fe229bc
	v_cndmask_b32_e64 v3, 0, 0x100, vcc_lo
	v_ldexp_f64 v[3:4], v[1:2], v3
	v_rsq_f64_e32 v[5:6], v[3:4]
	v_mul_f64 v[7:8], v[3:4], v[5:6]
	v_mul_f64 v[5:6], v[5:6], 0.5
	v_fma_f64 v[9:10], -v[5:6], v[7:8], 0.5
	v_fma_f64 v[7:8], v[7:8], v[9:10], v[7:8]
	v_fma_f64 v[5:6], v[5:6], v[9:10], v[5:6]
	v_fma_f64 v[9:10], -v[7:8], v[7:8], v[3:4]
	v_fma_f64 v[7:8], v[9:10], v[5:6], v[7:8]
	v_fma_f64 v[9:10], -v[7:8], v[7:8], v[3:4]
	v_fma_f64 v[5:6], v[9:10], v[5:6], v[7:8]
	v_cndmask_b32_e64 v7, 0, 0xffffff80, vcc_lo
	v_cmp_class_f64_e64 vcc_lo, v[3:4], 0x260
	v_ldexp_f64 v[5:6], v[5:6], v7
	v_add_f64 v[7:8], v[1:2], v[1:2]
	v_cndmask_b32_e32 v4, v6, v4, vcc_lo
	v_cndmask_b32_e32 v3, v5, v3, vcc_lo
	v_mul_f64 v[5:6], v[7:8], v[3:4]
	v_div_scale_f64 v[7:8], null, 0x40080000, 0x40080000, v[5:6]
	v_div_scale_f64 v[13:14], vcc_lo, v[5:6], 0x40080000, v[5:6]
	v_rcp_f64_e32 v[9:10], v[7:8]
	v_fma_f64 v[11:12], -v[7:8], v[9:10], 1.0
	v_fma_f64 v[9:10], v[9:10], v[11:12], v[9:10]
	v_fma_f64 v[11:12], -v[7:8], v[9:10], 1.0
	v_fma_f64 v[9:10], v[9:10], v[11:12], v[9:10]
	v_mul_f64 v[11:12], v[13:14], v[9:10]
	v_fma_f64 v[7:8], -v[7:8], v[11:12], v[13:14]
	v_div_fmas_f64 v[7:8], v[7:8], v[9:10], v[11:12]
	v_div_fixup_f64 v[5:6], v[7:8], 0x40080000, v[5:6]
	v_div_scale_f64 v[7:8], null, v[5:6], v[5:6], 1.0
	v_div_scale_f64 v[13:14], vcc_lo, 1.0, v[5:6], 1.0
	v_rcp_f64_e32 v[9:10], v[7:8]
	v_fma_f64 v[11:12], -v[7:8], v[9:10], 1.0
	v_fma_f64 v[9:10], v[9:10], v[11:12], v[9:10]
	v_fma_f64 v[11:12], -v[7:8], v[9:10], 1.0
	v_fma_f64 v[9:10], v[9:10], v[11:12], v[9:10]
	v_mul_f64 v[11:12], v[13:14], v[9:10]
	v_fma_f64 v[7:8], -v[7:8], v[11:12], v[13:14]
	v_div_fmas_f64 v[7:8], v[7:8], v[9:10], v[11:12]
	v_cmp_gt_f64_e32 vcc_lo, 0x10000000, v[3:4]
	v_div_fixup_f64 v[7:8], v[7:8], v[5:6], 1.0
	v_cndmask_b32_e64 v20, 0, 0x100, vcc_lo
	v_ldexp_f64 v[3:4], v[3:4], v20
	v_fma_f64 v[9:10], v[7:8], 0, s[36:37]
	v_fma_f64 v[11:12], v[7:8], 0, s[0:1]
	s_mov_b32 s0, 0x652b82fe
	s_mov_b32 s1, 0x3ff71547
	;; [unrolled: 1-line block ×3, first 2 shown]
	v_mul_f64 v[13:14], v[5:6], s[0:1]
	s_mov_b32 s0, 0x871a9067
	s_mov_b32 s1, 0x402803e3
	;; [unrolled: 1-line block ×3, first 2 shown]
	v_fma_f64 v[9:10], v[7:8], v[9:10], s[36:37]
	v_fma_f64 v[11:12], v[7:8], v[11:12], s[0:1]
	s_mov_b32 s0, 0xde2e1e3
	s_mov_b32 s36, 0xb04d51a0
	;; [unrolled: 1-line block ×3, first 2 shown]
	v_rndne_f64_e32 v[13:14], v[13:14]
	s_mov_b32 s37, 0x405520e3
	v_fma_f64 v[9:10], v[7:8], v[9:10], s[36:37]
	v_fma_f64 v[11:12], v[7:8], v[11:12], s[0:1]
	s_mov_b32 s0, 0xfefa39ef
	s_mov_b32 s1, 0xbfe62e42
	;; [unrolled: 1-line block ×3, first 2 shown]
	v_fma_f64 v[16:17], v[13:14], s[0:1], v[5:6]
	s_mov_b32 s0, 0xee40073c
	s_mov_b32 s1, 0x406502da
	;; [unrolled: 1-line block ×3, first 2 shown]
	v_fma_f64 v[9:10], v[7:8], v[9:10], s[36:37]
	v_fma_f64 v[11:12], v[7:8], v[11:12], s[0:1]
	s_mov_b32 s0, 0x3b39803f
	s_mov_b32 s1, 0xbc7abc9e
	;; [unrolled: 1-line block ×3, first 2 shown]
	v_fma_f64 v[16:17], v[13:14], s[0:1], v[16:17]
	s_mov_b32 s0, 0x5ba1fddf
	s_mov_b32 s1, 0x4063f834
	;; [unrolled: 1-line block ×3, first 2 shown]
	v_fma_f64 v[9:10], v[7:8], v[9:10], s[36:37]
	v_fma_f64 v[11:12], v[7:8], v[11:12], s[0:1]
	s_mov_b32 s0, 0xfca7ab0c
	s_mov_b32 s36, 0x6a5dcb37
	;; [unrolled: 1-line block ×4, first 2 shown]
	v_fma_f64 v[18:19], v[16:17], s[36:37], s[0:1]
	s_mov_b32 s0, 0x4f4cea4f
	s_mov_b32 s36, 0xee91d35f
	;; [unrolled: 1-line block ×4, first 2 shown]
	v_fma_f64 v[9:10], v[7:8], v[9:10], s[36:37]
	v_fma_f64 v[11:12], v[7:8], v[11:12], s[0:1]
	s_mov_b32 s0, 0x623fde64
	s_mov_b32 s1, 0x3ec71dee
	;; [unrolled: 1-line block ×4, first 2 shown]
	v_fma_f64 v[18:19], v[16:17], v[18:19], s[0:1]
	s_mov_b32 s0, 0x5c2a0f4d
	s_mov_b32 s1, 0x402c0d8d
	v_fma_f64 v[9:10], v[7:8], v[9:10], s[36:37]
	v_fma_f64 v[11:12], v[7:8], v[11:12], s[0:1]
	s_mov_b32 s0, 0x7c89e6b0
	s_mov_b32 s1, 0x3efa0199
	v_fma_f64 v[18:19], v[16:17], v[18:19], s[0:1]
	s_mov_b32 s0, 0x14761f6e
	s_mov_b32 s1, 0x3f2a01a0
	v_fma_f64 v[9:10], v[7:8], v[9:10], 1.0
	v_fma_f64 v[7:8], v[7:8], v[11:12], 1.0
	v_rsq_f64_e32 v[11:12], v[3:4]
	v_fma_f64 v[18:19], v[16:17], v[18:19], s[0:1]
	s_mov_b32 s0, 0x1852b7b0
	s_mov_b32 s1, 0x3f56c16c
	v_div_scale_f64 v[20:21], null, v[9:10], v[9:10], v[7:8]
	v_mul_f64 v[22:23], v[3:4], v[11:12]
	v_mul_f64 v[11:12], v[11:12], 0.5
	v_fma_f64 v[18:19], v[16:17], v[18:19], s[0:1]
	s_mov_b32 s0, 0x11122322
	s_mov_b32 s1, 0x3f811111
	v_rcp_f64_e32 v[24:25], v[20:21]
	v_fma_f64 v[26:27], -v[11:12], v[22:23], 0.5
	v_fma_f64 v[18:19], v[16:17], v[18:19], s[0:1]
	s_mov_b32 s0, 0x555502a1
	s_mov_b32 s1, 0x3fa55555
	v_fma_f64 v[28:29], -v[20:21], v[24:25], 1.0
	v_fma_f64 v[22:23], v[22:23], v[26:27], v[22:23]
	v_fma_f64 v[11:12], v[11:12], v[26:27], v[11:12]
	;; [unrolled: 1-line block ×3, first 2 shown]
	s_mov_b32 s0, 0x55555511
	s_mov_b32 s1, 0x3fc55555
	v_fma_f64 v[24:25], v[24:25], v[28:29], v[24:25]
	v_fma_f64 v[26:27], -v[22:23], v[22:23], v[3:4]
	v_fma_f64 v[18:19], v[16:17], v[18:19], s[0:1]
	s_mov_b32 s0, 11
	s_mov_b32 s1, 0x3fe00000
	v_fma_f64 v[28:29], -v[20:21], v[24:25], 1.0
	v_fma_f64 v[22:23], v[26:27], v[11:12], v[22:23]
	v_fma_f64 v[18:19], v[16:17], v[18:19], s[0:1]
	v_div_scale_f64 v[26:27], s0, v[7:8], v[9:10], v[7:8]
	v_cmp_class_f64_e64 s1, v[3:4], 0x260
	v_fma_f64 v[24:25], v[24:25], v[28:29], v[24:25]
	v_fma_f64 v[28:29], -v[22:23], v[22:23], v[3:4]
	v_fma_f64 v[18:19], v[16:17], v[18:19], 1.0
	v_mul_f64 v[30:31], v[26:27], v[24:25]
	v_fma_f64 v[11:12], v[28:29], v[11:12], v[22:23]
	v_cvt_i32_f64_e32 v22, v[13:14]
	v_fma_f64 v[13:14], v[16:17], v[18:19], 1.0
	v_cndmask_b32_e64 v18, 0, 0xffffff80, vcc_lo
	s_mov_b32 vcc_lo, s0
	v_cmp_ngt_f64_e64 s0, 0xc090cc00, v[5:6]
	v_fma_f64 v[16:17], -v[20:21], v[30:31], v[26:27]
	v_ldexp_f64 v[11:12], v[11:12], v18
	v_ldexp_f64 v[13:14], v[13:14], v22
	v_div_fmas_f64 v[16:17], v[16:17], v[24:25], v[30:31]
	v_cmp_nlt_f64_e32 vcc_lo, 0x40900000, v[5:6]
	v_cndmask_b32_e64 v4, v12, v4, s1
	v_cndmask_b32_e64 v3, v11, v3, s1
	v_add_f64 v[3:4], v[3:4], v[3:4]
	v_div_fixup_f64 v[5:6], v[16:17], v[9:10], v[7:8]
	v_cndmask_b32_e32 v12, 0x7ff00000, v14, vcc_lo
	s_and_b32 vcc_lo, s0, vcc_lo
	v_cndmask_b32_e32 v7, 0, v13, vcc_lo
	v_cndmask_b32_e64 v8, 0, v12, s0
	s_mov_b32 s0, 0x50429b6d
	s_mov_b32 s1, 0x3fe20dd7
	v_mul_f64 v[3:4], v[3:4], v[7:8]
	v_mul_f64 v[5:6], v[5:6], s[0:1]
	s_mov_b32 s0, 0xfd0a823a
	s_mov_b32 s1, 0x4020a402
	v_div_scale_f64 v[7:8], null, v[3:4], v[3:4], v[5:6]
	v_rcp_f64_e32 v[9:10], v[7:8]
	v_fma_f64 v[11:12], -v[7:8], v[9:10], 1.0
	v_fma_f64 v[9:10], v[9:10], v[11:12], v[9:10]
	v_fma_f64 v[11:12], -v[7:8], v[9:10], 1.0
	v_fma_f64 v[9:10], v[9:10], v[11:12], v[9:10]
	v_div_scale_f64 v[11:12], vcc_lo, v[5:6], v[3:4], v[5:6]
	v_mul_f64 v[13:14], v[11:12], v[9:10]
	v_fma_f64 v[7:8], -v[7:8], v[13:14], v[11:12]
	v_div_fmas_f64 v[7:8], v[7:8], v[9:10], v[13:14]
	v_cmp_nlt_f64_e32 vcc_lo, s[0:1], v[1:2]
	s_andn2_b32 s0, s21, exec_lo
	v_div_fixup_f64 v[3:4], v[7:8], v[3:4], v[5:6]
	s_and_b32 s1, vcc_lo, exec_lo
	s_or_b32 s0, s0, s1
.LBB7_195:
	s_or_b32 exec_lo, exec_lo, s34
	s_and_saveexec_b32 s1, s0
	s_cbranch_execz .LBB7_199
; %bb.196:
	v_mul_f64 v[5:6], v[1:2], v[1:2]
	v_mov_b32_e32 v11, 0
	v_mov_b32_e32 v13, 0
	;; [unrolled: 1-line block ×6, first 2 shown]
	s_mov_b32 s34, 0
	v_mul_f64 v[7:8], v[1:2], v[5:6]
	v_mov_b32_e32 v5, 0
	v_mov_b32_e32 v6, 0x3ff00000
.LBB7_197:                              ; =>This Inner Loop Header: Depth=1
	v_mul_f64 v[11:12], v[7:8], v[11:12]
	v_add_f64 v[13:14], v[13:14], 1.0
	v_mul_f64 v[1:2], v[7:8], v[1:2]
	v_div_scale_f64 v[16:17], null, v[13:14], v[13:14], v[11:12]
	v_div_scale_f64 v[22:23], vcc_lo, v[11:12], v[13:14], v[11:12]
	v_rcp_f64_e32 v[18:19], v[16:17]
	v_fma_f64 v[20:21], -v[16:17], v[18:19], 1.0
	v_fma_f64 v[18:19], v[18:19], v[20:21], v[18:19]
	v_fma_f64 v[20:21], -v[16:17], v[18:19], 1.0
	v_fma_f64 v[18:19], v[18:19], v[20:21], v[18:19]
	v_mul_f64 v[20:21], v[22:23], v[18:19]
	v_fma_f64 v[16:17], -v[16:17], v[20:21], v[22:23]
	v_div_fmas_f64 v[16:17], v[16:17], v[18:19], v[20:21]
	v_add_f64 v[18:19], v[13:14], 1.0
	v_div_fixup_f64 v[11:12], v[16:17], v[13:14], v[11:12]
	v_div_scale_f64 v[13:14], null, v[18:19], v[18:19], v[1:2]
	v_div_scale_f64 v[28:29], vcc_lo, v[1:2], v[18:19], v[1:2]
	v_div_scale_f64 v[16:17], null, v[18:19], v[18:19], v[11:12]
	v_rcp_f64_e32 v[20:21], v[13:14]
	v_rcp_f64_e32 v[22:23], v[16:17]
	v_fma_f64 v[24:25], -v[13:14], v[20:21], 1.0
	v_fma_f64 v[26:27], -v[16:17], v[22:23], 1.0
	v_fma_f64 v[20:21], v[20:21], v[24:25], v[20:21]
	v_fma_f64 v[22:23], v[22:23], v[26:27], v[22:23]
	v_fma_f64 v[24:25], -v[13:14], v[20:21], 1.0
	v_fma_f64 v[26:27], -v[16:17], v[22:23], 1.0
	v_fma_f64 v[20:21], v[20:21], v[24:25], v[20:21]
	v_div_scale_f64 v[24:25], s0, v[11:12], v[18:19], v[11:12]
	v_fma_f64 v[22:23], v[22:23], v[26:27], v[22:23]
	v_mul_f64 v[26:27], v[28:29], v[20:21]
	v_mul_f64 v[30:31], v[24:25], v[22:23]
	v_fma_f64 v[13:14], -v[13:14], v[26:27], v[28:29]
	v_fma_f64 v[16:17], -v[16:17], v[30:31], v[24:25]
	v_div_fmas_f64 v[20:21], v[13:14], v[20:21], v[26:27]
	s_mov_b32 vcc_lo, s0
	v_div_fmas_f64 v[13:14], v[16:17], v[22:23], v[30:31]
	v_div_fixup_f64 v[1:2], v[20:21], v[18:19], v[1:2]
	v_div_fixup_f64 v[11:12], v[13:14], v[18:19], v[11:12]
	v_add_f64 v[13:14], v[18:19], 1.0
	v_add_f64 v[5:6], v[5:6], v[11:12]
	v_div_scale_f64 v[16:17], null, v[13:14], v[13:14], v[1:2]
	v_div_scale_f64 v[28:29], vcc_lo, v[1:2], v[13:14], v[1:2]
	v_div_scale_f64 v[18:19], null, v[5:6], v[5:6], v[11:12]
	v_rcp_f64_e32 v[20:21], v[16:17]
	v_rcp_f64_e32 v[22:23], v[18:19]
	v_fma_f64 v[24:25], -v[16:17], v[20:21], 1.0
	v_fma_f64 v[26:27], -v[18:19], v[22:23], 1.0
	v_fma_f64 v[20:21], v[20:21], v[24:25], v[20:21]
	v_fma_f64 v[22:23], v[22:23], v[26:27], v[22:23]
	v_fma_f64 v[24:25], -v[16:17], v[20:21], 1.0
	v_fma_f64 v[26:27], -v[18:19], v[22:23], 1.0
	v_fma_f64 v[20:21], v[20:21], v[24:25], v[20:21]
	v_div_scale_f64 v[24:25], s0, v[11:12], v[5:6], v[11:12]
	v_fma_f64 v[22:23], v[22:23], v[26:27], v[22:23]
	v_mul_f64 v[26:27], v[28:29], v[20:21]
	v_mul_f64 v[30:31], v[24:25], v[22:23]
	v_fma_f64 v[16:17], -v[16:17], v[26:27], v[28:29]
	v_fma_f64 v[18:19], -v[18:19], v[30:31], v[24:25]
	v_div_fmas_f64 v[16:17], v[16:17], v[20:21], v[26:27]
	s_mov_b32 vcc_lo, s0
	v_div_fmas_f64 v[18:19], v[18:19], v[22:23], v[30:31]
	v_div_fixup_f64 v[1:2], v[16:17], v[13:14], v[1:2]
	v_div_fixup_f64 v[18:19], v[18:19], v[5:6], v[11:12]
	v_add_f64 v[9:10], v[9:10], v[1:2]
	v_cmp_nlt_f64_e64 s0, 0x3cb00000, |v[18:19]|
	s_or_b32 s34, s0, s34
	s_andn2_b32 exec_lo, exec_lo, s34
	s_cbranch_execnz .LBB7_197
; %bb.198:
	s_or_b32 exec_lo, exec_lo, s34
	s_mov_b32 s34, 0x42b70f8b
	s_mov_b32 s35, 0xbfd0907f
	v_mul_f64 v[1:2], v[9:10], s[34:35]
	s_mov_b32 s34, 0x962715b8
	s_mov_b32 s35, 0x3fd6b8c7
	v_fma_f64 v[1:2], v[5:6], s[34:35], v[1:2]
	v_cndmask_b32_e64 v4, v4, v2, s21
	v_cndmask_b32_e64 v3, v3, v1, s21
.LBB7_199:
	s_or_b32 exec_lo, exec_lo, s1
                                        ; implicit-def: $vgpr1_vgpr2
.LBB7_200:
	s_andn2_saveexec_b32 s34, s20
	s_cbranch_execz .LBB7_248
; %bb.201:
	v_cmp_lt_f64_e32 vcc_lo, 0x90000000, v[1:2]
	s_mov_b32 s1, 0x3fe921fb
	s_mov_b32 s0, 0x54442d18
                                        ; implicit-def: $vgpr16
	v_cndmask_b32_e64 v3, 0, 0x100, vcc_lo
	v_ldexp_f64 v[3:4], -v[1:2], v3
	v_mul_f64 v[1:2], v[1:2], -2.0
	v_rsq_f64_e32 v[5:6], v[3:4]
	v_mul_f64 v[7:8], v[3:4], v[5:6]
	v_mul_f64 v[5:6], v[5:6], 0.5
	v_fma_f64 v[9:10], -v[5:6], v[7:8], 0.5
	v_fma_f64 v[7:8], v[7:8], v[9:10], v[7:8]
	v_fma_f64 v[5:6], v[5:6], v[9:10], v[5:6]
	v_fma_f64 v[9:10], -v[7:8], v[7:8], v[3:4]
	v_fma_f64 v[7:8], v[9:10], v[5:6], v[7:8]
	v_fma_f64 v[9:10], -v[7:8], v[7:8], v[3:4]
	v_fma_f64 v[5:6], v[9:10], v[5:6], v[7:8]
	v_cndmask_b32_e64 v7, 0, 0xffffff80, vcc_lo
	v_cmp_class_f64_e64 vcc_lo, v[3:4], 0x260
	v_ldexp_f64 v[5:6], v[5:6], v7
	v_cndmask_b32_e32 v8, v6, v4, vcc_lo
	v_cndmask_b32_e32 v7, v5, v3, vcc_lo
	v_mul_f64 v[1:2], v[1:2], v[7:8]
	v_div_scale_f64 v[3:4], null, 0x40080000, 0x40080000, v[1:2]
	v_rcp_f64_e32 v[5:6], v[3:4]
	v_fma_f64 v[9:10], -v[3:4], v[5:6], 1.0
	v_fma_f64 v[5:6], v[5:6], v[9:10], v[5:6]
	v_fma_f64 v[9:10], -v[3:4], v[5:6], 1.0
	v_fma_f64 v[5:6], v[5:6], v[9:10], v[5:6]
	v_div_scale_f64 v[9:10], vcc_lo, v[1:2], 0x40080000, v[1:2]
	v_mul_f64 v[11:12], v[9:10], v[5:6]
	v_fma_f64 v[3:4], -v[3:4], v[11:12], v[9:10]
	v_div_fmas_f64 v[3:4], v[3:4], v[5:6], v[11:12]
                                        ; implicit-def: $vgpr5_vgpr6
	v_div_fixup_f64 v[13:14], v[3:4], 0x40080000, v[1:2]
                                        ; implicit-def: $vgpr3_vgpr4
	v_add_f64 v[1:2], v[13:14], s[0:1]
	v_cmp_ngt_f64_e64 s20, 0x41d00000, |v[1:2]|
	s_and_saveexec_b32 s1, s20
	s_xor_b32 s21, exec_lo, s1
	s_cbranch_execz .LBB7_207
; %bb.202:
	v_ldexp_f64 v[3:4], |v[1:2]|, 0xffffff80
	v_cmp_le_f64_e64 vcc_lo, 0x7b000000, |v[1:2]|
	v_trig_preop_f64 v[5:6], |v[1:2]|, 0
	v_and_b32_e32 v9, 0x7fffffff, v2
	v_trig_preop_f64 v[22:23], |v[1:2]|, 2
	v_mov_b32_e32 v30, 0
	s_mov_b32 s1, 0x3ff921fb
	s_mov_b32 s36, 0x33145c07
	;; [unrolled: 1-line block ×3, first 2 shown]
	v_cndmask_b32_e32 v4, v9, v4, vcc_lo
	v_cndmask_b32_e32 v3, v1, v3, vcc_lo
	v_trig_preop_f64 v[9:10], |v[1:2]|, 1
	v_mul_f64 v[11:12], v[5:6], v[3:4]
	v_mul_f64 v[28:29], v[22:23], v[3:4]
	;; [unrolled: 1-line block ×3, first 2 shown]
	v_fma_f64 v[5:6], v[5:6], v[3:4], -v[11:12]
	v_fma_f64 v[9:10], v[9:10], v[3:4], -v[16:17]
	;; [unrolled: 1-line block ×3, first 2 shown]
	v_add_f64 v[18:19], v[16:17], v[5:6]
	v_add_f64 v[20:21], v[18:19], -v[16:17]
	v_add_f64 v[26:27], v[11:12], v[18:19]
	v_add_f64 v[24:25], v[18:19], -v[20:21]
	v_add_f64 v[5:6], v[5:6], -v[20:21]
	v_ldexp_f64 v[20:21], v[26:27], -2
	v_add_f64 v[11:12], v[26:27], -v[11:12]
	v_add_f64 v[16:17], v[16:17], -v[24:25]
	v_add_f64 v[24:25], v[28:29], v[9:10]
	v_cmp_neq_f64_e64 vcc_lo, 0x7ff00000, |v[20:21]|
	v_add_f64 v[11:12], v[18:19], -v[11:12]
	v_add_f64 v[5:6], v[5:6], v[16:17]
	v_fract_f64_e32 v[16:17], v[20:21]
	v_add_f64 v[18:19], v[24:25], v[5:6]
	v_ldexp_f64 v[16:17], v[16:17], 2
	v_add_f64 v[20:21], v[11:12], v[18:19]
	v_cndmask_b32_e32 v17, 0, v17, vcc_lo
	v_cndmask_b32_e32 v16, 0, v16, vcc_lo
	v_add_f64 v[26:27], v[20:21], v[16:17]
	v_add_f64 v[11:12], v[20:21], -v[11:12]
	v_cmp_gt_f64_e32 vcc_lo, 0, v[26:27]
	v_add_f64 v[26:27], v[24:25], -v[28:29]
	v_add_f64 v[11:12], v[18:19], -v[11:12]
	v_cndmask_b32_e64 v31, 0, 0x40100000, vcc_lo
	v_add_f64 v[35:36], v[24:25], -v[26:27]
	v_add_f64 v[9:10], v[9:10], -v[26:27]
	v_add_f64 v[16:17], v[16:17], v[30:31]
	v_add_f64 v[31:32], v[18:19], -v[24:25]
	v_add_f64 v[26:27], v[28:29], -v[35:36]
	v_add_f64 v[33:34], v[20:21], v[16:17]
	;; [unrolled: 3-line block ×3, first 2 shown]
	v_cvt_i32_f64_e32 v33, v[33:34]
	v_add_f64 v[24:25], v[24:25], -v[37:38]
	v_cvt_f64_i32_e32 v[31:32], v33
	v_add_f64 v[5:6], v[5:6], v[24:25]
	v_add_f64 v[16:17], v[16:17], -v[31:32]
	v_add_f64 v[5:6], v[9:10], v[5:6]
	v_add_f64 v[9:10], v[20:21], v[16:17]
	;; [unrolled: 1-line block ×3, first 2 shown]
	v_add_f64 v[5:6], v[9:10], -v[16:17]
	v_cmp_le_f64_e32 vcc_lo, 0.5, v[9:10]
	v_add_f64 v[3:4], v[11:12], v[3:4]
	v_add_f64 v[5:6], v[20:21], -v[5:6]
	v_cndmask_b32_e64 v31, 0, 0x3ff00000, vcc_lo
	v_add_co_ci_u32_e64 v16, null, 0, v33, vcc_lo
	v_add_f64 v[3:4], v[3:4], v[5:6]
	v_add_f64 v[5:6], v[9:10], -v[30:31]
	v_add_f64 v[9:10], v[5:6], v[3:4]
	v_mul_f64 v[11:12], v[9:10], s[0:1]
	v_add_f64 v[5:6], v[9:10], -v[5:6]
	v_fma_f64 v[17:18], v[9:10], s[0:1], -v[11:12]
	v_add_f64 v[3:4], v[3:4], -v[5:6]
	v_fma_f64 v[5:6], v[9:10], s[36:37], v[17:18]
	v_fma_f64 v[5:6], v[3:4], s[0:1], v[5:6]
	v_add_f64 v[3:4], v[11:12], v[5:6]
	v_add_f64 v[9:10], v[3:4], -v[11:12]
	v_add_f64 v[5:6], v[5:6], -v[9:10]
	s_andn2_saveexec_b32 s0, s21
	s_cbranch_execz .LBB7_209
	s_branch .LBB7_208
.LBB7_203:
	s_andn2_saveexec_b32 s0, s21
	s_cbranch_execz .LBB7_205
.LBB7_204:
	s_mov_b32 s36, 0x6dc9c883
	s_mov_b32 s37, 0x3fe45f30
	;; [unrolled: 1-line block ×3, first 2 shown]
	v_mul_f64 v[3:4], |v[1:2]|, s[36:37]
	s_mov_b32 s36, 0x54442d18
	s_mov_b32 s37, 0xbff921fb
	;; [unrolled: 1-line block ×3, first 2 shown]
	v_rndne_f64_e32 v[9:10], v[3:4]
	v_fma_f64 v[3:4], v[9:10], s[36:37], |v[1:2]|
	v_mul_f64 v[5:6], v[9:10], s[38:39]
	s_mov_b32 s36, 0x252049c0
	s_mov_b32 s37, 0xb97b839a
	v_fma_f64 v[16:17], v[9:10], s[38:39], v[3:4]
	v_add_f64 v[11:12], v[3:4], v[5:6]
	s_mov_b32 s39, 0x3c91a626
	v_add_f64 v[3:4], v[3:4], -v[11:12]
	v_add_f64 v[11:12], v[11:12], -v[16:17]
	v_add_f64 v[3:4], v[3:4], v[5:6]
	v_fma_f64 v[5:6], v[9:10], s[38:39], v[5:6]
	v_add_f64 v[3:4], v[11:12], v[3:4]
	v_add_f64 v[3:4], v[3:4], -v[5:6]
	v_fma_f64 v[5:6], v[9:10], s[36:37], v[3:4]
	v_add_f64 v[3:4], v[16:17], v[5:6]
	v_add_f64 v[11:12], v[3:4], -v[16:17]
	v_cvt_i32_f64_e32 v16, v[9:10]
	v_add_f64 v[5:6], v[5:6], -v[11:12]
.LBB7_205:
	s_or_b32 exec_lo, exec_lo, s0
                                        ; implicit-def: $vgpr17
                                        ; implicit-def: $vgpr9_vgpr10
                                        ; implicit-def: $vgpr11_vgpr12
	s_and_saveexec_b32 s0, s20
	s_xor_b32 s0, exec_lo, s0
	s_cbranch_execz .LBB7_211
; %bb.206:
	v_ldexp_f64 v[9:10], |v[1:2]|, 0xffffff80
	v_cmp_le_f64_e64 vcc_lo, 0x7b000000, |v[1:2]|
	v_trig_preop_f64 v[11:12], |v[1:2]|, 0
	v_and_b32_e32 v17, 0x7fffffff, v2
	v_trig_preop_f64 v[27:28], |v[1:2]|, 2
	v_mov_b32_e32 v35, 0
	s_mov_b32 s20, 0x54442d18
	s_mov_b32 s21, 0x3ff921fb
	;; [unrolled: 1-line block ×4, first 2 shown]
	v_cndmask_b32_e32 v10, v17, v10, vcc_lo
	v_cndmask_b32_e32 v9, v1, v9, vcc_lo
	v_trig_preop_f64 v[17:18], |v[1:2]|, 1
	v_mul_f64 v[19:20], v[11:12], v[9:10]
	v_mul_f64 v[33:34], v[27:28], v[9:10]
	;; [unrolled: 1-line block ×3, first 2 shown]
	v_fma_f64 v[11:12], v[11:12], v[9:10], -v[19:20]
	v_fma_f64 v[17:18], v[17:18], v[9:10], -v[21:22]
	;; [unrolled: 1-line block ×3, first 2 shown]
	v_add_f64 v[23:24], v[21:22], v[11:12]
	v_add_f64 v[25:26], v[23:24], -v[21:22]
	v_add_f64 v[31:32], v[19:20], v[23:24]
	v_add_f64 v[29:30], v[23:24], -v[25:26]
	v_add_f64 v[11:12], v[11:12], -v[25:26]
	v_ldexp_f64 v[25:26], v[31:32], -2
	v_add_f64 v[19:20], v[31:32], -v[19:20]
	v_add_f64 v[21:22], v[21:22], -v[29:30]
	v_add_f64 v[29:30], v[33:34], v[17:18]
	v_cmp_neq_f64_e64 vcc_lo, 0x7ff00000, |v[25:26]|
	v_add_f64 v[19:20], v[23:24], -v[19:20]
	v_add_f64 v[11:12], v[11:12], v[21:22]
	v_fract_f64_e32 v[21:22], v[25:26]
	v_add_f64 v[23:24], v[29:30], v[11:12]
	v_ldexp_f64 v[21:22], v[21:22], 2
	v_add_f64 v[25:26], v[19:20], v[23:24]
	v_cndmask_b32_e32 v22, 0, v22, vcc_lo
	v_cndmask_b32_e32 v21, 0, v21, vcc_lo
	v_add_f64 v[31:32], v[25:26], v[21:22]
	v_add_f64 v[19:20], v[25:26], -v[19:20]
	v_cmp_gt_f64_e32 vcc_lo, 0, v[31:32]
	v_add_f64 v[31:32], v[29:30], -v[33:34]
	v_cndmask_b32_e64 v36, 0, 0x40100000, vcc_lo
	v_add_f64 v[40:41], v[29:30], -v[31:32]
	v_add_f64 v[17:18], v[17:18], -v[31:32]
	v_add_f64 v[21:22], v[21:22], v[35:36]
	v_add_f64 v[36:37], v[23:24], -v[29:30]
	v_add_f64 v[31:32], v[33:34], -v[40:41]
	v_add_f64 v[38:39], v[25:26], v[21:22]
	;; [unrolled: 3-line block ×3, first 2 shown]
	v_cvt_i32_f64_e32 v38, v[38:39]
	v_add_f64 v[29:30], v[29:30], -v[42:43]
	v_cvt_f64_i32_e32 v[36:37], v38
	v_add_f64 v[11:12], v[11:12], v[29:30]
	v_add_f64 v[21:22], v[21:22], -v[36:37]
	v_add_f64 v[11:12], v[17:18], v[11:12]
	v_add_f64 v[17:18], v[23:24], -v[19:20]
	v_add_f64 v[27:28], v[25:26], v[21:22]
	v_add_f64 v[9:10], v[9:10], v[11:12]
	v_add_f64 v[11:12], v[27:28], -v[21:22]
	v_cmp_le_f64_e32 vcc_lo, 0.5, v[27:28]
	v_add_f64 v[9:10], v[17:18], v[9:10]
	v_add_f64 v[11:12], v[25:26], -v[11:12]
	v_cndmask_b32_e64 v36, 0, 0x3ff00000, vcc_lo
	v_add_co_ci_u32_e64 v17, null, 0, v38, vcc_lo
	v_add_f64 v[9:10], v[9:10], v[11:12]
	v_add_f64 v[11:12], v[27:28], -v[35:36]
	v_add_f64 v[18:19], v[11:12], v[9:10]
	v_mul_f64 v[20:21], v[18:19], s[20:21]
	v_add_f64 v[11:12], v[18:19], -v[11:12]
	v_fma_f64 v[22:23], v[18:19], s[20:21], -v[20:21]
	v_add_f64 v[9:10], v[9:10], -v[11:12]
	v_fma_f64 v[11:12], v[18:19], s[36:37], v[22:23]
	v_fma_f64 v[11:12], v[9:10], s[20:21], v[11:12]
	v_add_f64 v[9:10], v[20:21], v[11:12]
	v_add_f64 v[18:19], v[9:10], -v[20:21]
	v_add_f64 v[11:12], v[11:12], -v[18:19]
	s_andn2_saveexec_b32 s0, s0
	s_cbranch_execnz .LBB7_212
	s_branch .LBB7_213
.LBB7_207:
	s_andn2_saveexec_b32 s0, s21
	s_cbranch_execz .LBB7_209
.LBB7_208:
	s_mov_b32 s36, 0x6dc9c883
	s_mov_b32 s37, 0x3fe45f30
	;; [unrolled: 1-line block ×3, first 2 shown]
	v_mul_f64 v[3:4], |v[1:2]|, s[36:37]
	s_mov_b32 s36, 0x54442d18
	s_mov_b32 s37, 0xbff921fb
	;; [unrolled: 1-line block ×3, first 2 shown]
	v_rndne_f64_e32 v[9:10], v[3:4]
	v_fma_f64 v[3:4], v[9:10], s[36:37], |v[1:2]|
	v_mul_f64 v[5:6], v[9:10], s[38:39]
	s_mov_b32 s36, 0x252049c0
	s_mov_b32 s37, 0xb97b839a
	v_fma_f64 v[16:17], v[9:10], s[38:39], v[3:4]
	v_add_f64 v[11:12], v[3:4], v[5:6]
	s_mov_b32 s39, 0x3c91a626
	v_add_f64 v[3:4], v[3:4], -v[11:12]
	v_add_f64 v[11:12], v[11:12], -v[16:17]
	v_add_f64 v[3:4], v[3:4], v[5:6]
	v_fma_f64 v[5:6], v[9:10], s[38:39], v[5:6]
	v_add_f64 v[3:4], v[11:12], v[3:4]
	v_add_f64 v[3:4], v[3:4], -v[5:6]
	v_fma_f64 v[5:6], v[9:10], s[36:37], v[3:4]
	v_add_f64 v[3:4], v[16:17], v[5:6]
	v_add_f64 v[11:12], v[3:4], -v[16:17]
	v_cvt_i32_f64_e32 v16, v[9:10]
	v_add_f64 v[5:6], v[5:6], -v[11:12]
.LBB7_209:
	s_or_b32 exec_lo, exec_lo, s0
                                        ; implicit-def: $vgpr17
                                        ; implicit-def: $vgpr9_vgpr10
                                        ; implicit-def: $vgpr11_vgpr12
	s_and_saveexec_b32 s0, s20
	s_xor_b32 s0, exec_lo, s0
	s_cbranch_execz .LBB7_245
; %bb.210:
	v_ldexp_f64 v[9:10], |v[1:2]|, 0xffffff80
	v_cmp_le_f64_e64 vcc_lo, 0x7b000000, |v[1:2]|
	v_trig_preop_f64 v[11:12], |v[1:2]|, 0
	v_and_b32_e32 v17, 0x7fffffff, v2
	v_trig_preop_f64 v[27:28], |v[1:2]|, 2
	v_mov_b32_e32 v35, 0
	s_mov_b32 s20, 0x54442d18
	s_mov_b32 s21, 0x3ff921fb
	;; [unrolled: 1-line block ×4, first 2 shown]
	v_cndmask_b32_e32 v10, v17, v10, vcc_lo
	v_cndmask_b32_e32 v9, v1, v9, vcc_lo
	v_trig_preop_f64 v[17:18], |v[1:2]|, 1
	v_mul_f64 v[19:20], v[11:12], v[9:10]
	v_mul_f64 v[33:34], v[27:28], v[9:10]
	;; [unrolled: 1-line block ×3, first 2 shown]
	v_fma_f64 v[11:12], v[11:12], v[9:10], -v[19:20]
	v_fma_f64 v[17:18], v[17:18], v[9:10], -v[21:22]
	;; [unrolled: 1-line block ×3, first 2 shown]
	v_add_f64 v[23:24], v[21:22], v[11:12]
	v_add_f64 v[25:26], v[23:24], -v[21:22]
	v_add_f64 v[31:32], v[19:20], v[23:24]
	v_add_f64 v[29:30], v[23:24], -v[25:26]
	v_add_f64 v[11:12], v[11:12], -v[25:26]
	v_ldexp_f64 v[25:26], v[31:32], -2
	v_add_f64 v[19:20], v[31:32], -v[19:20]
	v_add_f64 v[21:22], v[21:22], -v[29:30]
	v_add_f64 v[29:30], v[33:34], v[17:18]
	v_cmp_neq_f64_e64 vcc_lo, 0x7ff00000, |v[25:26]|
	v_add_f64 v[19:20], v[23:24], -v[19:20]
	v_add_f64 v[11:12], v[11:12], v[21:22]
	v_fract_f64_e32 v[21:22], v[25:26]
	v_add_f64 v[23:24], v[29:30], v[11:12]
	v_ldexp_f64 v[21:22], v[21:22], 2
	v_add_f64 v[25:26], v[19:20], v[23:24]
	v_cndmask_b32_e32 v22, 0, v22, vcc_lo
	v_cndmask_b32_e32 v21, 0, v21, vcc_lo
	v_add_f64 v[31:32], v[25:26], v[21:22]
	v_add_f64 v[19:20], v[25:26], -v[19:20]
	v_cmp_gt_f64_e32 vcc_lo, 0, v[31:32]
	v_add_f64 v[31:32], v[29:30], -v[33:34]
	v_cndmask_b32_e64 v36, 0, 0x40100000, vcc_lo
	v_add_f64 v[40:41], v[29:30], -v[31:32]
	v_add_f64 v[17:18], v[17:18], -v[31:32]
	v_add_f64 v[21:22], v[21:22], v[35:36]
	v_add_f64 v[36:37], v[23:24], -v[29:30]
	v_add_f64 v[31:32], v[33:34], -v[40:41]
	v_add_f64 v[38:39], v[25:26], v[21:22]
	;; [unrolled: 3-line block ×3, first 2 shown]
	v_cvt_i32_f64_e32 v38, v[38:39]
	v_add_f64 v[29:30], v[29:30], -v[42:43]
	v_cvt_f64_i32_e32 v[36:37], v38
	v_add_f64 v[11:12], v[11:12], v[29:30]
	v_add_f64 v[21:22], v[21:22], -v[36:37]
	v_add_f64 v[11:12], v[17:18], v[11:12]
	v_add_f64 v[17:18], v[23:24], -v[19:20]
	v_add_f64 v[27:28], v[25:26], v[21:22]
	v_add_f64 v[9:10], v[9:10], v[11:12]
	v_add_f64 v[11:12], v[27:28], -v[21:22]
	v_cmp_le_f64_e32 vcc_lo, 0.5, v[27:28]
	v_add_f64 v[9:10], v[17:18], v[9:10]
	v_add_f64 v[11:12], v[25:26], -v[11:12]
	v_cndmask_b32_e64 v36, 0, 0x3ff00000, vcc_lo
	v_add_co_ci_u32_e64 v17, null, 0, v38, vcc_lo
	v_add_f64 v[9:10], v[9:10], v[11:12]
	v_add_f64 v[11:12], v[27:28], -v[35:36]
	v_add_f64 v[18:19], v[11:12], v[9:10]
	v_mul_f64 v[20:21], v[18:19], s[20:21]
	v_add_f64 v[11:12], v[18:19], -v[11:12]
	v_fma_f64 v[22:23], v[18:19], s[20:21], -v[20:21]
	v_add_f64 v[9:10], v[9:10], -v[11:12]
	v_fma_f64 v[11:12], v[18:19], s[36:37], v[22:23]
	v_fma_f64 v[11:12], v[9:10], s[20:21], v[11:12]
	v_add_f64 v[9:10], v[20:21], v[11:12]
	v_add_f64 v[18:19], v[9:10], -v[20:21]
	v_add_f64 v[11:12], v[11:12], -v[18:19]
	s_andn2_saveexec_b32 s0, s0
	s_cbranch_execnz .LBB7_246
	s_branch .LBB7_247
.LBB7_211:
	s_andn2_saveexec_b32 s0, s0
	s_cbranch_execz .LBB7_213
.LBB7_212:
	s_mov_b32 s20, 0x6dc9c883
	s_mov_b32 s21, 0x3fe45f30
	s_mov_b32 s37, 0xbc91a626
	v_mul_f64 v[9:10], |v[1:2]|, s[20:21]
	s_mov_b32 s20, 0x54442d18
	s_mov_b32 s21, 0xbff921fb
	s_mov_b32 s36, 0x33145c00
	v_rndne_f64_e32 v[17:18], v[9:10]
	v_fma_f64 v[9:10], v[17:18], s[20:21], |v[1:2]|
	v_mul_f64 v[11:12], v[17:18], s[36:37]
	s_mov_b32 s20, 0x252049c0
	s_mov_b32 s21, 0xb97b839a
	v_fma_f64 v[21:22], v[17:18], s[36:37], v[9:10]
	v_add_f64 v[19:20], v[9:10], v[11:12]
	s_mov_b32 s37, 0x3c91a626
	v_add_f64 v[9:10], v[9:10], -v[19:20]
	v_add_f64 v[19:20], v[19:20], -v[21:22]
	v_add_f64 v[9:10], v[9:10], v[11:12]
	v_fma_f64 v[11:12], v[17:18], s[36:37], v[11:12]
	v_add_f64 v[9:10], v[19:20], v[9:10]
	v_add_f64 v[9:10], v[9:10], -v[11:12]
	v_fma_f64 v[11:12], v[17:18], s[20:21], v[9:10]
	v_cvt_i32_f64_e32 v17, v[17:18]
	v_add_f64 v[9:10], v[21:22], v[11:12]
	v_add_f64 v[19:20], v[9:10], -v[21:22]
	v_add_f64 v[11:12], v[11:12], -v[19:20]
.LBB7_213:
	s_or_b32 exec_lo, exec_lo, s0
	v_div_scale_f64 v[18:19], null, v[13:14], v[13:14], 1.0
	v_div_scale_f64 v[24:25], vcc_lo, 1.0, v[13:14], 1.0
	s_mov_b32 s0, 0xddcfbbde
	s_mov_b32 s1, 0x3f943525
	s_mov_b32 s20, 0x3a2034eb
	s_mov_b32 s21, 0x3ff10d83
	s_mov_b32 s36, 0xa0ef1acb
	s_mov_b32 s37, 0x3fee0dac
	s_mov_b32 s38, 0x796cde01
	s_mov_b32 s39, 0x3ec71de3
	v_mul_f64 v[64:65], v[11:12], 0.5
	v_rcp_f64_e32 v[20:21], v[18:19]
	v_fma_f64 v[22:23], -v[18:19], v[20:21], 1.0
	v_fma_f64 v[20:21], v[20:21], v[22:23], v[20:21]
	v_fma_f64 v[22:23], -v[18:19], v[20:21], 1.0
	v_fma_f64 v[20:21], v[20:21], v[22:23], v[20:21]
	v_mul_f64 v[22:23], v[24:25], v[20:21]
	v_fma_f64 v[18:19], -v[18:19], v[22:23], v[24:25]
	v_div_fmas_f64 v[18:19], v[18:19], v[20:21], v[22:23]
	v_cmp_gt_f64_e32 vcc_lo, 0x10000000, v[7:8]
	v_div_fixup_f64 v[13:14], v[18:19], v[13:14], 1.0
	v_cndmask_b32_e64 v22, 0, 0x100, vcc_lo
	v_ldexp_f64 v[7:8], v[7:8], v22
	v_mul_f64 v[18:19], v[13:14], v[13:14]
	v_rsq_f64_e32 v[26:27], v[7:8]
	v_fma_f64 v[20:21], v[18:19], 0, s[0:1]
	s_mov_b32 s0, 0x6437b7
	s_mov_b32 s1, 0x3fd907d5
	v_mul_f64 v[30:31], v[7:8], v[26:27]
	v_mul_f64 v[26:27], v[26:27], 0.5
	v_fma_f64 v[20:21], v[18:19], v[20:21], s[0:1]
	s_mov_b32 s0, 0xd50ae6fb
	s_mov_b32 s1, 0xbfc0db6c
	v_fma_f64 v[22:23], v[18:19], 0, s[0:1]
	s_mov_b32 s0, 0xf3d56b40
	s_mov_b32 s1, 0x40229e2b
	;; [unrolled: 3-line block ×3, first 2 shown]
	v_fma_f64 v[32:33], -v[26:27], v[30:31], 0.5
	v_fma_f64 v[20:21], v[18:19], v[20:21], s[20:21]
	s_mov_b32 s20, 0x2572edf2
	s_mov_b32 s21, 0x402ab64b
	v_fma_f64 v[28:29], v[18:19], 0, s[20:21]
	v_fma_f64 v[22:23], v[18:19], v[22:23], s[0:1]
	s_mov_b32 s0, 0xc0ef18d4
	s_mov_b32 s1, 0x4033d5d5
	;; [unrolled: 1-line block ×3, first 2 shown]
	v_fma_f64 v[24:25], v[18:19], v[24:25], s[0:1]
	s_mov_b32 s0, 0xc2f79f7d
	s_mov_b32 s1, 0xbfe62e59
	;; [unrolled: 1-line block ×3, first 2 shown]
	v_fma_f64 v[30:31], v[30:31], v[32:33], v[30:31]
	v_fma_f64 v[26:27], v[26:27], v[32:33], v[26:27]
	;; [unrolled: 1-line block ×3, first 2 shown]
	s_mov_b32 s36, 0xcea8fe1d
	s_mov_b32 s37, 0x3fd67e69
	v_fma_f64 v[28:29], v[18:19], v[28:29], s[20:21]
	v_fma_f64 v[22:23], v[18:19], v[22:23], s[0:1]
	s_mov_b32 s0, 0x7ea7dc35
	s_mov_b32 s1, 0x402f211b
	;; [unrolled: 1-line block ×3, first 2 shown]
	v_fma_f64 v[24:25], v[18:19], v[24:25], s[0:1]
	s_mov_b32 s0, 0x4bb3f40b
	s_mov_b32 s1, 0xbfd1e7ea
	;; [unrolled: 1-line block ×3, first 2 shown]
	v_fma_f64 v[32:33], -v[30:31], v[30:31], v[7:8]
	v_fma_f64 v[20:21], v[18:19], v[20:21], s[36:37]
	s_mov_b32 s36, 0x21e90978
	s_mov_b32 s37, 0x3fb03a41
	v_fma_f64 v[28:29], v[18:19], v[28:29], s[20:21]
	v_fma_f64 v[22:23], v[18:19], v[22:23], s[0:1]
	s_mov_b32 s0, 0x2b79dbce
	s_mov_b32 s1, 0x4015e84e
	;; [unrolled: 1-line block ×3, first 2 shown]
	v_fma_f64 v[24:25], v[18:19], v[24:25], s[0:1]
	s_mov_b32 s0, 0xf47dbd8a
	s_mov_b32 s1, 0xbfa92f6e
	;; [unrolled: 1-line block ×3, first 2 shown]
	v_fma_f64 v[30:31], v[32:33], v[26:27], v[30:31]
	v_fma_f64 v[20:21], v[18:19], v[20:21], s[36:37]
	s_mov_b32 s36, 0xf12f5043
	s_mov_b32 s37, 0x3f77fe99
	v_fma_f64 v[28:29], v[18:19], v[28:29], s[20:21]
	v_fma_f64 v[22:23], v[18:19], v[22:23], s[0:1]
	s_mov_b32 s0, 0xc195ece3
	s_mov_b32 s1, 0x3fee8992
	;; [unrolled: 1-line block ×3, first 2 shown]
	v_fma_f64 v[24:25], v[18:19], v[24:25], s[0:1]
	s_mov_b32 s0, 0xc8d9e090
	s_mov_b32 s1, 0xbf70a401
	;; [unrolled: 1-line block ×3, first 2 shown]
	v_fma_f64 v[32:33], -v[30:31], v[30:31], v[7:8]
	v_fma_f64 v[20:21], v[18:19], v[20:21], s[36:37]
	s_mov_b32 s36, 0x600e17a2
	s_mov_b32 s37, 0x3f328976
	v_fma_f64 v[28:29], v[18:19], v[28:29], s[20:21]
	v_fma_f64 v[22:23], v[18:19], v[22:23], s[0:1]
	s_mov_b32 s0, 0xed64a9ee
	s_mov_b32 s1, 0x3fb6221d
	;; [unrolled: 1-line block ×3, first 2 shown]
	v_fma_f64 v[24:25], v[18:19], v[24:25], s[0:1]
	s_mov_b32 s0, 0xaf4b009c
	s_mov_b32 s1, 0xbf24e06e
	;; [unrolled: 1-line block ×3, first 2 shown]
	v_fma_f64 v[26:27], v[32:33], v[26:27], v[30:31]
	v_cndmask_b32_e64 v30, 0, 0xffffff80, vcc_lo
	v_cmp_class_f64_e64 vcc_lo, v[7:8], 0x260
	v_mul_f64 v[32:33], v[9:10], v[9:10]
	v_fma_f64 v[20:21], v[18:19], v[20:21], s[36:37]
	s_mov_b32 s36, 0x69f8574e
	s_mov_b32 s37, 0x3edd4f3d
	v_fma_f64 v[28:29], v[18:19], v[28:29], s[20:21]
	v_fma_f64 v[22:23], v[18:19], v[22:23], s[0:1]
	s_mov_b32 s0, 0x6be393bb
	s_mov_b32 s1, 0x3f70e704
	;; [unrolled: 1-line block ×3, first 2 shown]
	v_fma_f64 v[24:25], v[18:19], v[24:25], s[0:1]
	s_mov_b32 s0, 0x1d42366d
	s_mov_b32 s1, 0xbec74a78
	s_mov_b32 s21, 0x3f7208ca
	v_ldexp_f64 v[26:27], v[26:27], v30
	v_mul_f64 v[56:57], v[32:33], 0.5
	v_mul_f64 v[66:67], v[9:10], -v[32:33]
	v_fma_f64 v[20:21], v[18:19], v[20:21], s[36:37]
	s_mov_b32 s36, 0xbbad11c8
	s_mov_b32 s37, 0x3e75ca92
	v_fma_f64 v[28:29], v[18:19], v[28:29], s[20:21]
	v_fma_f64 v[22:23], v[18:19], v[22:23], s[0:1]
	s_mov_b32 s0, 0xd603a5a0
	s_mov_b32 s1, 0x3f1a8b61
	s_mov_b32 s20, 0xf68ea2d2
	v_fma_f64 v[24:25], v[18:19], v[24:25], s[0:1]
	s_mov_b32 s0, 0xaf76e73b
	s_mov_b32 s1, 0x3f13c8d7
	s_mov_b32 s21, 0xbe52041c
	v_cndmask_b32_e32 v8, v27, v8, vcc_lo
	v_cndmask_b32_e32 v7, v26, v7, vcc_lo
	v_fma_f64 v[20:21], v[18:19], v[20:21], s[36:37]
	s_mov_b32 s36, 0x7d97ee7a
	s_mov_b32 s37, 0x3df778a4
	v_fma_f64 v[28:29], v[18:19], v[28:29], s[0:1]
	v_fma_f64 v[22:23], v[18:19], v[22:23], s[20:21]
	s_mov_b32 s0, 0xdb0724e8
	s_mov_b32 s1, 0x3eb3a845
	;; [unrolled: 1-line block ×3, first 2 shown]
	v_fma_f64 v[24:25], v[18:19], v[24:25], s[0:1]
	s_mov_b32 s0, 0xb99518a7
	s_mov_b32 s1, 0x3e9e52b9
	;; [unrolled: 1-line block ×3, first 2 shown]
	v_div_scale_f64 v[26:27], null, v[7:8], v[7:8], s[20:21]
	v_fma_f64 v[20:21], v[18:19], v[20:21], s[36:37]
	s_mov_b32 s36, 0xf9a43bb8
	s_mov_b32 s37, 0x3de5e0b2
	v_fma_f64 v[28:29], v[18:19], v[28:29], s[0:1]
	v_mul_f64 v[22:23], v[18:19], v[22:23]
	s_mov_b32 s0, 0x3dd589d4
	s_mov_b32 s1, 0x3e351fc7
	v_fma_f64 v[18:19], v[18:19], v[24:25], s[0:1]
	s_mov_b32 s0, 0xb42fdfa7
	s_mov_b32 s1, 0xbe5ae600
	v_fma_f64 v[42:43], v[32:33], s[36:37], s[0:1]
	v_rcp_f64_e32 v[38:39], v[26:27]
	v_mul_f64 v[13:14], v[13:14], v[20:21]
	v_mul_f64 v[20:21], v[3:4], v[3:4]
	v_div_scale_f64 v[24:25], null, v[28:29], v[28:29], v[22:23]
	v_fma_f64 v[42:43], v[32:33], v[42:43], s[38:39]
	v_fma_f64 v[50:51], -v[26:27], v[38:39], 1.0
	v_div_scale_f64 v[30:31], null, v[18:19], v[18:19], v[13:14]
	v_fma_f64 v[34:35], v[20:21], s[36:37], s[0:1]
	s_mov_b32 s0, 0x9037ab78
	s_mov_b32 s36, 0x46cc5e42
	v_rcp_f64_e32 v[36:37], v[24:25]
	s_mov_b32 s1, 0x3e21eeb6
	s_mov_b32 s37, 0xbda907db
	v_mul_f64 v[46:47], v[20:21], 0.5
	v_fma_f64 v[44:45], v[20:21], s[36:37], s[0:1]
	v_fma_f64 v[54:55], v[32:33], s[36:37], s[0:1]
	s_mov_b32 s0, 0xa17f65f6
	s_mov_b32 s36, 0x19e83e5c
	;; [unrolled: 1-line block ×4, first 2 shown]
	v_fma_f64 v[38:39], v[38:39], v[50:51], v[38:39]
	v_fma_f64 v[42:43], v[32:33], v[42:43], s[36:37]
	v_add_f64 v[50:51], -v[56:57], 1.0
	v_rcp_f64_e32 v[40:41], v[30:31]
	v_fma_f64 v[34:35], v[20:21], v[34:35], s[38:39]
	v_fma_f64 v[48:49], -v[24:25], v[36:37], 1.0
	v_add_f64 v[58:59], -v[46:47], 1.0
	v_fma_f64 v[44:45], v[20:21], v[44:45], s[0:1]
	v_fma_f64 v[68:69], -v[26:27], v[38:39], 1.0
	v_add_f64 v[72:73], -v[50:51], 1.0
	v_fma_f64 v[34:35], v[20:21], v[34:35], s[36:37]
	v_fma_f64 v[52:53], -v[30:31], v[40:41], 1.0
	s_mov_b32 s36, 0x19f4ec90
	s_mov_b32 s37, 0x3efa01a0
	v_fma_f64 v[36:37], v[36:37], v[48:49], v[36:37]
	v_fma_f64 v[48:49], v[32:33], v[54:55], s[0:1]
	s_mov_b32 s0, 0x11110bb3
	s_mov_b32 s1, 0x3f811111
	v_mul_f64 v[54:55], v[3:4], -v[20:21]
	v_fma_f64 v[44:45], v[20:21], v[44:45], s[36:37]
	v_add_f64 v[60:61], -v[58:59], 1.0
	v_fma_f64 v[42:43], v[32:33], v[42:43], s[0:1]
	v_fma_f64 v[38:39], v[38:39], v[68:69], v[38:39]
	v_add_f64 v[56:57], v[72:73], -v[56:57]
	v_fma_f64 v[34:35], v[20:21], v[34:35], s[0:1]
	v_fma_f64 v[40:41], v[40:41], v[52:53], v[40:41]
	v_mul_f64 v[52:53], v[5:6], 0.5
	v_fma_f64 v[62:63], -v[24:25], v[36:37], 1.0
	v_fma_f64 v[48:49], v[32:33], v[48:49], s[36:37]
	s_mov_b32 s36, 0x16c16967
	s_mov_b32 s37, 0xbf56c16c
	v_fma_f64 v[44:45], v[20:21], v[44:45], s[36:37]
	v_add_f64 v[46:47], v[60:61], -v[46:47]
	v_div_scale_f64 v[60:61], s0, s[20:21], v[7:8], s[20:21]
	v_fma_f64 v[42:43], v[66:67], v[42:43], v[64:65]
	v_mul_f64 v[64:65], v[20:21], v[20:21]
	v_fma_f64 v[70:71], -v[30:31], v[40:41], 1.0
	v_fma_f64 v[34:35], v[54:55], v[34:35], v[52:53]
	v_div_scale_f64 v[52:53], vcc_lo, v[22:23], v[28:29], v[22:23]
	v_fma_f64 v[36:37], v[36:37], v[62:63], v[36:37]
	v_div_scale_f64 v[62:63], s1, v[13:14], v[18:19], v[13:14]
	v_fma_f64 v[48:49], v[32:33], v[48:49], s[36:37]
	s_mov_b32 s36, 0x55555555
	s_mov_b32 s37, 0x3fa55555
	v_fma_f64 v[46:47], v[3:4], -v[5:6], v[46:47]
	v_fma_f64 v[44:45], v[20:21], v[44:45], s[36:37]
	v_fma_f64 v[42:43], v[32:33], v[42:43], -v[11:12]
	v_fma_f64 v[11:12], v[9:10], -v[11:12], v[56:57]
	v_fma_f64 v[40:41], v[40:41], v[70:71], v[40:41]
	v_fma_f64 v[5:6], v[20:21], v[34:35], -v[5:6]
	v_mul_f64 v[34:35], v[60:61], v[38:39]
	v_mul_f64 v[70:71], v[32:33], v[32:33]
	;; [unrolled: 1-line block ×3, first 2 shown]
	v_fma_f64 v[32:33], v[32:33], v[48:49], s[36:37]
	s_mov_b32 s37, 0xbfc55555
	v_fma_f64 v[44:45], v[64:65], v[44:45], v[46:47]
	v_fma_f64 v[42:43], v[66:67], s[36:37], v[42:43]
	v_mul_f64 v[68:69], v[62:63], v[40:41]
	v_fma_f64 v[5:6], v[54:55], s[36:37], v[5:6]
	v_fma_f64 v[26:27], -v[26:27], v[34:35], v[60:61]
	v_fma_f64 v[24:25], -v[24:25], v[20:21], v[52:53]
	v_fma_f64 v[11:12], v[70:71], v[32:33], v[11:12]
	v_add_f64 v[32:33], v[58:59], v[44:45]
	v_add_f64 v[9:10], v[9:10], -v[42:43]
	v_fma_f64 v[30:31], -v[30:31], v[68:69], v[62:63]
	v_add_f64 v[3:4], v[3:4], -v[5:6]
	v_div_fmas_f64 v[5:6], v[24:25], v[36:37], v[20:21]
	s_mov_b32 vcc_lo, s0
	v_cmp_class_f64_e64 s0, v[1:2], 0x1f8
	v_div_fmas_f64 v[20:21], v[26:27], v[38:39], v[34:35]
	s_mov_b32 vcc_lo, s1
	v_add_f64 v[11:12], v[50:51], v[11:12]
	v_and_b32_e32 v1, 1, v17
	v_and_b32_e32 v26, 1, v16
	v_xor_b32_e32 v10, 0x80000000, v10
	v_cmp_eq_u32_e64 s1, 0, v1
	v_lshlrev_b32_e32 v1, 30, v17
	v_and_b32_e32 v1, 0x80000000, v1
	v_div_fmas_f64 v[24:25], v[30:31], v[40:41], v[68:69]
	v_cmp_eq_u32_e32 vcc_lo, 0, v26
	v_div_fixup_f64 v[5:6], v[5:6], v[28:29], v[22:23]
	v_cndmask_b32_e32 v3, v32, v3, vcc_lo
	v_cndmask_b32_e64 v10, v10, v12, s1
	v_cndmask_b32_e64 v9, v9, v11, s1
	v_xor_b32_e32 v10, v10, v1
	v_cndmask_b32_e64 v9, 0, v9, s0
	v_cndmask_b32_e64 v1, 0, v3, s0
	v_lshlrev_b32_e32 v3, 30, v16
	v_cndmask_b32_e64 v10, 0x7ff80000, v10, s0
	v_xor_b32_e32 v2, v3, v2
	v_div_fixup_f64 v[13:14], v[24:25], v[18:19], v[13:14]
	v_cndmask_b32_e32 v3, v33, v4, vcc_lo
	v_add_f64 v[5:6], v[5:6], 1.0
	v_and_b32_e32 v2, 0x80000000, v2
	v_xor_b32_e32 v2, v3, v2
	v_div_fixup_f64 v[3:4], v[20:21], v[7:8], s[20:21]
	v_cndmask_b32_e64 v2, 0x7ff80000, v2, s0
	v_mul_f64 v[9:10], v[13:14], v[9:10]
	v_fma_f64 v[1:2], v[5:6], v[1:2], -v[9:10]
	v_mul_f64 v[3:4], v[3:4], v[1:2]
.LBB7_214:
	s_or_b32 exec_lo, exec_lo, s34
.LBB7_215:
	s_or_b32 exec_lo, exec_lo, s33
.LBB7_216:
	s_or_b32 exec_lo, exec_lo, s31
	v_add_nc_u32_e32 v15, 0x80, v15
	global_store_dwordx2 v0, v[3:4], s[4:5]
	s_or_b32 exec_lo, exec_lo, s30
	s_mov_b32 s30, exec_lo
	v_cmpx_gt_i32_e64 s27, v15
	s_cbranch_execnz .LBB7_15
.LBB7_217:
	s_or_b32 exec_lo, exec_lo, s30
	s_mov_b32 s30, exec_lo
	v_cmpx_gt_i32_e64 s27, v15
	s_cbranch_execz .LBB7_251
.LBB7_218:
	s_andn2_b32 vcc_lo, exec_lo, s24
	s_cbranch_vccnz .LBB7_223
; %bb.219:
	s_andn2_b32 vcc_lo, exec_lo, s29
	s_cbranch_vccnz .LBB7_224
; %bb.220:
	s_add_i32 s33, s28, 1
	s_cmp_eq_u32 s23, 2
	s_cbranch_scc1 .LBB7_225
; %bb.221:
	v_mov_b32_e32 v2, 0
	v_mov_b32_e32 v0, 0
	;; [unrolled: 1-line block ×3, first 2 shown]
	s_and_b32 s31, s33, 28
	s_mov_b32 s34, 0
	s_mov_b64 s[0:1], s[2:3]
	s_mov_b64 s[20:21], s[18:19]
.LBB7_222:                              ; =>This Inner Loop Header: Depth=1
	s_clause 0x1
	s_load_dwordx8 s[36:43], s[0:1], 0x4
	s_load_dwordx4 s[52:55], s[0:1], 0x24
	s_load_dwordx8 s[44:51], s[20:21], 0x0
	s_add_u32 s0, s0, 48
	s_addc_u32 s1, s1, 0
	s_add_i32 s34, s34, 4
	s_add_u32 s20, s20, 32
	s_addc_u32 s21, s21, 0
	s_cmp_eq_u32 s31, s34
	s_waitcnt lgkmcnt(0)
	v_mul_hi_u32 v3, s37, v1
	v_add_nc_u32_e32 v3, v1, v3
	v_lshrrev_b32_e32 v3, s38, v3
	v_mul_hi_u32 v4, s40, v3
	v_mul_lo_u32 v6, v3, s36
	v_add_nc_u32_e32 v4, v3, v4
	v_sub_nc_u32_e32 v1, v1, v6
	v_lshrrev_b32_e32 v4, s41, v4
	v_mul_lo_u32 v6, v1, s44
	v_mul_lo_u32 v8, v1, s45
	v_mul_hi_u32 v5, s43, v4
	v_add_nc_u32_e32 v5, v4, v5
	v_lshrrev_b32_e32 v5, s52, v5
	v_mul_hi_u32 v7, s54, v5
	v_mul_lo_u32 v9, v5, s42
	v_add_nc_u32_e32 v1, v5, v7
	v_mul_lo_u32 v7, v4, s39
	v_sub_nc_u32_e32 v4, v4, v9
	v_lshrrev_b32_e32 v1, s55, v1
	v_mul_lo_u32 v9, v4, s48
	v_mul_lo_u32 v4, v4, s49
	v_sub_nc_u32_e32 v3, v3, v7
	v_mul_lo_u32 v10, v1, s53
	v_mul_lo_u32 v7, v3, s46
	;; [unrolled: 1-line block ×3, first 2 shown]
	v_sub_nc_u32_e32 v5, v5, v10
	v_add3_u32 v0, v6, v0, v7
	v_mul_lo_u32 v10, v5, s50
	v_mul_lo_u32 v5, v5, s51
	v_add3_u32 v2, v8, v2, v3
	v_add3_u32 v0, v9, v0, v10
	;; [unrolled: 1-line block ×3, first 2 shown]
	s_cbranch_scc0 .LBB7_222
	s_branch .LBB7_226
.LBB7_223:
                                        ; implicit-def: $vgpr0
                                        ; implicit-def: $vgpr2
	s_branch .LBB7_230
.LBB7_224:
	v_mov_b32_e32 v0, 0
	v_mov_b32_e32 v2, 0
	s_branch .LBB7_229
.LBB7_225:
	v_mov_b32_e32 v0, 0
	v_mov_b32_e32 v2, 0
	;; [unrolled: 1-line block ×3, first 2 shown]
	s_mov_b32 s31, 0
.LBB7_226:
	s_and_b32 s33, s33, 3
	s_cmp_eq_u32 s33, 0
	s_cbranch_scc1 .LBB7_229
; %bb.227:
	s_lshl_b32 s0, s31, 3
	s_mul_i32 s20, s31, 12
	s_add_u32 s0, s2, s0
	s_addc_u32 s1, s3, 0
	s_add_u32 s0, s0, 0xc4
	s_addc_u32 s1, s1, 0
	;; [unrolled: 2-line block ×3, first 2 shown]
	.p2align	6
.LBB7_228:                              ; =>This Inner Loop Header: Depth=1
	s_clause 0x1
	s_load_dwordx2 s[34:35], s[20:21], 0x4
	s_load_dword s31, s[20:21], 0xc
	s_load_dwordx2 s[36:37], s[0:1], 0x0
	s_add_u32 s20, s20, 12
	s_addc_u32 s21, s21, 0
	s_add_u32 s0, s0, 8
	s_addc_u32 s1, s1, 0
	s_add_i32 s33, s33, -1
	s_cmp_lg_u32 s33, 0
	s_waitcnt lgkmcnt(0)
	v_mul_hi_u32 v3, s35, v1
	v_add_nc_u32_e32 v3, v1, v3
	v_lshrrev_b32_e32 v4, s31, v3
	v_mul_lo_u32 v3, v4, s34
	v_sub_nc_u32_e32 v3, v1, v3
	v_mad_u64_u32 v[0:1], null, v3, s36, v[0:1]
	v_mad_u64_u32 v[2:3], null, v3, s37, v[2:3]
	v_mov_b32_e32 v1, v4
	s_cbranch_scc1 .LBB7_228
.LBB7_229:
	s_cbranch_execnz .LBB7_232
.LBB7_230:
	s_waitcnt lgkmcnt(0)
	v_mul_hi_u32 v0, s13, v15
	s_andn2_b32 vcc_lo, exec_lo, s26
	v_add_nc_u32_e32 v0, v15, v0
	v_lshrrev_b32_e32 v1, s14, v0
	v_mul_lo_u32 v0, v1, s12
	v_sub_nc_u32_e32 v2, v15, v0
	v_mul_lo_u32 v0, v2, s8
	v_mul_lo_u32 v2, v2, s9
	s_cbranch_vccnz .LBB7_232
; %bb.231:
	v_mul_hi_u32 v3, s16, v1
	v_add_nc_u32_e32 v3, v1, v3
	v_lshrrev_b32_e32 v3, s17, v3
	v_mul_lo_u32 v3, v3, s15
	v_sub_nc_u32_e32 v3, v1, v3
	v_mad_u64_u32 v[0:1], null, v3, s10, v[0:1]
	v_mad_u64_u32 v[2:3], null, v3, s11, v[2:3]
.LBB7_232:
	s_waitcnt lgkmcnt(0)
	global_load_dwordx2 v[1:2], v2, s[6:7]
	v_mov_b32_e32 v3, 0
	v_mov_b32_e32 v4, 0x7ff80000
	s_mov_b32 s31, exec_lo
	s_waitcnt vmcnt(0)
	v_cmpx_neq_f64_e64 0x7ff00000, |v[1:2]|
	s_cbranch_execz .LBB7_263
; %bb.233:
	v_mov_b32_e32 v3, 0
	v_mov_b32_e32 v4, 0
	s_mov_b32 s0, 0x872b020c
	s_mov_b32 s1, 0x4059f916
	s_mov_b32 s33, exec_lo
	v_cmpx_nlt_f64_e32 s[0:1], v[1:2]
	s_cbranch_execz .LBB7_262
; %bb.234:
	s_mov_b32 s1, 0xc000b851
	s_mov_b32 s0, 0xeb851eb8
                                        ; implicit-def: $vgpr3_vgpr4
	v_cmp_ngt_f64_e32 vcc_lo, s[0:1], v[1:2]
	s_and_saveexec_b32 s1, vcc_lo
	s_xor_b32 s20, exec_lo, s1
	s_cbranch_execz .LBB7_242
; %bb.235:
	s_mov_b32 s1, 0x4000b851
	v_mov_b32_e32 v3, 0
	v_cmp_nle_f64_e64 s21, s[0:1], v[1:2]
	v_cmp_le_f64_e32 vcc_lo, s[0:1], v[1:2]
	v_mov_b32_e32 v4, 0
	s_mov_b32 s0, s21
	s_and_saveexec_b32 s34, vcc_lo
	s_cbranch_execz .LBB7_237
; %bb.236:
	v_cmp_gt_f64_e32 vcc_lo, 0x10000000, v[1:2]
	s_mov_b32 s0, 0x2537b658
	s_mov_b32 s36, 0x2624d31
	;; [unrolled: 1-line block ×4, first 2 shown]
	v_cndmask_b32_e64 v3, 0, 0x100, vcc_lo
	v_ldexp_f64 v[3:4], v[1:2], v3
	v_rsq_f64_e32 v[5:6], v[3:4]
	v_mul_f64 v[7:8], v[3:4], v[5:6]
	v_mul_f64 v[5:6], v[5:6], 0.5
	v_fma_f64 v[9:10], -v[5:6], v[7:8], 0.5
	v_fma_f64 v[7:8], v[7:8], v[9:10], v[7:8]
	v_fma_f64 v[5:6], v[5:6], v[9:10], v[5:6]
	v_fma_f64 v[9:10], -v[7:8], v[7:8], v[3:4]
	v_fma_f64 v[7:8], v[9:10], v[5:6], v[7:8]
	v_fma_f64 v[9:10], -v[7:8], v[7:8], v[3:4]
	v_fma_f64 v[5:6], v[9:10], v[5:6], v[7:8]
	v_cndmask_b32_e64 v7, 0, 0xffffff80, vcc_lo
	v_cmp_class_f64_e64 vcc_lo, v[3:4], 0x260
	v_ldexp_f64 v[5:6], v[5:6], v7
	v_add_f64 v[7:8], v[1:2], v[1:2]
	v_cndmask_b32_e32 v4, v6, v4, vcc_lo
	v_cndmask_b32_e32 v3, v5, v3, vcc_lo
	v_mul_f64 v[5:6], v[7:8], v[3:4]
	v_div_scale_f64 v[7:8], null, 0x40080000, 0x40080000, v[5:6]
	v_div_scale_f64 v[13:14], vcc_lo, v[5:6], 0x40080000, v[5:6]
	v_rcp_f64_e32 v[9:10], v[7:8]
	v_fma_f64 v[11:12], -v[7:8], v[9:10], 1.0
	v_fma_f64 v[9:10], v[9:10], v[11:12], v[9:10]
	v_fma_f64 v[11:12], -v[7:8], v[9:10], 1.0
	v_fma_f64 v[9:10], v[9:10], v[11:12], v[9:10]
	v_mul_f64 v[11:12], v[13:14], v[9:10]
	v_fma_f64 v[7:8], -v[7:8], v[11:12], v[13:14]
	v_div_fmas_f64 v[7:8], v[7:8], v[9:10], v[11:12]
	v_div_fixup_f64 v[5:6], v[7:8], 0x40080000, v[5:6]
	v_div_scale_f64 v[7:8], null, v[5:6], v[5:6], 1.0
	v_div_scale_f64 v[13:14], vcc_lo, 1.0, v[5:6], 1.0
	v_rcp_f64_e32 v[9:10], v[7:8]
	v_fma_f64 v[11:12], -v[7:8], v[9:10], 1.0
	v_fma_f64 v[9:10], v[9:10], v[11:12], v[9:10]
	v_fma_f64 v[11:12], -v[7:8], v[9:10], 1.0
	v_fma_f64 v[9:10], v[9:10], v[11:12], v[9:10]
	v_mul_f64 v[11:12], v[13:14], v[9:10]
	v_fma_f64 v[7:8], -v[7:8], v[11:12], v[13:14]
	v_div_fmas_f64 v[7:8], v[7:8], v[9:10], v[11:12]
	v_cmp_gt_f64_e32 vcc_lo, 0x10000000, v[3:4]
	v_div_fixup_f64 v[7:8], v[7:8], v[5:6], 1.0
	v_cndmask_b32_e64 v20, 0, 0x100, vcc_lo
	v_ldexp_f64 v[3:4], v[3:4], v20
	v_fma_f64 v[9:10], v[7:8], 0, s[36:37]
	v_fma_f64 v[11:12], v[7:8], 0, s[0:1]
	s_mov_b32 s0, 0x652b82fe
	s_mov_b32 s1, 0x3ff71547
	;; [unrolled: 1-line block ×3, first 2 shown]
	v_mul_f64 v[13:14], v[5:6], s[0:1]
	s_mov_b32 s0, 0x871a9067
	s_mov_b32 s1, 0x402803e3
	;; [unrolled: 1-line block ×3, first 2 shown]
	v_fma_f64 v[9:10], v[7:8], v[9:10], s[36:37]
	v_fma_f64 v[11:12], v[7:8], v[11:12], s[0:1]
	s_mov_b32 s0, 0xde2e1e3
	s_mov_b32 s36, 0xb04d51a0
	;; [unrolled: 1-line block ×3, first 2 shown]
	v_rndne_f64_e32 v[13:14], v[13:14]
	s_mov_b32 s37, 0x405520e3
	v_fma_f64 v[9:10], v[7:8], v[9:10], s[36:37]
	v_fma_f64 v[11:12], v[7:8], v[11:12], s[0:1]
	s_mov_b32 s0, 0xfefa39ef
	s_mov_b32 s1, 0xbfe62e42
	;; [unrolled: 1-line block ×3, first 2 shown]
	v_fma_f64 v[16:17], v[13:14], s[0:1], v[5:6]
	s_mov_b32 s0, 0xee40073c
	s_mov_b32 s1, 0x406502da
	;; [unrolled: 1-line block ×3, first 2 shown]
	v_fma_f64 v[9:10], v[7:8], v[9:10], s[36:37]
	v_fma_f64 v[11:12], v[7:8], v[11:12], s[0:1]
	s_mov_b32 s0, 0x3b39803f
	s_mov_b32 s1, 0xbc7abc9e
	s_mov_b32 s36, 0x9a9ffa61
	v_fma_f64 v[16:17], v[13:14], s[0:1], v[16:17]
	s_mov_b32 s0, 0x5ba1fddf
	s_mov_b32 s1, 0x4063f834
	;; [unrolled: 1-line block ×3, first 2 shown]
	v_fma_f64 v[9:10], v[7:8], v[9:10], s[36:37]
	v_fma_f64 v[11:12], v[7:8], v[11:12], s[0:1]
	s_mov_b32 s0, 0xfca7ab0c
	s_mov_b32 s36, 0x6a5dcb37
	;; [unrolled: 1-line block ×4, first 2 shown]
	v_fma_f64 v[18:19], v[16:17], s[36:37], s[0:1]
	s_mov_b32 s0, 0x4f4cea4f
	s_mov_b32 s36, 0xee91d35f
	;; [unrolled: 1-line block ×4, first 2 shown]
	v_fma_f64 v[9:10], v[7:8], v[9:10], s[36:37]
	v_fma_f64 v[11:12], v[7:8], v[11:12], s[0:1]
	s_mov_b32 s0, 0x623fde64
	s_mov_b32 s1, 0x3ec71dee
	;; [unrolled: 1-line block ×4, first 2 shown]
	v_fma_f64 v[18:19], v[16:17], v[18:19], s[0:1]
	s_mov_b32 s0, 0x5c2a0f4d
	s_mov_b32 s1, 0x402c0d8d
	v_fma_f64 v[9:10], v[7:8], v[9:10], s[36:37]
	v_fma_f64 v[11:12], v[7:8], v[11:12], s[0:1]
	s_mov_b32 s0, 0x7c89e6b0
	s_mov_b32 s1, 0x3efa0199
	v_fma_f64 v[18:19], v[16:17], v[18:19], s[0:1]
	s_mov_b32 s0, 0x14761f6e
	s_mov_b32 s1, 0x3f2a01a0
	v_fma_f64 v[9:10], v[7:8], v[9:10], 1.0
	v_fma_f64 v[7:8], v[7:8], v[11:12], 1.0
	v_rsq_f64_e32 v[11:12], v[3:4]
	v_fma_f64 v[18:19], v[16:17], v[18:19], s[0:1]
	s_mov_b32 s0, 0x1852b7b0
	s_mov_b32 s1, 0x3f56c16c
	v_div_scale_f64 v[20:21], null, v[9:10], v[9:10], v[7:8]
	v_mul_f64 v[22:23], v[3:4], v[11:12]
	v_mul_f64 v[11:12], v[11:12], 0.5
	v_fma_f64 v[18:19], v[16:17], v[18:19], s[0:1]
	s_mov_b32 s0, 0x11122322
	s_mov_b32 s1, 0x3f811111
	v_rcp_f64_e32 v[24:25], v[20:21]
	v_fma_f64 v[26:27], -v[11:12], v[22:23], 0.5
	v_fma_f64 v[18:19], v[16:17], v[18:19], s[0:1]
	s_mov_b32 s0, 0x555502a1
	s_mov_b32 s1, 0x3fa55555
	v_fma_f64 v[28:29], -v[20:21], v[24:25], 1.0
	v_fma_f64 v[22:23], v[22:23], v[26:27], v[22:23]
	v_fma_f64 v[11:12], v[11:12], v[26:27], v[11:12]
	;; [unrolled: 1-line block ×3, first 2 shown]
	s_mov_b32 s0, 0x55555511
	s_mov_b32 s1, 0x3fc55555
	v_fma_f64 v[24:25], v[24:25], v[28:29], v[24:25]
	v_fma_f64 v[26:27], -v[22:23], v[22:23], v[3:4]
	v_fma_f64 v[18:19], v[16:17], v[18:19], s[0:1]
	s_mov_b32 s0, 11
	s_mov_b32 s1, 0x3fe00000
	v_fma_f64 v[28:29], -v[20:21], v[24:25], 1.0
	v_fma_f64 v[22:23], v[26:27], v[11:12], v[22:23]
	v_fma_f64 v[18:19], v[16:17], v[18:19], s[0:1]
	v_div_scale_f64 v[26:27], s0, v[7:8], v[9:10], v[7:8]
	v_cmp_class_f64_e64 s1, v[3:4], 0x260
	v_fma_f64 v[24:25], v[24:25], v[28:29], v[24:25]
	v_fma_f64 v[28:29], -v[22:23], v[22:23], v[3:4]
	v_fma_f64 v[18:19], v[16:17], v[18:19], 1.0
	v_mul_f64 v[30:31], v[26:27], v[24:25]
	v_fma_f64 v[11:12], v[28:29], v[11:12], v[22:23]
	v_cvt_i32_f64_e32 v22, v[13:14]
	v_fma_f64 v[13:14], v[16:17], v[18:19], 1.0
	v_cndmask_b32_e64 v18, 0, 0xffffff80, vcc_lo
	s_mov_b32 vcc_lo, s0
	v_cmp_ngt_f64_e64 s0, 0xc090cc00, v[5:6]
	v_fma_f64 v[16:17], -v[20:21], v[30:31], v[26:27]
	v_ldexp_f64 v[11:12], v[11:12], v18
	v_ldexp_f64 v[13:14], v[13:14], v22
	v_div_fmas_f64 v[16:17], v[16:17], v[24:25], v[30:31]
	v_cmp_nlt_f64_e32 vcc_lo, 0x40900000, v[5:6]
	v_cndmask_b32_e64 v4, v12, v4, s1
	v_cndmask_b32_e64 v3, v11, v3, s1
	v_add_f64 v[3:4], v[3:4], v[3:4]
	v_div_fixup_f64 v[5:6], v[16:17], v[9:10], v[7:8]
	v_cndmask_b32_e32 v12, 0x7ff00000, v14, vcc_lo
	s_and_b32 vcc_lo, s0, vcc_lo
	v_cndmask_b32_e32 v7, 0, v13, vcc_lo
	v_cndmask_b32_e64 v8, 0, v12, s0
	s_mov_b32 s0, 0x50429b6d
	s_mov_b32 s1, 0x3fe20dd7
	v_mul_f64 v[3:4], v[3:4], v[7:8]
	v_mul_f64 v[5:6], v[5:6], s[0:1]
	s_mov_b32 s0, 0xfd0a823a
	s_mov_b32 s1, 0x4020a402
	v_div_scale_f64 v[7:8], null, v[3:4], v[3:4], v[5:6]
	v_rcp_f64_e32 v[9:10], v[7:8]
	v_fma_f64 v[11:12], -v[7:8], v[9:10], 1.0
	v_fma_f64 v[9:10], v[9:10], v[11:12], v[9:10]
	v_fma_f64 v[11:12], -v[7:8], v[9:10], 1.0
	v_fma_f64 v[9:10], v[9:10], v[11:12], v[9:10]
	v_div_scale_f64 v[11:12], vcc_lo, v[5:6], v[3:4], v[5:6]
	v_mul_f64 v[13:14], v[11:12], v[9:10]
	v_fma_f64 v[7:8], -v[7:8], v[13:14], v[11:12]
	v_div_fmas_f64 v[7:8], v[7:8], v[9:10], v[13:14]
	v_cmp_nlt_f64_e32 vcc_lo, s[0:1], v[1:2]
	s_andn2_b32 s0, s21, exec_lo
	v_div_fixup_f64 v[3:4], v[7:8], v[3:4], v[5:6]
	s_and_b32 s1, vcc_lo, exec_lo
	s_or_b32 s0, s0, s1
.LBB7_237:
	s_or_b32 exec_lo, exec_lo, s34
	s_and_saveexec_b32 s1, s0
	s_cbranch_execz .LBB7_241
; %bb.238:
	v_mul_f64 v[5:6], v[1:2], v[1:2]
	v_mov_b32_e32 v11, 0
	v_mov_b32_e32 v13, 0
	;; [unrolled: 1-line block ×6, first 2 shown]
	s_mov_b32 s34, 0
	v_mul_f64 v[7:8], v[1:2], v[5:6]
	v_mov_b32_e32 v5, 0
	v_mov_b32_e32 v6, 0x3ff00000
.LBB7_239:                              ; =>This Inner Loop Header: Depth=1
	v_mul_f64 v[11:12], v[7:8], v[11:12]
	v_add_f64 v[13:14], v[13:14], 1.0
	v_mul_f64 v[1:2], v[7:8], v[1:2]
	v_div_scale_f64 v[16:17], null, v[13:14], v[13:14], v[11:12]
	v_div_scale_f64 v[22:23], vcc_lo, v[11:12], v[13:14], v[11:12]
	v_rcp_f64_e32 v[18:19], v[16:17]
	v_fma_f64 v[20:21], -v[16:17], v[18:19], 1.0
	v_fma_f64 v[18:19], v[18:19], v[20:21], v[18:19]
	v_fma_f64 v[20:21], -v[16:17], v[18:19], 1.0
	v_fma_f64 v[18:19], v[18:19], v[20:21], v[18:19]
	v_mul_f64 v[20:21], v[22:23], v[18:19]
	v_fma_f64 v[16:17], -v[16:17], v[20:21], v[22:23]
	v_div_fmas_f64 v[16:17], v[16:17], v[18:19], v[20:21]
	v_add_f64 v[18:19], v[13:14], 1.0
	v_div_fixup_f64 v[11:12], v[16:17], v[13:14], v[11:12]
	v_div_scale_f64 v[13:14], null, v[18:19], v[18:19], v[1:2]
	v_div_scale_f64 v[28:29], vcc_lo, v[1:2], v[18:19], v[1:2]
	v_div_scale_f64 v[16:17], null, v[18:19], v[18:19], v[11:12]
	v_rcp_f64_e32 v[20:21], v[13:14]
	v_rcp_f64_e32 v[22:23], v[16:17]
	v_fma_f64 v[24:25], -v[13:14], v[20:21], 1.0
	v_fma_f64 v[26:27], -v[16:17], v[22:23], 1.0
	v_fma_f64 v[20:21], v[20:21], v[24:25], v[20:21]
	v_fma_f64 v[22:23], v[22:23], v[26:27], v[22:23]
	v_fma_f64 v[24:25], -v[13:14], v[20:21], 1.0
	v_fma_f64 v[26:27], -v[16:17], v[22:23], 1.0
	v_fma_f64 v[20:21], v[20:21], v[24:25], v[20:21]
	v_div_scale_f64 v[24:25], s0, v[11:12], v[18:19], v[11:12]
	v_fma_f64 v[22:23], v[22:23], v[26:27], v[22:23]
	v_mul_f64 v[26:27], v[28:29], v[20:21]
	v_mul_f64 v[30:31], v[24:25], v[22:23]
	v_fma_f64 v[13:14], -v[13:14], v[26:27], v[28:29]
	v_fma_f64 v[16:17], -v[16:17], v[30:31], v[24:25]
	v_div_fmas_f64 v[20:21], v[13:14], v[20:21], v[26:27]
	s_mov_b32 vcc_lo, s0
	v_div_fmas_f64 v[13:14], v[16:17], v[22:23], v[30:31]
	v_div_fixup_f64 v[1:2], v[20:21], v[18:19], v[1:2]
	v_div_fixup_f64 v[11:12], v[13:14], v[18:19], v[11:12]
	v_add_f64 v[13:14], v[18:19], 1.0
	v_add_f64 v[5:6], v[5:6], v[11:12]
	v_div_scale_f64 v[16:17], null, v[13:14], v[13:14], v[1:2]
	v_div_scale_f64 v[28:29], vcc_lo, v[1:2], v[13:14], v[1:2]
	v_div_scale_f64 v[18:19], null, v[5:6], v[5:6], v[11:12]
	v_rcp_f64_e32 v[20:21], v[16:17]
	v_rcp_f64_e32 v[22:23], v[18:19]
	v_fma_f64 v[24:25], -v[16:17], v[20:21], 1.0
	v_fma_f64 v[26:27], -v[18:19], v[22:23], 1.0
	v_fma_f64 v[20:21], v[20:21], v[24:25], v[20:21]
	v_fma_f64 v[22:23], v[22:23], v[26:27], v[22:23]
	v_fma_f64 v[24:25], -v[16:17], v[20:21], 1.0
	v_fma_f64 v[26:27], -v[18:19], v[22:23], 1.0
	v_fma_f64 v[20:21], v[20:21], v[24:25], v[20:21]
	v_div_scale_f64 v[24:25], s0, v[11:12], v[5:6], v[11:12]
	v_fma_f64 v[22:23], v[22:23], v[26:27], v[22:23]
	v_mul_f64 v[26:27], v[28:29], v[20:21]
	v_mul_f64 v[30:31], v[24:25], v[22:23]
	v_fma_f64 v[16:17], -v[16:17], v[26:27], v[28:29]
	v_fma_f64 v[18:19], -v[18:19], v[30:31], v[24:25]
	v_div_fmas_f64 v[16:17], v[16:17], v[20:21], v[26:27]
	s_mov_b32 vcc_lo, s0
	v_div_fmas_f64 v[18:19], v[18:19], v[22:23], v[30:31]
	v_div_fixup_f64 v[1:2], v[16:17], v[13:14], v[1:2]
	v_div_fixup_f64 v[18:19], v[18:19], v[5:6], v[11:12]
	v_add_f64 v[9:10], v[9:10], v[1:2]
	v_cmp_nlt_f64_e64 s0, 0x3cb00000, |v[18:19]|
	s_or_b32 s34, s0, s34
	s_andn2_b32 exec_lo, exec_lo, s34
	s_cbranch_execnz .LBB7_239
; %bb.240:
	s_or_b32 exec_lo, exec_lo, s34
	s_mov_b32 s34, 0x42b70f8b
	s_mov_b32 s35, 0xbfd0907f
	v_mul_f64 v[1:2], v[9:10], s[34:35]
	s_mov_b32 s34, 0x962715b8
	s_mov_b32 s35, 0x3fd6b8c7
	v_fma_f64 v[1:2], v[5:6], s[34:35], v[1:2]
	v_cndmask_b32_e64 v4, v4, v2, s21
	v_cndmask_b32_e64 v3, v3, v1, s21
.LBB7_241:
	s_or_b32 exec_lo, exec_lo, s1
                                        ; implicit-def: $vgpr1_vgpr2
.LBB7_242:
	s_andn2_saveexec_b32 s34, s20
	s_cbranch_execz .LBB7_261
; %bb.243:
	v_cmp_lt_f64_e32 vcc_lo, 0x90000000, v[1:2]
	s_mov_b32 s1, 0x3fe921fb
	s_mov_b32 s0, 0x54442d18
                                        ; implicit-def: $vgpr16
	v_cndmask_b32_e64 v3, 0, 0x100, vcc_lo
	v_ldexp_f64 v[3:4], -v[1:2], v3
	v_mul_f64 v[1:2], v[1:2], -2.0
	v_rsq_f64_e32 v[5:6], v[3:4]
	v_mul_f64 v[7:8], v[3:4], v[5:6]
	v_mul_f64 v[5:6], v[5:6], 0.5
	v_fma_f64 v[9:10], -v[5:6], v[7:8], 0.5
	v_fma_f64 v[7:8], v[7:8], v[9:10], v[7:8]
	v_fma_f64 v[5:6], v[5:6], v[9:10], v[5:6]
	v_fma_f64 v[9:10], -v[7:8], v[7:8], v[3:4]
	v_fma_f64 v[7:8], v[9:10], v[5:6], v[7:8]
	v_fma_f64 v[9:10], -v[7:8], v[7:8], v[3:4]
	v_fma_f64 v[5:6], v[9:10], v[5:6], v[7:8]
	v_cndmask_b32_e64 v7, 0, 0xffffff80, vcc_lo
	v_cmp_class_f64_e64 vcc_lo, v[3:4], 0x260
	v_ldexp_f64 v[5:6], v[5:6], v7
	v_cndmask_b32_e32 v8, v6, v4, vcc_lo
	v_cndmask_b32_e32 v7, v5, v3, vcc_lo
	v_mul_f64 v[1:2], v[1:2], v[7:8]
	v_div_scale_f64 v[3:4], null, 0x40080000, 0x40080000, v[1:2]
	v_rcp_f64_e32 v[5:6], v[3:4]
	v_fma_f64 v[9:10], -v[3:4], v[5:6], 1.0
	v_fma_f64 v[5:6], v[5:6], v[9:10], v[5:6]
	v_fma_f64 v[9:10], -v[3:4], v[5:6], 1.0
	v_fma_f64 v[5:6], v[5:6], v[9:10], v[5:6]
	v_div_scale_f64 v[9:10], vcc_lo, v[1:2], 0x40080000, v[1:2]
	v_mul_f64 v[11:12], v[9:10], v[5:6]
	v_fma_f64 v[3:4], -v[3:4], v[11:12], v[9:10]
	v_div_fmas_f64 v[3:4], v[3:4], v[5:6], v[11:12]
                                        ; implicit-def: $vgpr5_vgpr6
	v_div_fixup_f64 v[13:14], v[3:4], 0x40080000, v[1:2]
                                        ; implicit-def: $vgpr3_vgpr4
	v_add_f64 v[1:2], v[13:14], s[0:1]
	v_cmp_ngt_f64_e64 s20, 0x41d00000, |v[1:2]|
	s_and_saveexec_b32 s1, s20
	s_xor_b32 s21, exec_lo, s1
	s_cbranch_execz .LBB7_254
; %bb.244:
	v_ldexp_f64 v[3:4], |v[1:2]|, 0xffffff80
	v_cmp_le_f64_e64 vcc_lo, 0x7b000000, |v[1:2]|
	v_trig_preop_f64 v[5:6], |v[1:2]|, 0
	v_and_b32_e32 v9, 0x7fffffff, v2
	v_trig_preop_f64 v[22:23], |v[1:2]|, 2
	v_mov_b32_e32 v30, 0
	s_mov_b32 s1, 0x3ff921fb
	s_mov_b32 s36, 0x33145c07
	;; [unrolled: 1-line block ×3, first 2 shown]
	v_cndmask_b32_e32 v4, v9, v4, vcc_lo
	v_cndmask_b32_e32 v3, v1, v3, vcc_lo
	v_trig_preop_f64 v[9:10], |v[1:2]|, 1
	v_mul_f64 v[11:12], v[5:6], v[3:4]
	v_mul_f64 v[28:29], v[22:23], v[3:4]
	;; [unrolled: 1-line block ×3, first 2 shown]
	v_fma_f64 v[5:6], v[5:6], v[3:4], -v[11:12]
	v_fma_f64 v[9:10], v[9:10], v[3:4], -v[16:17]
	;; [unrolled: 1-line block ×3, first 2 shown]
	v_add_f64 v[18:19], v[16:17], v[5:6]
	v_add_f64 v[20:21], v[18:19], -v[16:17]
	v_add_f64 v[26:27], v[11:12], v[18:19]
	v_add_f64 v[24:25], v[18:19], -v[20:21]
	v_add_f64 v[5:6], v[5:6], -v[20:21]
	v_ldexp_f64 v[20:21], v[26:27], -2
	v_add_f64 v[11:12], v[26:27], -v[11:12]
	v_add_f64 v[16:17], v[16:17], -v[24:25]
	v_add_f64 v[24:25], v[28:29], v[9:10]
	v_cmp_neq_f64_e64 vcc_lo, 0x7ff00000, |v[20:21]|
	v_add_f64 v[11:12], v[18:19], -v[11:12]
	v_add_f64 v[5:6], v[5:6], v[16:17]
	v_fract_f64_e32 v[16:17], v[20:21]
	v_add_f64 v[18:19], v[24:25], v[5:6]
	v_ldexp_f64 v[16:17], v[16:17], 2
	v_add_f64 v[20:21], v[11:12], v[18:19]
	v_cndmask_b32_e32 v17, 0, v17, vcc_lo
	v_cndmask_b32_e32 v16, 0, v16, vcc_lo
	v_add_f64 v[26:27], v[20:21], v[16:17]
	v_add_f64 v[11:12], v[20:21], -v[11:12]
	v_cmp_gt_f64_e32 vcc_lo, 0, v[26:27]
	v_add_f64 v[26:27], v[24:25], -v[28:29]
	v_add_f64 v[11:12], v[18:19], -v[11:12]
	v_cndmask_b32_e64 v31, 0, 0x40100000, vcc_lo
	v_add_f64 v[35:36], v[24:25], -v[26:27]
	v_add_f64 v[9:10], v[9:10], -v[26:27]
	v_add_f64 v[16:17], v[16:17], v[30:31]
	v_add_f64 v[31:32], v[18:19], -v[24:25]
	v_add_f64 v[26:27], v[28:29], -v[35:36]
	v_add_f64 v[33:34], v[20:21], v[16:17]
	;; [unrolled: 3-line block ×3, first 2 shown]
	v_cvt_i32_f64_e32 v33, v[33:34]
	v_add_f64 v[24:25], v[24:25], -v[37:38]
	v_cvt_f64_i32_e32 v[31:32], v33
	v_add_f64 v[5:6], v[5:6], v[24:25]
	v_add_f64 v[16:17], v[16:17], -v[31:32]
	v_add_f64 v[5:6], v[9:10], v[5:6]
	v_add_f64 v[9:10], v[20:21], v[16:17]
	;; [unrolled: 1-line block ×3, first 2 shown]
	v_add_f64 v[5:6], v[9:10], -v[16:17]
	v_cmp_le_f64_e32 vcc_lo, 0.5, v[9:10]
	v_add_f64 v[3:4], v[11:12], v[3:4]
	v_add_f64 v[5:6], v[20:21], -v[5:6]
	v_cndmask_b32_e64 v31, 0, 0x3ff00000, vcc_lo
	v_add_co_ci_u32_e64 v16, null, 0, v33, vcc_lo
	v_add_f64 v[3:4], v[3:4], v[5:6]
	v_add_f64 v[5:6], v[9:10], -v[30:31]
	v_add_f64 v[9:10], v[5:6], v[3:4]
	v_mul_f64 v[11:12], v[9:10], s[0:1]
	v_add_f64 v[5:6], v[9:10], -v[5:6]
	v_fma_f64 v[17:18], v[9:10], s[0:1], -v[11:12]
	v_add_f64 v[3:4], v[3:4], -v[5:6]
	v_fma_f64 v[5:6], v[9:10], s[36:37], v[17:18]
	v_fma_f64 v[5:6], v[3:4], s[0:1], v[5:6]
	v_add_f64 v[3:4], v[11:12], v[5:6]
	v_add_f64 v[9:10], v[3:4], -v[11:12]
	v_add_f64 v[5:6], v[5:6], -v[9:10]
	s_andn2_saveexec_b32 s0, s21
	s_cbranch_execz .LBB7_256
	s_branch .LBB7_255
.LBB7_245:
	s_andn2_saveexec_b32 s0, s0
	s_cbranch_execz .LBB7_247
.LBB7_246:
	s_mov_b32 s20, 0x6dc9c883
	s_mov_b32 s21, 0x3fe45f30
	;; [unrolled: 1-line block ×3, first 2 shown]
	v_mul_f64 v[9:10], |v[1:2]|, s[20:21]
	s_mov_b32 s20, 0x54442d18
	s_mov_b32 s21, 0xbff921fb
	;; [unrolled: 1-line block ×3, first 2 shown]
	v_rndne_f64_e32 v[17:18], v[9:10]
	v_fma_f64 v[9:10], v[17:18], s[20:21], |v[1:2]|
	v_mul_f64 v[11:12], v[17:18], s[36:37]
	s_mov_b32 s20, 0x252049c0
	s_mov_b32 s21, 0xb97b839a
	v_fma_f64 v[21:22], v[17:18], s[36:37], v[9:10]
	v_add_f64 v[19:20], v[9:10], v[11:12]
	s_mov_b32 s37, 0x3c91a626
	v_add_f64 v[9:10], v[9:10], -v[19:20]
	v_add_f64 v[19:20], v[19:20], -v[21:22]
	v_add_f64 v[9:10], v[9:10], v[11:12]
	v_fma_f64 v[11:12], v[17:18], s[36:37], v[11:12]
	v_add_f64 v[9:10], v[19:20], v[9:10]
	v_add_f64 v[9:10], v[9:10], -v[11:12]
	v_fma_f64 v[11:12], v[17:18], s[20:21], v[9:10]
	v_cvt_i32_f64_e32 v17, v[17:18]
	v_add_f64 v[9:10], v[21:22], v[11:12]
	v_add_f64 v[19:20], v[9:10], -v[21:22]
	v_add_f64 v[11:12], v[11:12], -v[19:20]
.LBB7_247:
	s_or_b32 exec_lo, exec_lo, s0
	v_div_scale_f64 v[18:19], null, v[13:14], v[13:14], 1.0
	v_div_scale_f64 v[24:25], vcc_lo, 1.0, v[13:14], 1.0
	s_mov_b32 s0, 0xddcfbbde
	s_mov_b32 s1, 0x3f943525
	;; [unrolled: 1-line block ×8, first 2 shown]
	v_mul_f64 v[64:65], v[11:12], 0.5
	v_rcp_f64_e32 v[20:21], v[18:19]
	v_fma_f64 v[22:23], -v[18:19], v[20:21], 1.0
	v_fma_f64 v[20:21], v[20:21], v[22:23], v[20:21]
	v_fma_f64 v[22:23], -v[18:19], v[20:21], 1.0
	v_fma_f64 v[20:21], v[20:21], v[22:23], v[20:21]
	v_mul_f64 v[22:23], v[24:25], v[20:21]
	v_fma_f64 v[18:19], -v[18:19], v[22:23], v[24:25]
	v_div_fmas_f64 v[18:19], v[18:19], v[20:21], v[22:23]
	v_cmp_gt_f64_e32 vcc_lo, 0x10000000, v[7:8]
	v_div_fixup_f64 v[13:14], v[18:19], v[13:14], 1.0
	v_cndmask_b32_e64 v22, 0, 0x100, vcc_lo
	v_ldexp_f64 v[7:8], v[7:8], v22
	v_mul_f64 v[18:19], v[13:14], v[13:14]
	v_rsq_f64_e32 v[26:27], v[7:8]
	v_fma_f64 v[20:21], v[18:19], 0, s[0:1]
	s_mov_b32 s0, 0x6437b7
	s_mov_b32 s1, 0x3fd907d5
	v_mul_f64 v[30:31], v[7:8], v[26:27]
	v_mul_f64 v[26:27], v[26:27], 0.5
	v_fma_f64 v[20:21], v[18:19], v[20:21], s[0:1]
	s_mov_b32 s0, 0xd50ae6fb
	s_mov_b32 s1, 0xbfc0db6c
	v_fma_f64 v[22:23], v[18:19], 0, s[0:1]
	s_mov_b32 s0, 0xf3d56b40
	s_mov_b32 s1, 0x40229e2b
	;; [unrolled: 3-line block ×3, first 2 shown]
	v_fma_f64 v[32:33], -v[26:27], v[30:31], 0.5
	v_fma_f64 v[20:21], v[18:19], v[20:21], s[20:21]
	s_mov_b32 s20, 0x2572edf2
	s_mov_b32 s21, 0x402ab64b
	v_fma_f64 v[28:29], v[18:19], 0, s[20:21]
	v_fma_f64 v[22:23], v[18:19], v[22:23], s[0:1]
	s_mov_b32 s0, 0xc0ef18d4
	s_mov_b32 s1, 0x4033d5d5
	;; [unrolled: 1-line block ×3, first 2 shown]
	v_fma_f64 v[24:25], v[18:19], v[24:25], s[0:1]
	s_mov_b32 s0, 0xc2f79f7d
	s_mov_b32 s1, 0xbfe62e59
	;; [unrolled: 1-line block ×3, first 2 shown]
	v_fma_f64 v[30:31], v[30:31], v[32:33], v[30:31]
	v_fma_f64 v[26:27], v[26:27], v[32:33], v[26:27]
	v_fma_f64 v[20:21], v[18:19], v[20:21], s[36:37]
	s_mov_b32 s36, 0xcea8fe1d
	s_mov_b32 s37, 0x3fd67e69
	v_fma_f64 v[28:29], v[18:19], v[28:29], s[20:21]
	v_fma_f64 v[22:23], v[18:19], v[22:23], s[0:1]
	s_mov_b32 s0, 0x7ea7dc35
	s_mov_b32 s1, 0x402f211b
	s_mov_b32 s20, 0xa3b73410
	v_fma_f64 v[24:25], v[18:19], v[24:25], s[0:1]
	s_mov_b32 s0, 0x4bb3f40b
	s_mov_b32 s1, 0xbfd1e7ea
	;; [unrolled: 1-line block ×3, first 2 shown]
	v_fma_f64 v[32:33], -v[30:31], v[30:31], v[7:8]
	v_fma_f64 v[20:21], v[18:19], v[20:21], s[36:37]
	s_mov_b32 s36, 0x21e90978
	s_mov_b32 s37, 0x3fb03a41
	v_fma_f64 v[28:29], v[18:19], v[28:29], s[20:21]
	v_fma_f64 v[22:23], v[18:19], v[22:23], s[0:1]
	s_mov_b32 s0, 0x2b79dbce
	s_mov_b32 s1, 0x4015e84e
	;; [unrolled: 1-line block ×3, first 2 shown]
	v_fma_f64 v[24:25], v[18:19], v[24:25], s[0:1]
	s_mov_b32 s0, 0xf47dbd8a
	s_mov_b32 s1, 0xbfa92f6e
	;; [unrolled: 1-line block ×3, first 2 shown]
	v_fma_f64 v[30:31], v[32:33], v[26:27], v[30:31]
	v_fma_f64 v[20:21], v[18:19], v[20:21], s[36:37]
	s_mov_b32 s36, 0xf12f5043
	s_mov_b32 s37, 0x3f77fe99
	v_fma_f64 v[28:29], v[18:19], v[28:29], s[20:21]
	v_fma_f64 v[22:23], v[18:19], v[22:23], s[0:1]
	s_mov_b32 s0, 0xc195ece3
	s_mov_b32 s1, 0x3fee8992
	;; [unrolled: 1-line block ×3, first 2 shown]
	v_fma_f64 v[24:25], v[18:19], v[24:25], s[0:1]
	s_mov_b32 s0, 0xc8d9e090
	s_mov_b32 s1, 0xbf70a401
	;; [unrolled: 1-line block ×3, first 2 shown]
	v_fma_f64 v[32:33], -v[30:31], v[30:31], v[7:8]
	v_fma_f64 v[20:21], v[18:19], v[20:21], s[36:37]
	s_mov_b32 s36, 0x600e17a2
	s_mov_b32 s37, 0x3f328976
	v_fma_f64 v[28:29], v[18:19], v[28:29], s[20:21]
	v_fma_f64 v[22:23], v[18:19], v[22:23], s[0:1]
	s_mov_b32 s0, 0xed64a9ee
	s_mov_b32 s1, 0x3fb6221d
	;; [unrolled: 1-line block ×3, first 2 shown]
	v_fma_f64 v[24:25], v[18:19], v[24:25], s[0:1]
	s_mov_b32 s0, 0xaf4b009c
	s_mov_b32 s1, 0xbf24e06e
	;; [unrolled: 1-line block ×3, first 2 shown]
	v_fma_f64 v[26:27], v[32:33], v[26:27], v[30:31]
	v_cndmask_b32_e64 v30, 0, 0xffffff80, vcc_lo
	v_cmp_class_f64_e64 vcc_lo, v[7:8], 0x260
	v_mul_f64 v[32:33], v[9:10], v[9:10]
	v_fma_f64 v[20:21], v[18:19], v[20:21], s[36:37]
	s_mov_b32 s36, 0x69f8574e
	s_mov_b32 s37, 0x3edd4f3d
	v_fma_f64 v[28:29], v[18:19], v[28:29], s[20:21]
	v_fma_f64 v[22:23], v[18:19], v[22:23], s[0:1]
	s_mov_b32 s0, 0x6be393bb
	s_mov_b32 s1, 0x3f70e704
	;; [unrolled: 1-line block ×3, first 2 shown]
	v_fma_f64 v[24:25], v[18:19], v[24:25], s[0:1]
	s_mov_b32 s0, 0x1d42366d
	s_mov_b32 s1, 0xbec74a78
	;; [unrolled: 1-line block ×3, first 2 shown]
	v_ldexp_f64 v[26:27], v[26:27], v30
	v_mul_f64 v[56:57], v[32:33], 0.5
	v_mul_f64 v[66:67], v[9:10], -v[32:33]
	v_fma_f64 v[20:21], v[18:19], v[20:21], s[36:37]
	s_mov_b32 s36, 0xbbad11c8
	s_mov_b32 s37, 0x3e75ca92
	v_fma_f64 v[28:29], v[18:19], v[28:29], s[20:21]
	v_fma_f64 v[22:23], v[18:19], v[22:23], s[0:1]
	s_mov_b32 s0, 0xd603a5a0
	s_mov_b32 s1, 0x3f1a8b61
	;; [unrolled: 1-line block ×3, first 2 shown]
	v_fma_f64 v[24:25], v[18:19], v[24:25], s[0:1]
	s_mov_b32 s0, 0xaf76e73b
	s_mov_b32 s1, 0x3f13c8d7
	;; [unrolled: 1-line block ×3, first 2 shown]
	v_cndmask_b32_e32 v8, v27, v8, vcc_lo
	v_cndmask_b32_e32 v7, v26, v7, vcc_lo
	v_fma_f64 v[20:21], v[18:19], v[20:21], s[36:37]
	s_mov_b32 s36, 0x7d97ee7a
	s_mov_b32 s37, 0x3df778a4
	v_fma_f64 v[28:29], v[18:19], v[28:29], s[0:1]
	v_fma_f64 v[22:23], v[18:19], v[22:23], s[20:21]
	s_mov_b32 s0, 0xdb0724e8
	s_mov_b32 s1, 0x3eb3a845
	;; [unrolled: 1-line block ×3, first 2 shown]
	v_fma_f64 v[24:25], v[18:19], v[24:25], s[0:1]
	s_mov_b32 s0, 0xb99518a7
	s_mov_b32 s1, 0x3e9e52b9
	;; [unrolled: 1-line block ×3, first 2 shown]
	v_div_scale_f64 v[26:27], null, v[7:8], v[7:8], s[20:21]
	v_fma_f64 v[20:21], v[18:19], v[20:21], s[36:37]
	s_mov_b32 s36, 0xf9a43bb8
	s_mov_b32 s37, 0x3de5e0b2
	v_fma_f64 v[28:29], v[18:19], v[28:29], s[0:1]
	v_mul_f64 v[22:23], v[18:19], v[22:23]
	s_mov_b32 s0, 0x3dd589d4
	s_mov_b32 s1, 0x3e351fc7
	v_fma_f64 v[18:19], v[18:19], v[24:25], s[0:1]
	s_mov_b32 s0, 0xb42fdfa7
	s_mov_b32 s1, 0xbe5ae600
	v_fma_f64 v[42:43], v[32:33], s[36:37], s[0:1]
	v_rcp_f64_e32 v[38:39], v[26:27]
	v_mul_f64 v[13:14], v[13:14], v[20:21]
	v_mul_f64 v[20:21], v[3:4], v[3:4]
	v_div_scale_f64 v[24:25], null, v[28:29], v[28:29], v[22:23]
	v_fma_f64 v[42:43], v[32:33], v[42:43], s[38:39]
	v_fma_f64 v[50:51], -v[26:27], v[38:39], 1.0
	v_div_scale_f64 v[30:31], null, v[18:19], v[18:19], v[13:14]
	v_fma_f64 v[34:35], v[20:21], s[36:37], s[0:1]
	s_mov_b32 s0, 0x9037ab78
	s_mov_b32 s36, 0x46cc5e42
	v_rcp_f64_e32 v[36:37], v[24:25]
	s_mov_b32 s1, 0x3e21eeb6
	s_mov_b32 s37, 0xbda907db
	v_mul_f64 v[46:47], v[20:21], 0.5
	v_fma_f64 v[44:45], v[20:21], s[36:37], s[0:1]
	v_fma_f64 v[54:55], v[32:33], s[36:37], s[0:1]
	s_mov_b32 s0, 0xa17f65f6
	s_mov_b32 s36, 0x19e83e5c
	;; [unrolled: 1-line block ×4, first 2 shown]
	v_fma_f64 v[38:39], v[38:39], v[50:51], v[38:39]
	v_fma_f64 v[42:43], v[32:33], v[42:43], s[36:37]
	v_add_f64 v[50:51], -v[56:57], 1.0
	v_rcp_f64_e32 v[40:41], v[30:31]
	v_fma_f64 v[34:35], v[20:21], v[34:35], s[38:39]
	v_fma_f64 v[48:49], -v[24:25], v[36:37], 1.0
	v_add_f64 v[58:59], -v[46:47], 1.0
	v_fma_f64 v[44:45], v[20:21], v[44:45], s[0:1]
	v_fma_f64 v[68:69], -v[26:27], v[38:39], 1.0
	v_add_f64 v[72:73], -v[50:51], 1.0
	v_fma_f64 v[34:35], v[20:21], v[34:35], s[36:37]
	v_fma_f64 v[52:53], -v[30:31], v[40:41], 1.0
	s_mov_b32 s36, 0x19f4ec90
	s_mov_b32 s37, 0x3efa01a0
	v_fma_f64 v[36:37], v[36:37], v[48:49], v[36:37]
	v_fma_f64 v[48:49], v[32:33], v[54:55], s[0:1]
	s_mov_b32 s0, 0x11110bb3
	s_mov_b32 s1, 0x3f811111
	v_mul_f64 v[54:55], v[3:4], -v[20:21]
	v_fma_f64 v[44:45], v[20:21], v[44:45], s[36:37]
	v_add_f64 v[60:61], -v[58:59], 1.0
	v_fma_f64 v[42:43], v[32:33], v[42:43], s[0:1]
	v_fma_f64 v[38:39], v[38:39], v[68:69], v[38:39]
	v_add_f64 v[56:57], v[72:73], -v[56:57]
	v_fma_f64 v[34:35], v[20:21], v[34:35], s[0:1]
	v_fma_f64 v[40:41], v[40:41], v[52:53], v[40:41]
	v_mul_f64 v[52:53], v[5:6], 0.5
	v_fma_f64 v[62:63], -v[24:25], v[36:37], 1.0
	v_fma_f64 v[48:49], v[32:33], v[48:49], s[36:37]
	s_mov_b32 s36, 0x16c16967
	s_mov_b32 s37, 0xbf56c16c
	v_fma_f64 v[44:45], v[20:21], v[44:45], s[36:37]
	v_add_f64 v[46:47], v[60:61], -v[46:47]
	v_div_scale_f64 v[60:61], s0, s[20:21], v[7:8], s[20:21]
	v_fma_f64 v[42:43], v[66:67], v[42:43], v[64:65]
	v_mul_f64 v[64:65], v[20:21], v[20:21]
	v_fma_f64 v[70:71], -v[30:31], v[40:41], 1.0
	v_fma_f64 v[34:35], v[54:55], v[34:35], v[52:53]
	v_div_scale_f64 v[52:53], vcc_lo, v[22:23], v[28:29], v[22:23]
	v_fma_f64 v[36:37], v[36:37], v[62:63], v[36:37]
	v_div_scale_f64 v[62:63], s1, v[13:14], v[18:19], v[13:14]
	v_fma_f64 v[48:49], v[32:33], v[48:49], s[36:37]
	s_mov_b32 s36, 0x55555555
	s_mov_b32 s37, 0x3fa55555
	v_fma_f64 v[46:47], v[3:4], -v[5:6], v[46:47]
	v_fma_f64 v[44:45], v[20:21], v[44:45], s[36:37]
	v_fma_f64 v[42:43], v[32:33], v[42:43], -v[11:12]
	v_fma_f64 v[11:12], v[9:10], -v[11:12], v[56:57]
	v_fma_f64 v[40:41], v[40:41], v[70:71], v[40:41]
	v_fma_f64 v[5:6], v[20:21], v[34:35], -v[5:6]
	v_mul_f64 v[34:35], v[60:61], v[38:39]
	v_mul_f64 v[70:71], v[32:33], v[32:33]
	;; [unrolled: 1-line block ×3, first 2 shown]
	v_fma_f64 v[32:33], v[32:33], v[48:49], s[36:37]
	s_mov_b32 s37, 0xbfc55555
	v_fma_f64 v[44:45], v[64:65], v[44:45], v[46:47]
	v_fma_f64 v[42:43], v[66:67], s[36:37], v[42:43]
	v_mul_f64 v[68:69], v[62:63], v[40:41]
	v_fma_f64 v[5:6], v[54:55], s[36:37], v[5:6]
	v_fma_f64 v[26:27], -v[26:27], v[34:35], v[60:61]
	v_fma_f64 v[24:25], -v[24:25], v[20:21], v[52:53]
	v_fma_f64 v[11:12], v[70:71], v[32:33], v[11:12]
	v_add_f64 v[32:33], v[58:59], v[44:45]
	v_add_f64 v[9:10], v[9:10], -v[42:43]
	v_fma_f64 v[30:31], -v[30:31], v[68:69], v[62:63]
	v_add_f64 v[3:4], v[3:4], -v[5:6]
	v_div_fmas_f64 v[5:6], v[24:25], v[36:37], v[20:21]
	s_mov_b32 vcc_lo, s0
	v_cmp_class_f64_e64 s0, v[1:2], 0x1f8
	v_div_fmas_f64 v[20:21], v[26:27], v[38:39], v[34:35]
	s_mov_b32 vcc_lo, s1
	v_add_f64 v[11:12], v[50:51], v[11:12]
	v_and_b32_e32 v1, 1, v17
	v_and_b32_e32 v26, 1, v16
	v_xor_b32_e32 v10, 0x80000000, v10
	v_cmp_eq_u32_e64 s1, 0, v1
	v_lshlrev_b32_e32 v1, 30, v17
	v_and_b32_e32 v1, 0x80000000, v1
	v_div_fmas_f64 v[24:25], v[30:31], v[40:41], v[68:69]
	v_cmp_eq_u32_e32 vcc_lo, 0, v26
	v_div_fixup_f64 v[5:6], v[5:6], v[28:29], v[22:23]
	v_cndmask_b32_e32 v3, v32, v3, vcc_lo
	v_cndmask_b32_e64 v10, v10, v12, s1
	v_cndmask_b32_e64 v9, v9, v11, s1
	v_xor_b32_e32 v10, v10, v1
	v_cndmask_b32_e64 v9, 0, v9, s0
	v_cndmask_b32_e64 v1, 0, v3, s0
	v_lshlrev_b32_e32 v3, 30, v16
	v_cndmask_b32_e64 v10, 0x7ff80000, v10, s0
	v_xor_b32_e32 v2, v3, v2
	v_div_fixup_f64 v[13:14], v[24:25], v[18:19], v[13:14]
	v_cndmask_b32_e32 v3, v33, v4, vcc_lo
	v_add_f64 v[5:6], v[5:6], 1.0
	v_and_b32_e32 v2, 0x80000000, v2
	v_xor_b32_e32 v2, v3, v2
	v_div_fixup_f64 v[3:4], v[20:21], v[7:8], s[20:21]
	v_cndmask_b32_e64 v2, 0x7ff80000, v2, s0
	v_mul_f64 v[9:10], v[13:14], v[9:10]
	v_fma_f64 v[1:2], v[5:6], v[1:2], -v[9:10]
	v_mul_f64 v[3:4], v[3:4], v[1:2]
.LBB7_248:
	s_or_b32 exec_lo, exec_lo, s34
.LBB7_249:
	s_or_b32 exec_lo, exec_lo, s33
.LBB7_250:
	s_or_b32 exec_lo, exec_lo, s31
	v_add_nc_u32_e32 v15, 0x80, v15
	global_store_dwordx2 v0, v[3:4], s[4:5]
	s_or_b32 exec_lo, exec_lo, s30
	s_mov_b32 s30, exec_lo
	v_cmpx_gt_i32_e64 s27, v15
	s_cbranch_execnz .LBB7_218
.LBB7_251:
	s_or_b32 exec_lo, exec_lo, s30
	s_mov_b32 s20, exec_lo
	v_cmpx_gt_i32_e64 s27, v15
	s_cbranch_execnz .LBB7_264
.LBB7_252:
	s_or_b32 exec_lo, exec_lo, s20
                                        ; implicit-def: $vgpr9
                                        ; implicit-def: $vgpr15
	s_andn2_saveexec_b32 s0, s25
	s_cbranch_execnz .LBB7_8
.LBB7_253:
	s_endpgm
.LBB7_254:
	s_andn2_saveexec_b32 s0, s21
	s_cbranch_execz .LBB7_256
.LBB7_255:
	s_mov_b32 s36, 0x6dc9c883
	s_mov_b32 s37, 0x3fe45f30
	;; [unrolled: 1-line block ×3, first 2 shown]
	v_mul_f64 v[3:4], |v[1:2]|, s[36:37]
	s_mov_b32 s36, 0x54442d18
	s_mov_b32 s37, 0xbff921fb
	;; [unrolled: 1-line block ×3, first 2 shown]
	v_rndne_f64_e32 v[9:10], v[3:4]
	v_fma_f64 v[3:4], v[9:10], s[36:37], |v[1:2]|
	v_mul_f64 v[5:6], v[9:10], s[38:39]
	s_mov_b32 s36, 0x252049c0
	s_mov_b32 s37, 0xb97b839a
	v_fma_f64 v[16:17], v[9:10], s[38:39], v[3:4]
	v_add_f64 v[11:12], v[3:4], v[5:6]
	s_mov_b32 s39, 0x3c91a626
	v_add_f64 v[3:4], v[3:4], -v[11:12]
	v_add_f64 v[11:12], v[11:12], -v[16:17]
	v_add_f64 v[3:4], v[3:4], v[5:6]
	v_fma_f64 v[5:6], v[9:10], s[38:39], v[5:6]
	v_add_f64 v[3:4], v[11:12], v[3:4]
	v_add_f64 v[3:4], v[3:4], -v[5:6]
	v_fma_f64 v[5:6], v[9:10], s[36:37], v[3:4]
	v_add_f64 v[3:4], v[16:17], v[5:6]
	v_add_f64 v[11:12], v[3:4], -v[16:17]
	v_cvt_i32_f64_e32 v16, v[9:10]
	v_add_f64 v[5:6], v[5:6], -v[11:12]
.LBB7_256:
	s_or_b32 exec_lo, exec_lo, s0
                                        ; implicit-def: $vgpr17
                                        ; implicit-def: $vgpr9_vgpr10
                                        ; implicit-def: $vgpr11_vgpr12
	s_and_saveexec_b32 s0, s20
	s_xor_b32 s0, exec_lo, s0
	s_cbranch_execz .LBB7_258
; %bb.257:
	v_ldexp_f64 v[9:10], |v[1:2]|, 0xffffff80
	v_cmp_le_f64_e64 vcc_lo, 0x7b000000, |v[1:2]|
	v_trig_preop_f64 v[11:12], |v[1:2]|, 0
	v_and_b32_e32 v17, 0x7fffffff, v2
	v_trig_preop_f64 v[27:28], |v[1:2]|, 2
	v_mov_b32_e32 v35, 0
	s_mov_b32 s20, 0x54442d18
	s_mov_b32 s21, 0x3ff921fb
	;; [unrolled: 1-line block ×4, first 2 shown]
	v_cndmask_b32_e32 v10, v17, v10, vcc_lo
	v_cndmask_b32_e32 v9, v1, v9, vcc_lo
	v_trig_preop_f64 v[17:18], |v[1:2]|, 1
	v_mul_f64 v[19:20], v[11:12], v[9:10]
	v_mul_f64 v[33:34], v[27:28], v[9:10]
	;; [unrolled: 1-line block ×3, first 2 shown]
	v_fma_f64 v[11:12], v[11:12], v[9:10], -v[19:20]
	v_fma_f64 v[17:18], v[17:18], v[9:10], -v[21:22]
	;; [unrolled: 1-line block ×3, first 2 shown]
	v_add_f64 v[23:24], v[21:22], v[11:12]
	v_add_f64 v[25:26], v[23:24], -v[21:22]
	v_add_f64 v[31:32], v[19:20], v[23:24]
	v_add_f64 v[29:30], v[23:24], -v[25:26]
	v_add_f64 v[11:12], v[11:12], -v[25:26]
	v_ldexp_f64 v[25:26], v[31:32], -2
	v_add_f64 v[19:20], v[31:32], -v[19:20]
	v_add_f64 v[21:22], v[21:22], -v[29:30]
	v_add_f64 v[29:30], v[33:34], v[17:18]
	v_cmp_neq_f64_e64 vcc_lo, 0x7ff00000, |v[25:26]|
	v_add_f64 v[19:20], v[23:24], -v[19:20]
	v_add_f64 v[11:12], v[11:12], v[21:22]
	v_fract_f64_e32 v[21:22], v[25:26]
	v_add_f64 v[23:24], v[29:30], v[11:12]
	v_ldexp_f64 v[21:22], v[21:22], 2
	v_add_f64 v[25:26], v[19:20], v[23:24]
	v_cndmask_b32_e32 v22, 0, v22, vcc_lo
	v_cndmask_b32_e32 v21, 0, v21, vcc_lo
	v_add_f64 v[31:32], v[25:26], v[21:22]
	v_add_f64 v[19:20], v[25:26], -v[19:20]
	v_cmp_gt_f64_e32 vcc_lo, 0, v[31:32]
	v_add_f64 v[31:32], v[29:30], -v[33:34]
	v_cndmask_b32_e64 v36, 0, 0x40100000, vcc_lo
	v_add_f64 v[40:41], v[29:30], -v[31:32]
	v_add_f64 v[17:18], v[17:18], -v[31:32]
	v_add_f64 v[21:22], v[21:22], v[35:36]
	v_add_f64 v[36:37], v[23:24], -v[29:30]
	v_add_f64 v[31:32], v[33:34], -v[40:41]
	v_add_f64 v[38:39], v[25:26], v[21:22]
	;; [unrolled: 3-line block ×3, first 2 shown]
	v_cvt_i32_f64_e32 v38, v[38:39]
	v_add_f64 v[29:30], v[29:30], -v[42:43]
	v_cvt_f64_i32_e32 v[36:37], v38
	v_add_f64 v[11:12], v[11:12], v[29:30]
	v_add_f64 v[21:22], v[21:22], -v[36:37]
	v_add_f64 v[11:12], v[17:18], v[11:12]
	v_add_f64 v[17:18], v[23:24], -v[19:20]
	v_add_f64 v[27:28], v[25:26], v[21:22]
	v_add_f64 v[9:10], v[9:10], v[11:12]
	v_add_f64 v[11:12], v[27:28], -v[21:22]
	v_cmp_le_f64_e32 vcc_lo, 0.5, v[27:28]
	v_add_f64 v[9:10], v[17:18], v[9:10]
	v_add_f64 v[11:12], v[25:26], -v[11:12]
	v_cndmask_b32_e64 v36, 0, 0x3ff00000, vcc_lo
	v_add_co_ci_u32_e64 v17, null, 0, v38, vcc_lo
	v_add_f64 v[9:10], v[9:10], v[11:12]
	v_add_f64 v[11:12], v[27:28], -v[35:36]
	v_add_f64 v[18:19], v[11:12], v[9:10]
	v_mul_f64 v[20:21], v[18:19], s[20:21]
	v_add_f64 v[11:12], v[18:19], -v[11:12]
	v_fma_f64 v[22:23], v[18:19], s[20:21], -v[20:21]
	v_add_f64 v[9:10], v[9:10], -v[11:12]
	v_fma_f64 v[11:12], v[18:19], s[36:37], v[22:23]
	v_fma_f64 v[11:12], v[9:10], s[20:21], v[11:12]
	v_add_f64 v[9:10], v[20:21], v[11:12]
	v_add_f64 v[18:19], v[9:10], -v[20:21]
	v_add_f64 v[11:12], v[11:12], -v[18:19]
	s_andn2_saveexec_b32 s0, s0
	s_cbranch_execnz .LBB7_259
	s_branch .LBB7_260
.LBB7_258:
	s_andn2_saveexec_b32 s0, s0
	s_cbranch_execz .LBB7_260
.LBB7_259:
	s_mov_b32 s20, 0x6dc9c883
	s_mov_b32 s21, 0x3fe45f30
	;; [unrolled: 1-line block ×3, first 2 shown]
	v_mul_f64 v[9:10], |v[1:2]|, s[20:21]
	s_mov_b32 s20, 0x54442d18
	s_mov_b32 s21, 0xbff921fb
	s_mov_b32 s36, 0x33145c00
	v_rndne_f64_e32 v[17:18], v[9:10]
	v_fma_f64 v[9:10], v[17:18], s[20:21], |v[1:2]|
	v_mul_f64 v[11:12], v[17:18], s[36:37]
	s_mov_b32 s20, 0x252049c0
	s_mov_b32 s21, 0xb97b839a
	v_fma_f64 v[21:22], v[17:18], s[36:37], v[9:10]
	v_add_f64 v[19:20], v[9:10], v[11:12]
	s_mov_b32 s37, 0x3c91a626
	v_add_f64 v[9:10], v[9:10], -v[19:20]
	v_add_f64 v[19:20], v[19:20], -v[21:22]
	v_add_f64 v[9:10], v[9:10], v[11:12]
	v_fma_f64 v[11:12], v[17:18], s[36:37], v[11:12]
	v_add_f64 v[9:10], v[19:20], v[9:10]
	v_add_f64 v[9:10], v[9:10], -v[11:12]
	v_fma_f64 v[11:12], v[17:18], s[20:21], v[9:10]
	v_cvt_i32_f64_e32 v17, v[17:18]
	v_add_f64 v[9:10], v[21:22], v[11:12]
	v_add_f64 v[19:20], v[9:10], -v[21:22]
	v_add_f64 v[11:12], v[11:12], -v[19:20]
.LBB7_260:
	s_or_b32 exec_lo, exec_lo, s0
	v_div_scale_f64 v[18:19], null, v[13:14], v[13:14], 1.0
	v_div_scale_f64 v[24:25], vcc_lo, 1.0, v[13:14], 1.0
	s_mov_b32 s0, 0xddcfbbde
	s_mov_b32 s1, 0x3f943525
	;; [unrolled: 1-line block ×8, first 2 shown]
	v_mul_f64 v[64:65], v[11:12], 0.5
	v_rcp_f64_e32 v[20:21], v[18:19]
	v_fma_f64 v[22:23], -v[18:19], v[20:21], 1.0
	v_fma_f64 v[20:21], v[20:21], v[22:23], v[20:21]
	v_fma_f64 v[22:23], -v[18:19], v[20:21], 1.0
	v_fma_f64 v[20:21], v[20:21], v[22:23], v[20:21]
	v_mul_f64 v[22:23], v[24:25], v[20:21]
	v_fma_f64 v[18:19], -v[18:19], v[22:23], v[24:25]
	v_div_fmas_f64 v[18:19], v[18:19], v[20:21], v[22:23]
	v_cmp_gt_f64_e32 vcc_lo, 0x10000000, v[7:8]
	v_div_fixup_f64 v[13:14], v[18:19], v[13:14], 1.0
	v_cndmask_b32_e64 v22, 0, 0x100, vcc_lo
	v_ldexp_f64 v[7:8], v[7:8], v22
	v_mul_f64 v[18:19], v[13:14], v[13:14]
	v_rsq_f64_e32 v[26:27], v[7:8]
	v_fma_f64 v[20:21], v[18:19], 0, s[0:1]
	s_mov_b32 s0, 0x6437b7
	s_mov_b32 s1, 0x3fd907d5
	v_mul_f64 v[30:31], v[7:8], v[26:27]
	v_mul_f64 v[26:27], v[26:27], 0.5
	v_fma_f64 v[20:21], v[18:19], v[20:21], s[0:1]
	s_mov_b32 s0, 0xd50ae6fb
	s_mov_b32 s1, 0xbfc0db6c
	v_fma_f64 v[22:23], v[18:19], 0, s[0:1]
	s_mov_b32 s0, 0xf3d56b40
	s_mov_b32 s1, 0x40229e2b
	;; [unrolled: 3-line block ×3, first 2 shown]
	v_fma_f64 v[32:33], -v[26:27], v[30:31], 0.5
	v_fma_f64 v[20:21], v[18:19], v[20:21], s[20:21]
	s_mov_b32 s20, 0x2572edf2
	s_mov_b32 s21, 0x402ab64b
	v_fma_f64 v[28:29], v[18:19], 0, s[20:21]
	v_fma_f64 v[22:23], v[18:19], v[22:23], s[0:1]
	s_mov_b32 s0, 0xc0ef18d4
	s_mov_b32 s1, 0x4033d5d5
	;; [unrolled: 1-line block ×3, first 2 shown]
	v_fma_f64 v[24:25], v[18:19], v[24:25], s[0:1]
	s_mov_b32 s0, 0xc2f79f7d
	s_mov_b32 s1, 0xbfe62e59
	;; [unrolled: 1-line block ×3, first 2 shown]
	v_fma_f64 v[30:31], v[30:31], v[32:33], v[30:31]
	v_fma_f64 v[26:27], v[26:27], v[32:33], v[26:27]
	;; [unrolled: 1-line block ×3, first 2 shown]
	s_mov_b32 s36, 0xcea8fe1d
	s_mov_b32 s37, 0x3fd67e69
	v_fma_f64 v[28:29], v[18:19], v[28:29], s[20:21]
	v_fma_f64 v[22:23], v[18:19], v[22:23], s[0:1]
	s_mov_b32 s0, 0x7ea7dc35
	s_mov_b32 s1, 0x402f211b
	;; [unrolled: 1-line block ×3, first 2 shown]
	v_fma_f64 v[24:25], v[18:19], v[24:25], s[0:1]
	s_mov_b32 s0, 0x4bb3f40b
	s_mov_b32 s1, 0xbfd1e7ea
	;; [unrolled: 1-line block ×3, first 2 shown]
	v_fma_f64 v[32:33], -v[30:31], v[30:31], v[7:8]
	v_fma_f64 v[20:21], v[18:19], v[20:21], s[36:37]
	s_mov_b32 s36, 0x21e90978
	s_mov_b32 s37, 0x3fb03a41
	v_fma_f64 v[28:29], v[18:19], v[28:29], s[20:21]
	v_fma_f64 v[22:23], v[18:19], v[22:23], s[0:1]
	s_mov_b32 s0, 0x2b79dbce
	s_mov_b32 s1, 0x4015e84e
	;; [unrolled: 1-line block ×3, first 2 shown]
	v_fma_f64 v[24:25], v[18:19], v[24:25], s[0:1]
	s_mov_b32 s0, 0xf47dbd8a
	s_mov_b32 s1, 0xbfa92f6e
	;; [unrolled: 1-line block ×3, first 2 shown]
	v_fma_f64 v[30:31], v[32:33], v[26:27], v[30:31]
	v_fma_f64 v[20:21], v[18:19], v[20:21], s[36:37]
	s_mov_b32 s36, 0xf12f5043
	s_mov_b32 s37, 0x3f77fe99
	v_fma_f64 v[28:29], v[18:19], v[28:29], s[20:21]
	v_fma_f64 v[22:23], v[18:19], v[22:23], s[0:1]
	s_mov_b32 s0, 0xc195ece3
	s_mov_b32 s1, 0x3fee8992
	;; [unrolled: 1-line block ×3, first 2 shown]
	v_fma_f64 v[24:25], v[18:19], v[24:25], s[0:1]
	s_mov_b32 s0, 0xc8d9e090
	s_mov_b32 s1, 0xbf70a401
	;; [unrolled: 1-line block ×3, first 2 shown]
	v_fma_f64 v[32:33], -v[30:31], v[30:31], v[7:8]
	v_fma_f64 v[20:21], v[18:19], v[20:21], s[36:37]
	s_mov_b32 s36, 0x600e17a2
	s_mov_b32 s37, 0x3f328976
	v_fma_f64 v[28:29], v[18:19], v[28:29], s[20:21]
	v_fma_f64 v[22:23], v[18:19], v[22:23], s[0:1]
	s_mov_b32 s0, 0xed64a9ee
	s_mov_b32 s1, 0x3fb6221d
	s_mov_b32 s20, 0xb4045a2b
	v_fma_f64 v[24:25], v[18:19], v[24:25], s[0:1]
	s_mov_b32 s0, 0xaf4b009c
	s_mov_b32 s1, 0xbf24e06e
	;; [unrolled: 1-line block ×3, first 2 shown]
	v_fma_f64 v[26:27], v[32:33], v[26:27], v[30:31]
	v_cndmask_b32_e64 v30, 0, 0xffffff80, vcc_lo
	v_cmp_class_f64_e64 vcc_lo, v[7:8], 0x260
	v_mul_f64 v[32:33], v[9:10], v[9:10]
	v_fma_f64 v[20:21], v[18:19], v[20:21], s[36:37]
	s_mov_b32 s36, 0x69f8574e
	s_mov_b32 s37, 0x3edd4f3d
	v_fma_f64 v[28:29], v[18:19], v[28:29], s[20:21]
	v_fma_f64 v[22:23], v[18:19], v[22:23], s[0:1]
	s_mov_b32 s0, 0x6be393bb
	s_mov_b32 s1, 0x3f70e704
	;; [unrolled: 1-line block ×3, first 2 shown]
	v_fma_f64 v[24:25], v[18:19], v[24:25], s[0:1]
	s_mov_b32 s0, 0x1d42366d
	s_mov_b32 s1, 0xbec74a78
	;; [unrolled: 1-line block ×3, first 2 shown]
	v_ldexp_f64 v[26:27], v[26:27], v30
	v_mul_f64 v[56:57], v[32:33], 0.5
	v_mul_f64 v[66:67], v[9:10], -v[32:33]
	v_fma_f64 v[20:21], v[18:19], v[20:21], s[36:37]
	s_mov_b32 s36, 0xbbad11c8
	s_mov_b32 s37, 0x3e75ca92
	v_fma_f64 v[28:29], v[18:19], v[28:29], s[20:21]
	v_fma_f64 v[22:23], v[18:19], v[22:23], s[0:1]
	s_mov_b32 s0, 0xd603a5a0
	s_mov_b32 s1, 0x3f1a8b61
	;; [unrolled: 1-line block ×3, first 2 shown]
	v_fma_f64 v[24:25], v[18:19], v[24:25], s[0:1]
	s_mov_b32 s0, 0xaf76e73b
	s_mov_b32 s1, 0x3f13c8d7
	;; [unrolled: 1-line block ×3, first 2 shown]
	v_cndmask_b32_e32 v8, v27, v8, vcc_lo
	v_cndmask_b32_e32 v7, v26, v7, vcc_lo
	v_fma_f64 v[20:21], v[18:19], v[20:21], s[36:37]
	s_mov_b32 s36, 0x7d97ee7a
	s_mov_b32 s37, 0x3df778a4
	v_fma_f64 v[28:29], v[18:19], v[28:29], s[0:1]
	v_fma_f64 v[22:23], v[18:19], v[22:23], s[20:21]
	s_mov_b32 s0, 0xdb0724e8
	s_mov_b32 s1, 0x3eb3a845
	s_mov_b32 s20, 0x50429b6d
	v_fma_f64 v[24:25], v[18:19], v[24:25], s[0:1]
	s_mov_b32 s0, 0xb99518a7
	s_mov_b32 s1, 0x3e9e52b9
	;; [unrolled: 1-line block ×3, first 2 shown]
	v_div_scale_f64 v[26:27], null, v[7:8], v[7:8], s[20:21]
	v_fma_f64 v[20:21], v[18:19], v[20:21], s[36:37]
	s_mov_b32 s36, 0xf9a43bb8
	s_mov_b32 s37, 0x3de5e0b2
	v_fma_f64 v[28:29], v[18:19], v[28:29], s[0:1]
	v_mul_f64 v[22:23], v[18:19], v[22:23]
	s_mov_b32 s0, 0x3dd589d4
	s_mov_b32 s1, 0x3e351fc7
	v_fma_f64 v[18:19], v[18:19], v[24:25], s[0:1]
	s_mov_b32 s0, 0xb42fdfa7
	s_mov_b32 s1, 0xbe5ae600
	v_fma_f64 v[42:43], v[32:33], s[36:37], s[0:1]
	v_rcp_f64_e32 v[38:39], v[26:27]
	v_mul_f64 v[13:14], v[13:14], v[20:21]
	v_mul_f64 v[20:21], v[3:4], v[3:4]
	v_div_scale_f64 v[24:25], null, v[28:29], v[28:29], v[22:23]
	v_fma_f64 v[42:43], v[32:33], v[42:43], s[38:39]
	v_fma_f64 v[50:51], -v[26:27], v[38:39], 1.0
	v_div_scale_f64 v[30:31], null, v[18:19], v[18:19], v[13:14]
	v_fma_f64 v[34:35], v[20:21], s[36:37], s[0:1]
	s_mov_b32 s0, 0x9037ab78
	s_mov_b32 s36, 0x46cc5e42
	v_rcp_f64_e32 v[36:37], v[24:25]
	s_mov_b32 s1, 0x3e21eeb6
	s_mov_b32 s37, 0xbda907db
	v_mul_f64 v[46:47], v[20:21], 0.5
	v_fma_f64 v[44:45], v[20:21], s[36:37], s[0:1]
	v_fma_f64 v[54:55], v[32:33], s[36:37], s[0:1]
	s_mov_b32 s0, 0xa17f65f6
	s_mov_b32 s36, 0x19e83e5c
	;; [unrolled: 1-line block ×4, first 2 shown]
	v_fma_f64 v[38:39], v[38:39], v[50:51], v[38:39]
	v_fma_f64 v[42:43], v[32:33], v[42:43], s[36:37]
	v_add_f64 v[50:51], -v[56:57], 1.0
	v_rcp_f64_e32 v[40:41], v[30:31]
	v_fma_f64 v[34:35], v[20:21], v[34:35], s[38:39]
	v_fma_f64 v[48:49], -v[24:25], v[36:37], 1.0
	v_add_f64 v[58:59], -v[46:47], 1.0
	v_fma_f64 v[44:45], v[20:21], v[44:45], s[0:1]
	v_fma_f64 v[68:69], -v[26:27], v[38:39], 1.0
	v_add_f64 v[72:73], -v[50:51], 1.0
	v_fma_f64 v[34:35], v[20:21], v[34:35], s[36:37]
	v_fma_f64 v[52:53], -v[30:31], v[40:41], 1.0
	s_mov_b32 s36, 0x19f4ec90
	s_mov_b32 s37, 0x3efa01a0
	v_fma_f64 v[36:37], v[36:37], v[48:49], v[36:37]
	v_fma_f64 v[48:49], v[32:33], v[54:55], s[0:1]
	s_mov_b32 s0, 0x11110bb3
	s_mov_b32 s1, 0x3f811111
	v_mul_f64 v[54:55], v[3:4], -v[20:21]
	v_fma_f64 v[44:45], v[20:21], v[44:45], s[36:37]
	v_add_f64 v[60:61], -v[58:59], 1.0
	v_fma_f64 v[42:43], v[32:33], v[42:43], s[0:1]
	v_fma_f64 v[38:39], v[38:39], v[68:69], v[38:39]
	v_add_f64 v[56:57], v[72:73], -v[56:57]
	v_fma_f64 v[34:35], v[20:21], v[34:35], s[0:1]
	v_fma_f64 v[40:41], v[40:41], v[52:53], v[40:41]
	v_mul_f64 v[52:53], v[5:6], 0.5
	v_fma_f64 v[62:63], -v[24:25], v[36:37], 1.0
	v_fma_f64 v[48:49], v[32:33], v[48:49], s[36:37]
	s_mov_b32 s36, 0x16c16967
	s_mov_b32 s37, 0xbf56c16c
	v_fma_f64 v[44:45], v[20:21], v[44:45], s[36:37]
	v_add_f64 v[46:47], v[60:61], -v[46:47]
	v_div_scale_f64 v[60:61], s0, s[20:21], v[7:8], s[20:21]
	v_fma_f64 v[42:43], v[66:67], v[42:43], v[64:65]
	v_mul_f64 v[64:65], v[20:21], v[20:21]
	v_fma_f64 v[70:71], -v[30:31], v[40:41], 1.0
	v_fma_f64 v[34:35], v[54:55], v[34:35], v[52:53]
	v_div_scale_f64 v[52:53], vcc_lo, v[22:23], v[28:29], v[22:23]
	v_fma_f64 v[36:37], v[36:37], v[62:63], v[36:37]
	v_div_scale_f64 v[62:63], s1, v[13:14], v[18:19], v[13:14]
	v_fma_f64 v[48:49], v[32:33], v[48:49], s[36:37]
	s_mov_b32 s36, 0x55555555
	s_mov_b32 s37, 0x3fa55555
	v_fma_f64 v[46:47], v[3:4], -v[5:6], v[46:47]
	v_fma_f64 v[44:45], v[20:21], v[44:45], s[36:37]
	v_fma_f64 v[42:43], v[32:33], v[42:43], -v[11:12]
	v_fma_f64 v[11:12], v[9:10], -v[11:12], v[56:57]
	v_fma_f64 v[40:41], v[40:41], v[70:71], v[40:41]
	v_fma_f64 v[5:6], v[20:21], v[34:35], -v[5:6]
	v_mul_f64 v[34:35], v[60:61], v[38:39]
	v_mul_f64 v[70:71], v[32:33], v[32:33]
	;; [unrolled: 1-line block ×3, first 2 shown]
	v_fma_f64 v[32:33], v[32:33], v[48:49], s[36:37]
	s_mov_b32 s37, 0xbfc55555
	v_fma_f64 v[44:45], v[64:65], v[44:45], v[46:47]
	v_fma_f64 v[42:43], v[66:67], s[36:37], v[42:43]
	v_mul_f64 v[68:69], v[62:63], v[40:41]
	v_fma_f64 v[5:6], v[54:55], s[36:37], v[5:6]
	v_fma_f64 v[26:27], -v[26:27], v[34:35], v[60:61]
	v_fma_f64 v[24:25], -v[24:25], v[20:21], v[52:53]
	v_fma_f64 v[11:12], v[70:71], v[32:33], v[11:12]
	v_add_f64 v[32:33], v[58:59], v[44:45]
	v_add_f64 v[9:10], v[9:10], -v[42:43]
	v_fma_f64 v[30:31], -v[30:31], v[68:69], v[62:63]
	v_add_f64 v[3:4], v[3:4], -v[5:6]
	v_div_fmas_f64 v[5:6], v[24:25], v[36:37], v[20:21]
	s_mov_b32 vcc_lo, s0
	v_cmp_class_f64_e64 s0, v[1:2], 0x1f8
	v_div_fmas_f64 v[20:21], v[26:27], v[38:39], v[34:35]
	s_mov_b32 vcc_lo, s1
	v_add_f64 v[11:12], v[50:51], v[11:12]
	v_and_b32_e32 v1, 1, v17
	v_and_b32_e32 v26, 1, v16
	v_xor_b32_e32 v10, 0x80000000, v10
	v_cmp_eq_u32_e64 s1, 0, v1
	v_lshlrev_b32_e32 v1, 30, v17
	v_and_b32_e32 v1, 0x80000000, v1
	v_div_fmas_f64 v[24:25], v[30:31], v[40:41], v[68:69]
	v_cmp_eq_u32_e32 vcc_lo, 0, v26
	v_div_fixup_f64 v[5:6], v[5:6], v[28:29], v[22:23]
	v_cndmask_b32_e32 v3, v32, v3, vcc_lo
	v_cndmask_b32_e64 v10, v10, v12, s1
	v_cndmask_b32_e64 v9, v9, v11, s1
	v_xor_b32_e32 v10, v10, v1
	v_cndmask_b32_e64 v9, 0, v9, s0
	v_cndmask_b32_e64 v1, 0, v3, s0
	v_lshlrev_b32_e32 v3, 30, v16
	v_cndmask_b32_e64 v10, 0x7ff80000, v10, s0
	v_xor_b32_e32 v2, v3, v2
	v_div_fixup_f64 v[13:14], v[24:25], v[18:19], v[13:14]
	v_cndmask_b32_e32 v3, v33, v4, vcc_lo
	v_add_f64 v[5:6], v[5:6], 1.0
	v_and_b32_e32 v2, 0x80000000, v2
	v_xor_b32_e32 v2, v3, v2
	v_div_fixup_f64 v[3:4], v[20:21], v[7:8], s[20:21]
	v_cndmask_b32_e64 v2, 0x7ff80000, v2, s0
	v_mul_f64 v[9:10], v[13:14], v[9:10]
	v_fma_f64 v[1:2], v[5:6], v[1:2], -v[9:10]
	v_mul_f64 v[3:4], v[3:4], v[1:2]
.LBB7_261:
	s_or_b32 exec_lo, exec_lo, s34
.LBB7_262:
	s_or_b32 exec_lo, exec_lo, s33
.LBB7_263:
	s_or_b32 exec_lo, exec_lo, s31
	v_add_nc_u32_e32 v15, 0x80, v15
	global_store_dwordx2 v0, v[3:4], s[4:5]
	s_or_b32 exec_lo, exec_lo, s30
	s_mov_b32 s20, exec_lo
	v_cmpx_gt_i32_e64 s27, v15
	s_cbranch_execz .LBB7_252
.LBB7_264:
	s_andn2_b32 vcc_lo, exec_lo, s24
	s_cbranch_vccnz .LBB7_269
; %bb.265:
	s_andn2_b32 vcc_lo, exec_lo, s29
	s_cbranch_vccnz .LBB7_270
; %bb.266:
	s_add_i32 s28, s28, 1
	s_cmp_eq_u32 s23, 2
	s_cbranch_scc1 .LBB7_271
; %bb.267:
	v_mov_b32_e32 v2, 0
	v_mov_b32_e32 v0, 0
	;; [unrolled: 1-line block ×3, first 2 shown]
	s_and_b32 s21, s28, 28
	s_mov_b32 s27, 0
	s_mov_b64 s[0:1], s[2:3]
.LBB7_268:                              ; =>This Inner Loop Header: Depth=1
	s_clause 0x1
	s_load_dwordx8 s[36:43], s[0:1], 0x4
	s_load_dwordx4 s[52:55], s[0:1], 0x24
	s_load_dwordx8 s[44:51], s[18:19], 0x0
	s_add_u32 s0, s0, 48
	s_addc_u32 s1, s1, 0
	s_add_i32 s27, s27, 4
	s_add_u32 s18, s18, 32
	s_addc_u32 s19, s19, 0
	s_cmp_eq_u32 s21, s27
	s_waitcnt lgkmcnt(0)
	v_mul_hi_u32 v3, s37, v1
	v_add_nc_u32_e32 v3, v1, v3
	v_lshrrev_b32_e32 v3, s38, v3
	v_mul_hi_u32 v4, s40, v3
	v_mul_lo_u32 v6, v3, s36
	v_add_nc_u32_e32 v4, v3, v4
	v_sub_nc_u32_e32 v1, v1, v6
	v_lshrrev_b32_e32 v4, s41, v4
	v_mul_lo_u32 v6, v1, s44
	v_mul_lo_u32 v8, v1, s45
	v_mul_hi_u32 v5, s43, v4
	v_add_nc_u32_e32 v5, v4, v5
	v_lshrrev_b32_e32 v5, s52, v5
	v_mul_hi_u32 v7, s54, v5
	v_mul_lo_u32 v9, v5, s42
	v_add_nc_u32_e32 v1, v5, v7
	v_mul_lo_u32 v7, v4, s39
	v_sub_nc_u32_e32 v4, v4, v9
	v_lshrrev_b32_e32 v1, s55, v1
	v_mul_lo_u32 v9, v4, s48
	v_mul_lo_u32 v4, v4, s49
	v_sub_nc_u32_e32 v3, v3, v7
	v_mul_lo_u32 v10, v1, s53
	v_mul_lo_u32 v7, v3, s46
	;; [unrolled: 1-line block ×3, first 2 shown]
	v_sub_nc_u32_e32 v5, v5, v10
	v_add3_u32 v0, v6, v0, v7
	v_mul_lo_u32 v10, v5, s50
	v_mul_lo_u32 v5, v5, s51
	v_add3_u32 v2, v8, v2, v3
	v_add3_u32 v0, v9, v0, v10
	v_add3_u32 v2, v4, v2, v5
	s_cbranch_scc0 .LBB7_268
	s_branch .LBB7_272
.LBB7_269:
                                        ; implicit-def: $vgpr0
                                        ; implicit-def: $vgpr2
	s_branch .LBB7_276
.LBB7_270:
	v_mov_b32_e32 v0, 0
	v_mov_b32_e32 v2, 0
	s_branch .LBB7_275
.LBB7_271:
	v_mov_b32_e32 v0, 0
	v_mov_b32_e32 v2, 0
	;; [unrolled: 1-line block ×3, first 2 shown]
	s_mov_b32 s21, 0
.LBB7_272:
	s_and_b32 s27, s28, 3
	s_cmp_eq_u32 s27, 0
	s_cbranch_scc1 .LBB7_275
; %bb.273:
	s_lshl_b32 s0, s21, 3
	s_mul_i32 s18, s21, 12
	s_add_u32 s0, s2, s0
	s_addc_u32 s1, s3, 0
	s_add_u32 s0, s0, 0xc4
	s_addc_u32 s1, s1, 0
	;; [unrolled: 2-line block ×3, first 2 shown]
	.p2align	6
.LBB7_274:                              ; =>This Inner Loop Header: Depth=1
	s_clause 0x1
	s_load_dwordx2 s[28:29], s[18:19], 0x4
	s_load_dword s21, s[18:19], 0xc
	s_load_dwordx2 s[30:31], s[0:1], 0x0
	s_add_u32 s18, s18, 12
	s_addc_u32 s19, s19, 0
	s_add_u32 s0, s0, 8
	s_addc_u32 s1, s1, 0
	s_add_i32 s27, s27, -1
	s_cmp_lg_u32 s27, 0
	s_waitcnt lgkmcnt(0)
	v_mul_hi_u32 v3, s29, v1
	v_add_nc_u32_e32 v3, v1, v3
	v_lshrrev_b32_e32 v4, s21, v3
	v_mul_lo_u32 v3, v4, s28
	v_sub_nc_u32_e32 v3, v1, v3
	v_mad_u64_u32 v[0:1], null, v3, s30, v[0:1]
	v_mad_u64_u32 v[2:3], null, v3, s31, v[2:3]
	v_mov_b32_e32 v1, v4
	s_cbranch_scc1 .LBB7_274
.LBB7_275:
	s_cbranch_execnz .LBB7_278
.LBB7_276:
	s_waitcnt lgkmcnt(0)
	v_mul_hi_u32 v0, s13, v15
	s_andn2_b32 vcc_lo, exec_lo, s26
	v_add_nc_u32_e32 v0, v15, v0
	v_lshrrev_b32_e32 v1, s14, v0
	v_mul_lo_u32 v0, v1, s12
	v_sub_nc_u32_e32 v2, v15, v0
	v_mul_lo_u32 v0, v2, s8
	v_mul_lo_u32 v2, v2, s9
	s_cbranch_vccnz .LBB7_278
; %bb.277:
	v_mul_hi_u32 v3, s16, v1
	v_add_nc_u32_e32 v3, v1, v3
	v_lshrrev_b32_e32 v3, s17, v3
	v_mul_lo_u32 v3, v3, s15
	v_sub_nc_u32_e32 v3, v1, v3
	v_mad_u64_u32 v[0:1], null, v3, s10, v[0:1]
	v_mad_u64_u32 v[2:3], null, v3, s11, v[2:3]
.LBB7_278:
	s_waitcnt lgkmcnt(0)
	global_load_dwordx2 v[1:2], v2, s[6:7]
	v_mov_b32_e32 v3, 0
	v_mov_b32_e32 v4, 0x7ff80000
	s_mov_b32 s8, exec_lo
	s_waitcnt vmcnt(0)
	v_cmpx_neq_f64_e64 0x7ff00000, |v[1:2]|
	s_cbranch_execz .LBB7_300
; %bb.279:
	v_mov_b32_e32 v3, 0
	v_mov_b32_e32 v4, 0
	s_mov_b32 s0, 0x872b020c
	s_mov_b32 s1, 0x4059f916
	s_mov_b32 s9, exec_lo
	v_cmpx_nlt_f64_e32 s[0:1], v[1:2]
	s_cbranch_execz .LBB7_299
; %bb.280:
	s_mov_b32 s1, 0xc000b851
	s_mov_b32 s0, 0xeb851eb8
                                        ; implicit-def: $vgpr3_vgpr4
	v_cmp_ngt_f64_e32 vcc_lo, s[0:1], v[1:2]
	s_and_saveexec_b32 s1, vcc_lo
	s_xor_b32 s6, exec_lo, s1
	s_cbranch_execz .LBB7_288
; %bb.281:
	s_mov_b32 s1, 0x4000b851
	v_mov_b32_e32 v3, 0
	v_cmp_nle_f64_e64 s7, s[0:1], v[1:2]
	v_cmp_le_f64_e32 vcc_lo, s[0:1], v[1:2]
	v_mov_b32_e32 v4, 0
	s_mov_b32 s0, s7
	s_and_saveexec_b32 s10, vcc_lo
	s_cbranch_execz .LBB7_283
; %bb.282:
	v_cmp_gt_f64_e32 vcc_lo, 0x10000000, v[1:2]
	s_mov_b32 s0, 0x2537b658
	s_mov_b32 s12, 0x2624d31
	;; [unrolled: 1-line block ×4, first 2 shown]
	v_cndmask_b32_e64 v3, 0, 0x100, vcc_lo
	v_ldexp_f64 v[3:4], v[1:2], v3
	v_rsq_f64_e32 v[5:6], v[3:4]
	v_mul_f64 v[7:8], v[3:4], v[5:6]
	v_mul_f64 v[5:6], v[5:6], 0.5
	v_fma_f64 v[9:10], -v[5:6], v[7:8], 0.5
	v_fma_f64 v[7:8], v[7:8], v[9:10], v[7:8]
	v_fma_f64 v[5:6], v[5:6], v[9:10], v[5:6]
	v_fma_f64 v[9:10], -v[7:8], v[7:8], v[3:4]
	v_fma_f64 v[7:8], v[9:10], v[5:6], v[7:8]
	v_fma_f64 v[9:10], -v[7:8], v[7:8], v[3:4]
	v_fma_f64 v[5:6], v[9:10], v[5:6], v[7:8]
	v_cndmask_b32_e64 v7, 0, 0xffffff80, vcc_lo
	v_cmp_class_f64_e64 vcc_lo, v[3:4], 0x260
	v_ldexp_f64 v[5:6], v[5:6], v7
	v_add_f64 v[7:8], v[1:2], v[1:2]
	v_cndmask_b32_e32 v4, v6, v4, vcc_lo
	v_cndmask_b32_e32 v3, v5, v3, vcc_lo
	v_mul_f64 v[5:6], v[7:8], v[3:4]
	v_div_scale_f64 v[7:8], null, 0x40080000, 0x40080000, v[5:6]
	v_div_scale_f64 v[13:14], vcc_lo, v[5:6], 0x40080000, v[5:6]
	v_rcp_f64_e32 v[9:10], v[7:8]
	v_fma_f64 v[11:12], -v[7:8], v[9:10], 1.0
	v_fma_f64 v[9:10], v[9:10], v[11:12], v[9:10]
	v_fma_f64 v[11:12], -v[7:8], v[9:10], 1.0
	v_fma_f64 v[9:10], v[9:10], v[11:12], v[9:10]
	v_mul_f64 v[11:12], v[13:14], v[9:10]
	v_fma_f64 v[7:8], -v[7:8], v[11:12], v[13:14]
	v_div_fmas_f64 v[7:8], v[7:8], v[9:10], v[11:12]
	v_div_fixup_f64 v[5:6], v[7:8], 0x40080000, v[5:6]
	v_div_scale_f64 v[7:8], null, v[5:6], v[5:6], 1.0
	v_div_scale_f64 v[13:14], vcc_lo, 1.0, v[5:6], 1.0
	v_rcp_f64_e32 v[9:10], v[7:8]
	v_fma_f64 v[11:12], -v[7:8], v[9:10], 1.0
	v_fma_f64 v[9:10], v[9:10], v[11:12], v[9:10]
	v_fma_f64 v[11:12], -v[7:8], v[9:10], 1.0
	v_fma_f64 v[9:10], v[9:10], v[11:12], v[9:10]
	v_mul_f64 v[11:12], v[13:14], v[9:10]
	v_fma_f64 v[7:8], -v[7:8], v[11:12], v[13:14]
	v_div_fmas_f64 v[7:8], v[7:8], v[9:10], v[11:12]
	v_cmp_gt_f64_e32 vcc_lo, 0x10000000, v[3:4]
	v_div_fixup_f64 v[7:8], v[7:8], v[5:6], 1.0
	v_cndmask_b32_e64 v19, 0, 0x100, vcc_lo
	v_ldexp_f64 v[3:4], v[3:4], v19
	v_fma_f64 v[9:10], v[7:8], 0, s[12:13]
	v_fma_f64 v[11:12], v[7:8], 0, s[0:1]
	s_mov_b32 s0, 0x652b82fe
	s_mov_b32 s1, 0x3ff71547
	s_mov_b32 s12, 0x5332ca5
	v_mul_f64 v[13:14], v[5:6], s[0:1]
	s_mov_b32 s0, 0x871a9067
	s_mov_b32 s1, 0x402803e3
	;; [unrolled: 1-line block ×3, first 2 shown]
	v_fma_f64 v[9:10], v[7:8], v[9:10], s[12:13]
	v_fma_f64 v[11:12], v[7:8], v[11:12], s[0:1]
	s_mov_b32 s0, 0xde2e1e3
	s_mov_b32 s12, 0xb04d51a0
	;; [unrolled: 1-line block ×3, first 2 shown]
	v_rndne_f64_e32 v[13:14], v[13:14]
	s_mov_b32 s13, 0x405520e3
	v_fma_f64 v[9:10], v[7:8], v[9:10], s[12:13]
	v_fma_f64 v[11:12], v[7:8], v[11:12], s[0:1]
	s_mov_b32 s0, 0xfefa39ef
	s_mov_b32 s1, 0xbfe62e42
	;; [unrolled: 1-line block ×3, first 2 shown]
	v_fma_f64 v[15:16], v[13:14], s[0:1], v[5:6]
	s_mov_b32 s0, 0xee40073c
	s_mov_b32 s1, 0x406502da
	;; [unrolled: 1-line block ×3, first 2 shown]
	v_fma_f64 v[9:10], v[7:8], v[9:10], s[12:13]
	v_fma_f64 v[11:12], v[7:8], v[11:12], s[0:1]
	s_mov_b32 s0, 0x3b39803f
	s_mov_b32 s1, 0xbc7abc9e
	;; [unrolled: 1-line block ×3, first 2 shown]
	v_fma_f64 v[15:16], v[13:14], s[0:1], v[15:16]
	s_mov_b32 s0, 0x5ba1fddf
	s_mov_b32 s1, 0x4063f834
	;; [unrolled: 1-line block ×3, first 2 shown]
	v_fma_f64 v[9:10], v[7:8], v[9:10], s[12:13]
	v_fma_f64 v[11:12], v[7:8], v[11:12], s[0:1]
	s_mov_b32 s0, 0xfca7ab0c
	s_mov_b32 s12, 0x6a5dcb37
	;; [unrolled: 1-line block ×4, first 2 shown]
	v_fma_f64 v[17:18], v[15:16], s[12:13], s[0:1]
	s_mov_b32 s0, 0x4f4cea4f
	s_mov_b32 s12, 0xee91d35f
	;; [unrolled: 1-line block ×4, first 2 shown]
	v_fma_f64 v[9:10], v[7:8], v[9:10], s[12:13]
	v_fma_f64 v[11:12], v[7:8], v[11:12], s[0:1]
	s_mov_b32 s0, 0x623fde64
	s_mov_b32 s1, 0x3ec71dee
	;; [unrolled: 1-line block ×4, first 2 shown]
	v_fma_f64 v[17:18], v[15:16], v[17:18], s[0:1]
	s_mov_b32 s0, 0x5c2a0f4d
	s_mov_b32 s1, 0x402c0d8d
	v_fma_f64 v[9:10], v[7:8], v[9:10], s[12:13]
	v_fma_f64 v[11:12], v[7:8], v[11:12], s[0:1]
	s_mov_b32 s0, 0x7c89e6b0
	s_mov_b32 s1, 0x3efa0199
	v_fma_f64 v[17:18], v[15:16], v[17:18], s[0:1]
	s_mov_b32 s0, 0x14761f6e
	s_mov_b32 s1, 0x3f2a01a0
	v_fma_f64 v[9:10], v[7:8], v[9:10], 1.0
	v_fma_f64 v[7:8], v[7:8], v[11:12], 1.0
	v_rsq_f64_e32 v[11:12], v[3:4]
	v_fma_f64 v[17:18], v[15:16], v[17:18], s[0:1]
	s_mov_b32 s0, 0x1852b7b0
	s_mov_b32 s1, 0x3f56c16c
	v_div_scale_f64 v[19:20], null, v[9:10], v[9:10], v[7:8]
	v_mul_f64 v[21:22], v[3:4], v[11:12]
	v_mul_f64 v[11:12], v[11:12], 0.5
	v_fma_f64 v[17:18], v[15:16], v[17:18], s[0:1]
	s_mov_b32 s0, 0x11122322
	s_mov_b32 s1, 0x3f811111
	v_rcp_f64_e32 v[23:24], v[19:20]
	v_fma_f64 v[25:26], -v[11:12], v[21:22], 0.5
	v_fma_f64 v[17:18], v[15:16], v[17:18], s[0:1]
	s_mov_b32 s0, 0x555502a1
	s_mov_b32 s1, 0x3fa55555
	v_fma_f64 v[27:28], -v[19:20], v[23:24], 1.0
	v_fma_f64 v[21:22], v[21:22], v[25:26], v[21:22]
	v_fma_f64 v[11:12], v[11:12], v[25:26], v[11:12]
	;; [unrolled: 1-line block ×3, first 2 shown]
	s_mov_b32 s0, 0x55555511
	s_mov_b32 s1, 0x3fc55555
	v_fma_f64 v[23:24], v[23:24], v[27:28], v[23:24]
	v_fma_f64 v[25:26], -v[21:22], v[21:22], v[3:4]
	v_fma_f64 v[17:18], v[15:16], v[17:18], s[0:1]
	s_mov_b32 s0, 11
	s_mov_b32 s1, 0x3fe00000
	v_fma_f64 v[27:28], -v[19:20], v[23:24], 1.0
	v_fma_f64 v[21:22], v[25:26], v[11:12], v[21:22]
	v_fma_f64 v[17:18], v[15:16], v[17:18], s[0:1]
	v_div_scale_f64 v[25:26], s0, v[7:8], v[9:10], v[7:8]
	v_cmp_class_f64_e64 s1, v[3:4], 0x260
	v_fma_f64 v[23:24], v[23:24], v[27:28], v[23:24]
	v_fma_f64 v[27:28], -v[21:22], v[21:22], v[3:4]
	v_fma_f64 v[17:18], v[15:16], v[17:18], 1.0
	v_mul_f64 v[29:30], v[25:26], v[23:24]
	v_fma_f64 v[11:12], v[27:28], v[11:12], v[21:22]
	v_cvt_i32_f64_e32 v21, v[13:14]
	v_fma_f64 v[13:14], v[15:16], v[17:18], 1.0
	v_cndmask_b32_e64 v17, 0, 0xffffff80, vcc_lo
	s_mov_b32 vcc_lo, s0
	v_cmp_ngt_f64_e64 s0, 0xc090cc00, v[5:6]
	v_fma_f64 v[15:16], -v[19:20], v[29:30], v[25:26]
	v_ldexp_f64 v[11:12], v[11:12], v17
	v_ldexp_f64 v[13:14], v[13:14], v21
	v_div_fmas_f64 v[15:16], v[15:16], v[23:24], v[29:30]
	v_cmp_nlt_f64_e32 vcc_lo, 0x40900000, v[5:6]
	v_cndmask_b32_e64 v4, v12, v4, s1
	v_cndmask_b32_e64 v3, v11, v3, s1
	v_add_f64 v[3:4], v[3:4], v[3:4]
	v_div_fixup_f64 v[5:6], v[15:16], v[9:10], v[7:8]
	v_cndmask_b32_e32 v12, 0x7ff00000, v14, vcc_lo
	s_and_b32 vcc_lo, s0, vcc_lo
	v_cndmask_b32_e32 v7, 0, v13, vcc_lo
	v_cndmask_b32_e64 v8, 0, v12, s0
	s_mov_b32 s0, 0x50429b6d
	s_mov_b32 s1, 0x3fe20dd7
	v_mul_f64 v[3:4], v[3:4], v[7:8]
	v_mul_f64 v[5:6], v[5:6], s[0:1]
	s_mov_b32 s0, 0xfd0a823a
	s_mov_b32 s1, 0x4020a402
	v_div_scale_f64 v[7:8], null, v[3:4], v[3:4], v[5:6]
	v_rcp_f64_e32 v[9:10], v[7:8]
	v_fma_f64 v[11:12], -v[7:8], v[9:10], 1.0
	v_fma_f64 v[9:10], v[9:10], v[11:12], v[9:10]
	v_fma_f64 v[11:12], -v[7:8], v[9:10], 1.0
	v_fma_f64 v[9:10], v[9:10], v[11:12], v[9:10]
	v_div_scale_f64 v[11:12], vcc_lo, v[5:6], v[3:4], v[5:6]
	v_mul_f64 v[13:14], v[11:12], v[9:10]
	v_fma_f64 v[7:8], -v[7:8], v[13:14], v[11:12]
	v_div_fmas_f64 v[7:8], v[7:8], v[9:10], v[13:14]
	v_cmp_nlt_f64_e32 vcc_lo, s[0:1], v[1:2]
	s_andn2_b32 s0, s7, exec_lo
	v_div_fixup_f64 v[3:4], v[7:8], v[3:4], v[5:6]
	s_and_b32 s1, vcc_lo, exec_lo
	s_or_b32 s0, s0, s1
.LBB7_283:
	s_or_b32 exec_lo, exec_lo, s10
	s_and_saveexec_b32 s1, s0
	s_cbranch_execz .LBB7_287
; %bb.284:
	v_mul_f64 v[5:6], v[1:2], v[1:2]
	v_mov_b32_e32 v11, 0
	v_mov_b32_e32 v13, 0
	;; [unrolled: 1-line block ×6, first 2 shown]
	s_mov_b32 s10, 0
	v_mul_f64 v[7:8], v[1:2], v[5:6]
	v_mov_b32_e32 v5, 0
	v_mov_b32_e32 v6, 0x3ff00000
.LBB7_285:                              ; =>This Inner Loop Header: Depth=1
	v_mul_f64 v[11:12], v[7:8], v[11:12]
	v_add_f64 v[13:14], v[13:14], 1.0
	v_mul_f64 v[1:2], v[7:8], v[1:2]
	v_div_scale_f64 v[15:16], null, v[13:14], v[13:14], v[11:12]
	v_div_scale_f64 v[21:22], vcc_lo, v[11:12], v[13:14], v[11:12]
	v_rcp_f64_e32 v[17:18], v[15:16]
	v_fma_f64 v[19:20], -v[15:16], v[17:18], 1.0
	v_fma_f64 v[17:18], v[17:18], v[19:20], v[17:18]
	v_fma_f64 v[19:20], -v[15:16], v[17:18], 1.0
	v_fma_f64 v[17:18], v[17:18], v[19:20], v[17:18]
	v_mul_f64 v[19:20], v[21:22], v[17:18]
	v_fma_f64 v[15:16], -v[15:16], v[19:20], v[21:22]
	v_div_fmas_f64 v[15:16], v[15:16], v[17:18], v[19:20]
	v_add_f64 v[17:18], v[13:14], 1.0
	v_div_fixup_f64 v[11:12], v[15:16], v[13:14], v[11:12]
	v_div_scale_f64 v[13:14], null, v[17:18], v[17:18], v[1:2]
	v_div_scale_f64 v[27:28], vcc_lo, v[1:2], v[17:18], v[1:2]
	v_div_scale_f64 v[15:16], null, v[17:18], v[17:18], v[11:12]
	v_rcp_f64_e32 v[19:20], v[13:14]
	v_rcp_f64_e32 v[21:22], v[15:16]
	v_fma_f64 v[23:24], -v[13:14], v[19:20], 1.0
	v_fma_f64 v[25:26], -v[15:16], v[21:22], 1.0
	v_fma_f64 v[19:20], v[19:20], v[23:24], v[19:20]
	v_fma_f64 v[21:22], v[21:22], v[25:26], v[21:22]
	v_fma_f64 v[23:24], -v[13:14], v[19:20], 1.0
	v_fma_f64 v[25:26], -v[15:16], v[21:22], 1.0
	v_fma_f64 v[19:20], v[19:20], v[23:24], v[19:20]
	v_div_scale_f64 v[23:24], s0, v[11:12], v[17:18], v[11:12]
	v_fma_f64 v[21:22], v[21:22], v[25:26], v[21:22]
	v_mul_f64 v[25:26], v[27:28], v[19:20]
	v_mul_f64 v[29:30], v[23:24], v[21:22]
	v_fma_f64 v[13:14], -v[13:14], v[25:26], v[27:28]
	v_fma_f64 v[15:16], -v[15:16], v[29:30], v[23:24]
	v_div_fmas_f64 v[19:20], v[13:14], v[19:20], v[25:26]
	s_mov_b32 vcc_lo, s0
	v_div_fmas_f64 v[13:14], v[15:16], v[21:22], v[29:30]
	v_div_fixup_f64 v[1:2], v[19:20], v[17:18], v[1:2]
	v_div_fixup_f64 v[11:12], v[13:14], v[17:18], v[11:12]
	v_add_f64 v[13:14], v[17:18], 1.0
	v_add_f64 v[5:6], v[5:6], v[11:12]
	v_div_scale_f64 v[15:16], null, v[13:14], v[13:14], v[1:2]
	v_div_scale_f64 v[27:28], vcc_lo, v[1:2], v[13:14], v[1:2]
	v_div_scale_f64 v[17:18], null, v[5:6], v[5:6], v[11:12]
	v_rcp_f64_e32 v[19:20], v[15:16]
	v_rcp_f64_e32 v[21:22], v[17:18]
	v_fma_f64 v[23:24], -v[15:16], v[19:20], 1.0
	v_fma_f64 v[25:26], -v[17:18], v[21:22], 1.0
	v_fma_f64 v[19:20], v[19:20], v[23:24], v[19:20]
	v_fma_f64 v[21:22], v[21:22], v[25:26], v[21:22]
	v_fma_f64 v[23:24], -v[15:16], v[19:20], 1.0
	v_fma_f64 v[25:26], -v[17:18], v[21:22], 1.0
	v_fma_f64 v[19:20], v[19:20], v[23:24], v[19:20]
	v_div_scale_f64 v[23:24], s0, v[11:12], v[5:6], v[11:12]
	v_fma_f64 v[21:22], v[21:22], v[25:26], v[21:22]
	v_mul_f64 v[25:26], v[27:28], v[19:20]
	v_mul_f64 v[29:30], v[23:24], v[21:22]
	v_fma_f64 v[15:16], -v[15:16], v[25:26], v[27:28]
	v_fma_f64 v[17:18], -v[17:18], v[29:30], v[23:24]
	v_div_fmas_f64 v[15:16], v[15:16], v[19:20], v[25:26]
	s_mov_b32 vcc_lo, s0
	v_div_fmas_f64 v[17:18], v[17:18], v[21:22], v[29:30]
	v_div_fixup_f64 v[1:2], v[15:16], v[13:14], v[1:2]
	v_div_fixup_f64 v[17:18], v[17:18], v[5:6], v[11:12]
	v_add_f64 v[9:10], v[9:10], v[1:2]
	v_cmp_nlt_f64_e64 s0, 0x3cb00000, |v[17:18]|
	s_or_b32 s10, s0, s10
	s_andn2_b32 exec_lo, exec_lo, s10
	s_cbranch_execnz .LBB7_285
; %bb.286:
	s_or_b32 exec_lo, exec_lo, s10
	s_mov_b32 s10, 0x42b70f8b
	s_mov_b32 s11, 0xbfd0907f
	v_mul_f64 v[1:2], v[9:10], s[10:11]
	s_mov_b32 s10, 0x962715b8
	s_mov_b32 s11, 0x3fd6b8c7
	v_fma_f64 v[1:2], v[5:6], s[10:11], v[1:2]
	v_cndmask_b32_e64 v4, v4, v2, s7
	v_cndmask_b32_e64 v3, v3, v1, s7
.LBB7_287:
	s_or_b32 exec_lo, exec_lo, s1
                                        ; implicit-def: $vgpr1_vgpr2
.LBB7_288:
	s_andn2_saveexec_b32 s10, s6
	s_cbranch_execz .LBB7_298
; %bb.289:
	v_cmp_lt_f64_e32 vcc_lo, 0x90000000, v[1:2]
	s_mov_b32 s1, 0x3fe921fb
	s_mov_b32 s0, 0x54442d18
                                        ; implicit-def: $vgpr15
	v_cndmask_b32_e64 v3, 0, 0x100, vcc_lo
	v_ldexp_f64 v[3:4], -v[1:2], v3
	v_mul_f64 v[1:2], v[1:2], -2.0
	v_rsq_f64_e32 v[5:6], v[3:4]
	v_mul_f64 v[7:8], v[3:4], v[5:6]
	v_mul_f64 v[5:6], v[5:6], 0.5
	v_fma_f64 v[9:10], -v[5:6], v[7:8], 0.5
	v_fma_f64 v[7:8], v[7:8], v[9:10], v[7:8]
	v_fma_f64 v[5:6], v[5:6], v[9:10], v[5:6]
	v_fma_f64 v[9:10], -v[7:8], v[7:8], v[3:4]
	v_fma_f64 v[7:8], v[9:10], v[5:6], v[7:8]
	v_fma_f64 v[9:10], -v[7:8], v[7:8], v[3:4]
	v_fma_f64 v[5:6], v[9:10], v[5:6], v[7:8]
	v_cndmask_b32_e64 v7, 0, 0xffffff80, vcc_lo
	v_cmp_class_f64_e64 vcc_lo, v[3:4], 0x260
	v_ldexp_f64 v[5:6], v[5:6], v7
	v_cndmask_b32_e32 v8, v6, v4, vcc_lo
	v_cndmask_b32_e32 v7, v5, v3, vcc_lo
	v_mul_f64 v[1:2], v[1:2], v[7:8]
	v_div_scale_f64 v[3:4], null, 0x40080000, 0x40080000, v[1:2]
	v_rcp_f64_e32 v[5:6], v[3:4]
	v_fma_f64 v[9:10], -v[3:4], v[5:6], 1.0
	v_fma_f64 v[5:6], v[5:6], v[9:10], v[5:6]
	v_fma_f64 v[9:10], -v[3:4], v[5:6], 1.0
	v_fma_f64 v[5:6], v[5:6], v[9:10], v[5:6]
	v_div_scale_f64 v[9:10], vcc_lo, v[1:2], 0x40080000, v[1:2]
	v_mul_f64 v[11:12], v[9:10], v[5:6]
	v_fma_f64 v[3:4], -v[3:4], v[11:12], v[9:10]
	v_div_fmas_f64 v[3:4], v[3:4], v[5:6], v[11:12]
                                        ; implicit-def: $vgpr5_vgpr6
	v_div_fixup_f64 v[13:14], v[3:4], 0x40080000, v[1:2]
                                        ; implicit-def: $vgpr3_vgpr4
	v_add_f64 v[1:2], v[13:14], s[0:1]
	v_cmp_ngt_f64_e64 s6, 0x41d00000, |v[1:2]|
	s_and_saveexec_b32 s1, s6
	s_xor_b32 s7, exec_lo, s1
	s_cbranch_execz .LBB7_291
; %bb.290:
	v_ldexp_f64 v[3:4], |v[1:2]|, 0xffffff80
	v_cmp_le_f64_e64 vcc_lo, 0x7b000000, |v[1:2]|
	v_trig_preop_f64 v[5:6], |v[1:2]|, 0
	v_and_b32_e32 v9, 0x7fffffff, v2
	v_trig_preop_f64 v[21:22], |v[1:2]|, 2
	v_mov_b32_e32 v29, 0
	s_mov_b32 s1, 0x3ff921fb
	s_mov_b32 s12, 0x33145c07
	;; [unrolled: 1-line block ×3, first 2 shown]
	v_cndmask_b32_e32 v4, v9, v4, vcc_lo
	v_cndmask_b32_e32 v3, v1, v3, vcc_lo
	v_trig_preop_f64 v[9:10], |v[1:2]|, 1
	v_mul_f64 v[11:12], v[5:6], v[3:4]
	v_mul_f64 v[27:28], v[21:22], v[3:4]
	;; [unrolled: 1-line block ×3, first 2 shown]
	v_fma_f64 v[5:6], v[5:6], v[3:4], -v[11:12]
	v_fma_f64 v[9:10], v[9:10], v[3:4], -v[15:16]
	;; [unrolled: 1-line block ×3, first 2 shown]
	v_add_f64 v[17:18], v[15:16], v[5:6]
	v_add_f64 v[19:20], v[17:18], -v[15:16]
	v_add_f64 v[25:26], v[11:12], v[17:18]
	v_add_f64 v[23:24], v[17:18], -v[19:20]
	v_add_f64 v[5:6], v[5:6], -v[19:20]
	v_ldexp_f64 v[19:20], v[25:26], -2
	v_add_f64 v[11:12], v[25:26], -v[11:12]
	v_add_f64 v[15:16], v[15:16], -v[23:24]
	v_add_f64 v[23:24], v[27:28], v[9:10]
	v_cmp_neq_f64_e64 vcc_lo, 0x7ff00000, |v[19:20]|
	v_add_f64 v[11:12], v[17:18], -v[11:12]
	v_add_f64 v[5:6], v[5:6], v[15:16]
	v_fract_f64_e32 v[15:16], v[19:20]
	v_add_f64 v[17:18], v[23:24], v[5:6]
	v_ldexp_f64 v[15:16], v[15:16], 2
	v_add_f64 v[19:20], v[11:12], v[17:18]
	v_cndmask_b32_e32 v16, 0, v16, vcc_lo
	v_cndmask_b32_e32 v15, 0, v15, vcc_lo
	v_add_f64 v[25:26], v[19:20], v[15:16]
	v_add_f64 v[11:12], v[19:20], -v[11:12]
	v_cmp_gt_f64_e32 vcc_lo, 0, v[25:26]
	v_add_f64 v[25:26], v[23:24], -v[27:28]
	v_add_f64 v[11:12], v[17:18], -v[11:12]
	v_cndmask_b32_e64 v30, 0, 0x40100000, vcc_lo
	v_add_f64 v[34:35], v[23:24], -v[25:26]
	v_add_f64 v[9:10], v[9:10], -v[25:26]
	v_add_f64 v[15:16], v[15:16], v[29:30]
	v_add_f64 v[30:31], v[17:18], -v[23:24]
	v_add_f64 v[25:26], v[27:28], -v[34:35]
	v_add_f64 v[32:33], v[19:20], v[15:16]
	;; [unrolled: 3-line block ×3, first 2 shown]
	v_cvt_i32_f64_e32 v32, v[32:33]
	v_add_f64 v[23:24], v[23:24], -v[36:37]
	v_cvt_f64_i32_e32 v[30:31], v32
	v_add_f64 v[5:6], v[5:6], v[23:24]
	v_add_f64 v[15:16], v[15:16], -v[30:31]
	v_add_f64 v[5:6], v[9:10], v[5:6]
	v_add_f64 v[9:10], v[19:20], v[15:16]
	;; [unrolled: 1-line block ×3, first 2 shown]
	v_add_f64 v[5:6], v[9:10], -v[15:16]
	v_cmp_le_f64_e32 vcc_lo, 0.5, v[9:10]
	v_add_f64 v[3:4], v[11:12], v[3:4]
	v_add_f64 v[5:6], v[19:20], -v[5:6]
	v_cndmask_b32_e64 v30, 0, 0x3ff00000, vcc_lo
	v_add_co_ci_u32_e64 v15, null, 0, v32, vcc_lo
	v_add_f64 v[3:4], v[3:4], v[5:6]
	v_add_f64 v[5:6], v[9:10], -v[29:30]
	v_add_f64 v[9:10], v[5:6], v[3:4]
	v_mul_f64 v[11:12], v[9:10], s[0:1]
	v_add_f64 v[5:6], v[9:10], -v[5:6]
	v_fma_f64 v[16:17], v[9:10], s[0:1], -v[11:12]
	v_add_f64 v[3:4], v[3:4], -v[5:6]
	v_fma_f64 v[5:6], v[9:10], s[12:13], v[16:17]
	v_fma_f64 v[5:6], v[3:4], s[0:1], v[5:6]
	v_add_f64 v[3:4], v[11:12], v[5:6]
	v_add_f64 v[9:10], v[3:4], -v[11:12]
	v_add_f64 v[5:6], v[5:6], -v[9:10]
	s_andn2_saveexec_b32 s0, s7
	s_cbranch_execz .LBB7_293
	s_branch .LBB7_292
.LBB7_291:
	s_andn2_saveexec_b32 s0, s7
	s_cbranch_execz .LBB7_293
.LBB7_292:
	s_mov_b32 s12, 0x6dc9c883
	s_mov_b32 s13, 0x3fe45f30
	;; [unrolled: 1-line block ×3, first 2 shown]
	v_mul_f64 v[3:4], |v[1:2]|, s[12:13]
	s_mov_b32 s12, 0x54442d18
	s_mov_b32 s13, 0xbff921fb
	;; [unrolled: 1-line block ×3, first 2 shown]
	v_rndne_f64_e32 v[9:10], v[3:4]
	v_fma_f64 v[3:4], v[9:10], s[12:13], |v[1:2]|
	v_mul_f64 v[5:6], v[9:10], s[14:15]
	s_mov_b32 s12, 0x252049c0
	s_mov_b32 s13, 0xb97b839a
	v_fma_f64 v[15:16], v[9:10], s[14:15], v[3:4]
	v_add_f64 v[11:12], v[3:4], v[5:6]
	s_mov_b32 s15, 0x3c91a626
	v_add_f64 v[3:4], v[3:4], -v[11:12]
	v_add_f64 v[11:12], v[11:12], -v[15:16]
	v_add_f64 v[3:4], v[3:4], v[5:6]
	v_fma_f64 v[5:6], v[9:10], s[14:15], v[5:6]
	v_add_f64 v[3:4], v[11:12], v[3:4]
	v_add_f64 v[3:4], v[3:4], -v[5:6]
	v_fma_f64 v[5:6], v[9:10], s[12:13], v[3:4]
	v_add_f64 v[3:4], v[15:16], v[5:6]
	v_add_f64 v[11:12], v[3:4], -v[15:16]
	v_cvt_i32_f64_e32 v15, v[9:10]
	v_add_f64 v[5:6], v[5:6], -v[11:12]
.LBB7_293:
	s_or_b32 exec_lo, exec_lo, s0
                                        ; implicit-def: $vgpr16
                                        ; implicit-def: $vgpr9_vgpr10
                                        ; implicit-def: $vgpr11_vgpr12
	s_and_saveexec_b32 s0, s6
	s_xor_b32 s0, exec_lo, s0
	s_cbranch_execz .LBB7_295
; %bb.294:
	v_ldexp_f64 v[9:10], |v[1:2]|, 0xffffff80
	v_cmp_le_f64_e64 vcc_lo, 0x7b000000, |v[1:2]|
	v_trig_preop_f64 v[11:12], |v[1:2]|, 0
	v_and_b32_e32 v16, 0x7fffffff, v2
	v_trig_preop_f64 v[26:27], |v[1:2]|, 2
	v_mov_b32_e32 v34, 0
	s_mov_b32 s6, 0x54442d18
	s_mov_b32 s7, 0x3ff921fb
	;; [unrolled: 1-line block ×4, first 2 shown]
	v_cndmask_b32_e32 v10, v16, v10, vcc_lo
	v_cndmask_b32_e32 v9, v1, v9, vcc_lo
	v_trig_preop_f64 v[16:17], |v[1:2]|, 1
	v_mul_f64 v[18:19], v[11:12], v[9:10]
	v_mul_f64 v[32:33], v[26:27], v[9:10]
	;; [unrolled: 1-line block ×3, first 2 shown]
	v_fma_f64 v[11:12], v[11:12], v[9:10], -v[18:19]
	v_fma_f64 v[16:17], v[16:17], v[9:10], -v[20:21]
	;; [unrolled: 1-line block ×3, first 2 shown]
	v_add_f64 v[22:23], v[20:21], v[11:12]
	v_add_f64 v[24:25], v[22:23], -v[20:21]
	v_add_f64 v[30:31], v[18:19], v[22:23]
	v_add_f64 v[28:29], v[22:23], -v[24:25]
	v_add_f64 v[11:12], v[11:12], -v[24:25]
	v_ldexp_f64 v[24:25], v[30:31], -2
	v_add_f64 v[18:19], v[30:31], -v[18:19]
	v_add_f64 v[20:21], v[20:21], -v[28:29]
	v_add_f64 v[28:29], v[32:33], v[16:17]
	v_cmp_neq_f64_e64 vcc_lo, 0x7ff00000, |v[24:25]|
	v_add_f64 v[18:19], v[22:23], -v[18:19]
	v_add_f64 v[11:12], v[11:12], v[20:21]
	v_fract_f64_e32 v[20:21], v[24:25]
	v_add_f64 v[22:23], v[28:29], v[11:12]
	v_ldexp_f64 v[20:21], v[20:21], 2
	v_add_f64 v[24:25], v[18:19], v[22:23]
	v_cndmask_b32_e32 v21, 0, v21, vcc_lo
	v_cndmask_b32_e32 v20, 0, v20, vcc_lo
	v_add_f64 v[30:31], v[24:25], v[20:21]
	v_add_f64 v[18:19], v[24:25], -v[18:19]
	v_cmp_gt_f64_e32 vcc_lo, 0, v[30:31]
	v_add_f64 v[30:31], v[28:29], -v[32:33]
	v_cndmask_b32_e64 v35, 0, 0x40100000, vcc_lo
	v_add_f64 v[39:40], v[28:29], -v[30:31]
	v_add_f64 v[16:17], v[16:17], -v[30:31]
	v_add_f64 v[20:21], v[20:21], v[34:35]
	v_add_f64 v[35:36], v[22:23], -v[28:29]
	v_add_f64 v[30:31], v[32:33], -v[39:40]
	v_add_f64 v[37:38], v[24:25], v[20:21]
	;; [unrolled: 3-line block ×3, first 2 shown]
	v_cvt_i32_f64_e32 v37, v[37:38]
	v_add_f64 v[28:29], v[28:29], -v[41:42]
	v_cvt_f64_i32_e32 v[35:36], v37
	v_add_f64 v[11:12], v[11:12], v[28:29]
	v_add_f64 v[20:21], v[20:21], -v[35:36]
	v_add_f64 v[11:12], v[16:17], v[11:12]
	v_add_f64 v[16:17], v[22:23], -v[18:19]
	v_add_f64 v[26:27], v[24:25], v[20:21]
	v_add_f64 v[9:10], v[9:10], v[11:12]
	v_add_f64 v[11:12], v[26:27], -v[20:21]
	v_cmp_le_f64_e32 vcc_lo, 0.5, v[26:27]
	v_add_f64 v[9:10], v[16:17], v[9:10]
	v_add_f64 v[11:12], v[24:25], -v[11:12]
	v_cndmask_b32_e64 v35, 0, 0x3ff00000, vcc_lo
	v_add_co_ci_u32_e64 v16, null, 0, v37, vcc_lo
	v_add_f64 v[9:10], v[9:10], v[11:12]
	v_add_f64 v[11:12], v[26:27], -v[34:35]
	v_add_f64 v[17:18], v[11:12], v[9:10]
	v_mul_f64 v[19:20], v[17:18], s[6:7]
	v_add_f64 v[11:12], v[17:18], -v[11:12]
	v_fma_f64 v[21:22], v[17:18], s[6:7], -v[19:20]
	v_add_f64 v[9:10], v[9:10], -v[11:12]
	v_fma_f64 v[11:12], v[17:18], s[12:13], v[21:22]
	v_fma_f64 v[11:12], v[9:10], s[6:7], v[11:12]
	v_add_f64 v[9:10], v[19:20], v[11:12]
	v_add_f64 v[17:18], v[9:10], -v[19:20]
	v_add_f64 v[11:12], v[11:12], -v[17:18]
	s_andn2_saveexec_b32 s0, s0
	s_cbranch_execnz .LBB7_296
	s_branch .LBB7_297
.LBB7_295:
	s_andn2_saveexec_b32 s0, s0
	s_cbranch_execz .LBB7_297
.LBB7_296:
	s_mov_b32 s6, 0x6dc9c883
	s_mov_b32 s7, 0x3fe45f30
	;; [unrolled: 1-line block ×3, first 2 shown]
	v_mul_f64 v[9:10], |v[1:2]|, s[6:7]
	s_mov_b32 s6, 0x54442d18
	s_mov_b32 s7, 0xbff921fb
	;; [unrolled: 1-line block ×3, first 2 shown]
	v_rndne_f64_e32 v[16:17], v[9:10]
	v_fma_f64 v[9:10], v[16:17], s[6:7], |v[1:2]|
	v_mul_f64 v[11:12], v[16:17], s[12:13]
	s_mov_b32 s6, 0x252049c0
	s_mov_b32 s7, 0xb97b839a
	v_fma_f64 v[20:21], v[16:17], s[12:13], v[9:10]
	v_add_f64 v[18:19], v[9:10], v[11:12]
	s_mov_b32 s13, 0x3c91a626
	v_add_f64 v[9:10], v[9:10], -v[18:19]
	v_add_f64 v[18:19], v[18:19], -v[20:21]
	v_add_f64 v[9:10], v[9:10], v[11:12]
	v_fma_f64 v[11:12], v[16:17], s[12:13], v[11:12]
	v_add_f64 v[9:10], v[18:19], v[9:10]
	v_add_f64 v[9:10], v[9:10], -v[11:12]
	v_fma_f64 v[11:12], v[16:17], s[6:7], v[9:10]
	v_cvt_i32_f64_e32 v16, v[16:17]
	v_add_f64 v[9:10], v[20:21], v[11:12]
	v_add_f64 v[18:19], v[9:10], -v[20:21]
	v_add_f64 v[11:12], v[11:12], -v[18:19]
.LBB7_297:
	s_or_b32 exec_lo, exec_lo, s0
	v_div_scale_f64 v[17:18], null, v[13:14], v[13:14], 1.0
	v_div_scale_f64 v[23:24], vcc_lo, 1.0, v[13:14], 1.0
	s_mov_b32 s0, 0xddcfbbde
	s_mov_b32 s1, 0x3f943525
	;; [unrolled: 1-line block ×8, first 2 shown]
	v_mul_f64 v[63:64], v[11:12], 0.5
	v_rcp_f64_e32 v[19:20], v[17:18]
	v_fma_f64 v[21:22], -v[17:18], v[19:20], 1.0
	v_fma_f64 v[19:20], v[19:20], v[21:22], v[19:20]
	v_fma_f64 v[21:22], -v[17:18], v[19:20], 1.0
	v_fma_f64 v[19:20], v[19:20], v[21:22], v[19:20]
	v_mul_f64 v[21:22], v[23:24], v[19:20]
	v_fma_f64 v[17:18], -v[17:18], v[21:22], v[23:24]
	v_div_fmas_f64 v[17:18], v[17:18], v[19:20], v[21:22]
	v_cmp_gt_f64_e32 vcc_lo, 0x10000000, v[7:8]
	v_div_fixup_f64 v[13:14], v[17:18], v[13:14], 1.0
	v_cndmask_b32_e64 v21, 0, 0x100, vcc_lo
	v_ldexp_f64 v[7:8], v[7:8], v21
	v_mul_f64 v[17:18], v[13:14], v[13:14]
	v_rsq_f64_e32 v[25:26], v[7:8]
	v_fma_f64 v[19:20], v[17:18], 0, s[0:1]
	s_mov_b32 s0, 0x6437b7
	s_mov_b32 s1, 0x3fd907d5
	v_mul_f64 v[29:30], v[7:8], v[25:26]
	v_mul_f64 v[25:26], v[25:26], 0.5
	v_fma_f64 v[19:20], v[17:18], v[19:20], s[0:1]
	s_mov_b32 s0, 0xd50ae6fb
	s_mov_b32 s1, 0xbfc0db6c
	v_fma_f64 v[21:22], v[17:18], 0, s[0:1]
	s_mov_b32 s0, 0xf3d56b40
	s_mov_b32 s1, 0x40229e2b
	;; [unrolled: 3-line block ×3, first 2 shown]
	v_fma_f64 v[31:32], -v[25:26], v[29:30], 0.5
	v_fma_f64 v[19:20], v[17:18], v[19:20], s[6:7]
	s_mov_b32 s6, 0x2572edf2
	s_mov_b32 s7, 0x402ab64b
	v_fma_f64 v[27:28], v[17:18], 0, s[6:7]
	v_fma_f64 v[21:22], v[17:18], v[21:22], s[0:1]
	s_mov_b32 s0, 0xc0ef18d4
	s_mov_b32 s1, 0x4033d5d5
	s_mov_b32 s6, 0x44787b1a
	v_fma_f64 v[23:24], v[17:18], v[23:24], s[0:1]
	s_mov_b32 s0, 0xc2f79f7d
	s_mov_b32 s1, 0xbfe62e59
	;; [unrolled: 1-line block ×3, first 2 shown]
	v_fma_f64 v[29:30], v[29:30], v[31:32], v[29:30]
	v_fma_f64 v[25:26], v[25:26], v[31:32], v[25:26]
	;; [unrolled: 1-line block ×3, first 2 shown]
	s_mov_b32 s12, 0xcea8fe1d
	s_mov_b32 s13, 0x3fd67e69
	v_fma_f64 v[27:28], v[17:18], v[27:28], s[6:7]
	v_fma_f64 v[21:22], v[17:18], v[21:22], s[0:1]
	s_mov_b32 s0, 0x7ea7dc35
	s_mov_b32 s1, 0x402f211b
	;; [unrolled: 1-line block ×3, first 2 shown]
	v_fma_f64 v[23:24], v[17:18], v[23:24], s[0:1]
	s_mov_b32 s0, 0x4bb3f40b
	s_mov_b32 s1, 0xbfd1e7ea
	;; [unrolled: 1-line block ×3, first 2 shown]
	v_fma_f64 v[31:32], -v[29:30], v[29:30], v[7:8]
	v_fma_f64 v[19:20], v[17:18], v[19:20], s[12:13]
	s_mov_b32 s12, 0x21e90978
	s_mov_b32 s13, 0x3fb03a41
	v_fma_f64 v[27:28], v[17:18], v[27:28], s[6:7]
	v_fma_f64 v[21:22], v[17:18], v[21:22], s[0:1]
	s_mov_b32 s0, 0x2b79dbce
	s_mov_b32 s1, 0x4015e84e
	;; [unrolled: 1-line block ×3, first 2 shown]
	v_fma_f64 v[23:24], v[17:18], v[23:24], s[0:1]
	s_mov_b32 s0, 0xf47dbd8a
	s_mov_b32 s1, 0xbfa92f6e
	;; [unrolled: 1-line block ×3, first 2 shown]
	v_fma_f64 v[29:30], v[31:32], v[25:26], v[29:30]
	v_fma_f64 v[19:20], v[17:18], v[19:20], s[12:13]
	s_mov_b32 s12, 0xf12f5043
	s_mov_b32 s13, 0x3f77fe99
	v_fma_f64 v[27:28], v[17:18], v[27:28], s[6:7]
	v_fma_f64 v[21:22], v[17:18], v[21:22], s[0:1]
	s_mov_b32 s0, 0xc195ece3
	s_mov_b32 s1, 0x3fee8992
	;; [unrolled: 1-line block ×3, first 2 shown]
	v_fma_f64 v[23:24], v[17:18], v[23:24], s[0:1]
	s_mov_b32 s0, 0xc8d9e090
	s_mov_b32 s1, 0xbf70a401
	s_mov_b32 s7, 0x3ff79acb
	v_fma_f64 v[31:32], -v[29:30], v[29:30], v[7:8]
	v_fma_f64 v[19:20], v[17:18], v[19:20], s[12:13]
	s_mov_b32 s12, 0x600e17a2
	s_mov_b32 s13, 0x3f328976
	v_fma_f64 v[27:28], v[17:18], v[27:28], s[6:7]
	v_fma_f64 v[21:22], v[17:18], v[21:22], s[0:1]
	s_mov_b32 s0, 0xed64a9ee
	s_mov_b32 s1, 0x3fb6221d
	;; [unrolled: 1-line block ×3, first 2 shown]
	v_fma_f64 v[23:24], v[17:18], v[23:24], s[0:1]
	s_mov_b32 s0, 0xaf4b009c
	s_mov_b32 s1, 0xbf24e06e
	s_mov_b32 s7, 0x3fbd9dac
	v_fma_f64 v[25:26], v[31:32], v[25:26], v[29:30]
	v_cndmask_b32_e64 v29, 0, 0xffffff80, vcc_lo
	v_cmp_class_f64_e64 vcc_lo, v[7:8], 0x260
	v_mul_f64 v[31:32], v[9:10], v[9:10]
	v_fma_f64 v[19:20], v[17:18], v[19:20], s[12:13]
	s_mov_b32 s12, 0x69f8574e
	s_mov_b32 s13, 0x3edd4f3d
	v_fma_f64 v[27:28], v[17:18], v[27:28], s[6:7]
	v_fma_f64 v[21:22], v[17:18], v[21:22], s[0:1]
	s_mov_b32 s0, 0x6be393bb
	s_mov_b32 s1, 0x3f70e704
	;; [unrolled: 1-line block ×3, first 2 shown]
	v_fma_f64 v[23:24], v[17:18], v[23:24], s[0:1]
	s_mov_b32 s0, 0x1d42366d
	s_mov_b32 s1, 0xbec74a78
	;; [unrolled: 1-line block ×3, first 2 shown]
	v_ldexp_f64 v[25:26], v[25:26], v29
	v_mul_f64 v[55:56], v[31:32], 0.5
	v_mul_f64 v[65:66], v[9:10], -v[31:32]
	v_fma_f64 v[19:20], v[17:18], v[19:20], s[12:13]
	s_mov_b32 s12, 0xbbad11c8
	s_mov_b32 s13, 0x3e75ca92
	v_fma_f64 v[27:28], v[17:18], v[27:28], s[6:7]
	v_fma_f64 v[21:22], v[17:18], v[21:22], s[0:1]
	s_mov_b32 s0, 0xd603a5a0
	s_mov_b32 s1, 0x3f1a8b61
	;; [unrolled: 1-line block ×3, first 2 shown]
	v_fma_f64 v[23:24], v[17:18], v[23:24], s[0:1]
	s_mov_b32 s0, 0xaf76e73b
	s_mov_b32 s1, 0x3f13c8d7
	;; [unrolled: 1-line block ×3, first 2 shown]
	v_cndmask_b32_e32 v8, v26, v8, vcc_lo
	v_cndmask_b32_e32 v7, v25, v7, vcc_lo
	v_fma_f64 v[19:20], v[17:18], v[19:20], s[12:13]
	s_mov_b32 s12, 0x7d97ee7a
	s_mov_b32 s13, 0x3df778a4
	v_fma_f64 v[27:28], v[17:18], v[27:28], s[0:1]
	v_fma_f64 v[21:22], v[17:18], v[21:22], s[6:7]
	s_mov_b32 s0, 0xdb0724e8
	s_mov_b32 s1, 0x3eb3a845
	;; [unrolled: 1-line block ×3, first 2 shown]
	v_fma_f64 v[23:24], v[17:18], v[23:24], s[0:1]
	s_mov_b32 s0, 0xb99518a7
	s_mov_b32 s1, 0x3e9e52b9
	s_mov_b32 s7, 0x3fe20dd7
	v_div_scale_f64 v[25:26], null, v[7:8], v[7:8], s[6:7]
	v_fma_f64 v[19:20], v[17:18], v[19:20], s[12:13]
	s_mov_b32 s12, 0xf9a43bb8
	s_mov_b32 s13, 0x3de5e0b2
	v_fma_f64 v[27:28], v[17:18], v[27:28], s[0:1]
	v_mul_f64 v[21:22], v[17:18], v[21:22]
	s_mov_b32 s0, 0x3dd589d4
	s_mov_b32 s1, 0x3e351fc7
	v_fma_f64 v[17:18], v[17:18], v[23:24], s[0:1]
	s_mov_b32 s0, 0xb42fdfa7
	s_mov_b32 s1, 0xbe5ae600
	v_fma_f64 v[41:42], v[31:32], s[12:13], s[0:1]
	v_rcp_f64_e32 v[37:38], v[25:26]
	v_mul_f64 v[13:14], v[13:14], v[19:20]
	v_mul_f64 v[19:20], v[3:4], v[3:4]
	v_div_scale_f64 v[23:24], null, v[27:28], v[27:28], v[21:22]
	v_fma_f64 v[41:42], v[31:32], v[41:42], s[14:15]
	v_fma_f64 v[49:50], -v[25:26], v[37:38], 1.0
	v_div_scale_f64 v[29:30], null, v[17:18], v[17:18], v[13:14]
	v_fma_f64 v[33:34], v[19:20], s[12:13], s[0:1]
	s_mov_b32 s0, 0x9037ab78
	s_mov_b32 s12, 0x46cc5e42
	v_rcp_f64_e32 v[35:36], v[23:24]
	s_mov_b32 s1, 0x3e21eeb6
	s_mov_b32 s13, 0xbda907db
	v_mul_f64 v[45:46], v[19:20], 0.5
	v_fma_f64 v[43:44], v[19:20], s[12:13], s[0:1]
	v_fma_f64 v[53:54], v[31:32], s[12:13], s[0:1]
	s_mov_b32 s0, 0xa17f65f6
	s_mov_b32 s12, 0x19e83e5c
	;; [unrolled: 1-line block ×4, first 2 shown]
	v_fma_f64 v[37:38], v[37:38], v[49:50], v[37:38]
	v_fma_f64 v[41:42], v[31:32], v[41:42], s[12:13]
	v_add_f64 v[49:50], -v[55:56], 1.0
	v_rcp_f64_e32 v[39:40], v[29:30]
	v_fma_f64 v[33:34], v[19:20], v[33:34], s[14:15]
	v_fma_f64 v[47:48], -v[23:24], v[35:36], 1.0
	v_add_f64 v[57:58], -v[45:46], 1.0
	v_fma_f64 v[43:44], v[19:20], v[43:44], s[0:1]
	v_fma_f64 v[67:68], -v[25:26], v[37:38], 1.0
	v_add_f64 v[71:72], -v[49:50], 1.0
	v_fma_f64 v[33:34], v[19:20], v[33:34], s[12:13]
	v_fma_f64 v[51:52], -v[29:30], v[39:40], 1.0
	s_mov_b32 s12, 0x19f4ec90
	s_mov_b32 s13, 0x3efa01a0
	v_fma_f64 v[35:36], v[35:36], v[47:48], v[35:36]
	v_fma_f64 v[47:48], v[31:32], v[53:54], s[0:1]
	s_mov_b32 s0, 0x11110bb3
	s_mov_b32 s1, 0x3f811111
	v_mul_f64 v[53:54], v[3:4], -v[19:20]
	v_fma_f64 v[43:44], v[19:20], v[43:44], s[12:13]
	v_add_f64 v[59:60], -v[57:58], 1.0
	v_fma_f64 v[41:42], v[31:32], v[41:42], s[0:1]
	v_fma_f64 v[37:38], v[37:38], v[67:68], v[37:38]
	v_add_f64 v[55:56], v[71:72], -v[55:56]
	v_fma_f64 v[33:34], v[19:20], v[33:34], s[0:1]
	v_fma_f64 v[39:40], v[39:40], v[51:52], v[39:40]
	v_mul_f64 v[51:52], v[5:6], 0.5
	v_fma_f64 v[61:62], -v[23:24], v[35:36], 1.0
	v_fma_f64 v[47:48], v[31:32], v[47:48], s[12:13]
	s_mov_b32 s12, 0x16c16967
	s_mov_b32 s13, 0xbf56c16c
	v_fma_f64 v[43:44], v[19:20], v[43:44], s[12:13]
	v_add_f64 v[45:46], v[59:60], -v[45:46]
	v_div_scale_f64 v[59:60], s0, s[6:7], v[7:8], s[6:7]
	v_fma_f64 v[41:42], v[65:66], v[41:42], v[63:64]
	v_mul_f64 v[63:64], v[19:20], v[19:20]
	v_fma_f64 v[69:70], -v[29:30], v[39:40], 1.0
	v_fma_f64 v[33:34], v[53:54], v[33:34], v[51:52]
	v_div_scale_f64 v[51:52], vcc_lo, v[21:22], v[27:28], v[21:22]
	v_fma_f64 v[35:36], v[35:36], v[61:62], v[35:36]
	v_div_scale_f64 v[61:62], s1, v[13:14], v[17:18], v[13:14]
	v_fma_f64 v[47:48], v[31:32], v[47:48], s[12:13]
	s_mov_b32 s12, 0x55555555
	s_mov_b32 s13, 0x3fa55555
	v_fma_f64 v[45:46], v[3:4], -v[5:6], v[45:46]
	v_fma_f64 v[43:44], v[19:20], v[43:44], s[12:13]
	v_fma_f64 v[41:42], v[31:32], v[41:42], -v[11:12]
	v_fma_f64 v[11:12], v[9:10], -v[11:12], v[55:56]
	v_fma_f64 v[39:40], v[39:40], v[69:70], v[39:40]
	v_fma_f64 v[5:6], v[19:20], v[33:34], -v[5:6]
	v_mul_f64 v[33:34], v[59:60], v[37:38]
	v_mul_f64 v[69:70], v[31:32], v[31:32]
	;; [unrolled: 1-line block ×3, first 2 shown]
	v_fma_f64 v[31:32], v[31:32], v[47:48], s[12:13]
	s_mov_b32 s13, 0xbfc55555
	v_fma_f64 v[43:44], v[63:64], v[43:44], v[45:46]
	v_fma_f64 v[41:42], v[65:66], s[12:13], v[41:42]
	v_mul_f64 v[67:68], v[61:62], v[39:40]
	v_fma_f64 v[5:6], v[53:54], s[12:13], v[5:6]
	v_fma_f64 v[25:26], -v[25:26], v[33:34], v[59:60]
	v_fma_f64 v[23:24], -v[23:24], v[19:20], v[51:52]
	v_fma_f64 v[11:12], v[69:70], v[31:32], v[11:12]
	v_add_f64 v[31:32], v[57:58], v[43:44]
	v_add_f64 v[9:10], v[9:10], -v[41:42]
	v_fma_f64 v[29:30], -v[29:30], v[67:68], v[61:62]
	v_add_f64 v[3:4], v[3:4], -v[5:6]
	v_div_fmas_f64 v[5:6], v[23:24], v[35:36], v[19:20]
	s_mov_b32 vcc_lo, s0
	v_cmp_class_f64_e64 s0, v[1:2], 0x1f8
	v_div_fmas_f64 v[19:20], v[25:26], v[37:38], v[33:34]
	s_mov_b32 vcc_lo, s1
	v_add_f64 v[11:12], v[49:50], v[11:12]
	v_and_b32_e32 v1, 1, v16
	v_and_b32_e32 v25, 1, v15
	v_xor_b32_e32 v10, 0x80000000, v10
	v_cmp_eq_u32_e64 s1, 0, v1
	v_lshlrev_b32_e32 v1, 30, v16
	v_and_b32_e32 v1, 0x80000000, v1
	v_div_fmas_f64 v[23:24], v[29:30], v[39:40], v[67:68]
	v_cmp_eq_u32_e32 vcc_lo, 0, v25
	v_div_fixup_f64 v[5:6], v[5:6], v[27:28], v[21:22]
	v_cndmask_b32_e32 v3, v31, v3, vcc_lo
	v_cndmask_b32_e64 v10, v10, v12, s1
	v_cndmask_b32_e64 v9, v9, v11, s1
	v_xor_b32_e32 v10, v10, v1
	v_cndmask_b32_e64 v9, 0, v9, s0
	v_cndmask_b32_e64 v1, 0, v3, s0
	v_lshlrev_b32_e32 v3, 30, v15
	v_cndmask_b32_e64 v10, 0x7ff80000, v10, s0
	v_xor_b32_e32 v2, v3, v2
	v_div_fixup_f64 v[13:14], v[23:24], v[17:18], v[13:14]
	v_cndmask_b32_e32 v3, v32, v4, vcc_lo
	v_add_f64 v[5:6], v[5:6], 1.0
	v_and_b32_e32 v2, 0x80000000, v2
	v_xor_b32_e32 v2, v3, v2
	v_div_fixup_f64 v[3:4], v[19:20], v[7:8], s[6:7]
	v_cndmask_b32_e64 v2, 0x7ff80000, v2, s0
	v_mul_f64 v[9:10], v[13:14], v[9:10]
	v_fma_f64 v[1:2], v[5:6], v[1:2], -v[9:10]
	v_mul_f64 v[3:4], v[3:4], v[1:2]
.LBB7_298:
	s_or_b32 exec_lo, exec_lo, s10
.LBB7_299:
	s_or_b32 exec_lo, exec_lo, s9
.LBB7_300:
	s_or_b32 exec_lo, exec_lo, s8
	global_store_dwordx2 v0, v[3:4], s[4:5]
	s_or_b32 exec_lo, exec_lo, s20
                                        ; implicit-def: $vgpr9
                                        ; implicit-def: $vgpr15
	s_andn2_saveexec_b32 s0, s25
	s_cbranch_execz .LBB7_253
	s_branch .LBB7_8
	.section	.rodata,"a",@progbits
	.p2align	6, 0x0
	.amdhsa_kernel _ZN2at6native32elementwise_kernel_manual_unrollILi128ELi4EZNS0_22gpu_kernel_impl_nocastIZZZNS0_12_GLOBAL__N_119airy_ai_kernel_cudaERNS_18TensorIteratorBaseEENKUlvE_clEvENKUlvE_clEvEUldE_EEvS5_RKT_EUlibE_EEviT1_
		.amdhsa_group_segment_fixed_size 0
		.amdhsa_private_segment_fixed_size 0
		.amdhsa_kernarg_size 360
		.amdhsa_user_sgpr_count 6
		.amdhsa_user_sgpr_private_segment_buffer 1
		.amdhsa_user_sgpr_dispatch_ptr 0
		.amdhsa_user_sgpr_queue_ptr 0
		.amdhsa_user_sgpr_kernarg_segment_ptr 1
		.amdhsa_user_sgpr_dispatch_id 0
		.amdhsa_user_sgpr_flat_scratch_init 0
		.amdhsa_user_sgpr_private_segment_size 0
		.amdhsa_wavefront_size32 1
		.amdhsa_uses_dynamic_stack 0
		.amdhsa_system_sgpr_private_segment_wavefront_offset 0
		.amdhsa_system_sgpr_workgroup_id_x 1
		.amdhsa_system_sgpr_workgroup_id_y 0
		.amdhsa_system_sgpr_workgroup_id_z 0
		.amdhsa_system_sgpr_workgroup_info 0
		.amdhsa_system_vgpr_workitem_id 0
		.amdhsa_next_free_vgpr 83
		.amdhsa_next_free_sgpr 56
		.amdhsa_reserve_vcc 1
		.amdhsa_reserve_flat_scratch 0
		.amdhsa_float_round_mode_32 0
		.amdhsa_float_round_mode_16_64 0
		.amdhsa_float_denorm_mode_32 3
		.amdhsa_float_denorm_mode_16_64 3
		.amdhsa_dx10_clamp 1
		.amdhsa_ieee_mode 1
		.amdhsa_fp16_overflow 0
		.amdhsa_workgroup_processor_mode 1
		.amdhsa_memory_ordered 1
		.amdhsa_forward_progress 1
		.amdhsa_shared_vgpr_count 0
		.amdhsa_exception_fp_ieee_invalid_op 0
		.amdhsa_exception_fp_denorm_src 0
		.amdhsa_exception_fp_ieee_div_zero 0
		.amdhsa_exception_fp_ieee_overflow 0
		.amdhsa_exception_fp_ieee_underflow 0
		.amdhsa_exception_fp_ieee_inexact 0
		.amdhsa_exception_int_div_zero 0
	.end_amdhsa_kernel
	.section	.text._ZN2at6native32elementwise_kernel_manual_unrollILi128ELi4EZNS0_22gpu_kernel_impl_nocastIZZZNS0_12_GLOBAL__N_119airy_ai_kernel_cudaERNS_18TensorIteratorBaseEENKUlvE_clEvENKUlvE_clEvEUldE_EEvS5_RKT_EUlibE_EEviT1_,"axG",@progbits,_ZN2at6native32elementwise_kernel_manual_unrollILi128ELi4EZNS0_22gpu_kernel_impl_nocastIZZZNS0_12_GLOBAL__N_119airy_ai_kernel_cudaERNS_18TensorIteratorBaseEENKUlvE_clEvENKUlvE_clEvEUldE_EEvS5_RKT_EUlibE_EEviT1_,comdat
.Lfunc_end7:
	.size	_ZN2at6native32elementwise_kernel_manual_unrollILi128ELi4EZNS0_22gpu_kernel_impl_nocastIZZZNS0_12_GLOBAL__N_119airy_ai_kernel_cudaERNS_18TensorIteratorBaseEENKUlvE_clEvENKUlvE_clEvEUldE_EEvS5_RKT_EUlibE_EEviT1_, .Lfunc_end7-_ZN2at6native32elementwise_kernel_manual_unrollILi128ELi4EZNS0_22gpu_kernel_impl_nocastIZZZNS0_12_GLOBAL__N_119airy_ai_kernel_cudaERNS_18TensorIteratorBaseEENKUlvE_clEvENKUlvE_clEvEUldE_EEvS5_RKT_EUlibE_EEviT1_
                                        ; -- End function
	.set _ZN2at6native32elementwise_kernel_manual_unrollILi128ELi4EZNS0_22gpu_kernel_impl_nocastIZZZNS0_12_GLOBAL__N_119airy_ai_kernel_cudaERNS_18TensorIteratorBaseEENKUlvE_clEvENKUlvE_clEvEUldE_EEvS5_RKT_EUlibE_EEviT1_.num_vgpr, 83
	.set _ZN2at6native32elementwise_kernel_manual_unrollILi128ELi4EZNS0_22gpu_kernel_impl_nocastIZZZNS0_12_GLOBAL__N_119airy_ai_kernel_cudaERNS_18TensorIteratorBaseEENKUlvE_clEvENKUlvE_clEvEUldE_EEvS5_RKT_EUlibE_EEviT1_.num_agpr, 0
	.set _ZN2at6native32elementwise_kernel_manual_unrollILi128ELi4EZNS0_22gpu_kernel_impl_nocastIZZZNS0_12_GLOBAL__N_119airy_ai_kernel_cudaERNS_18TensorIteratorBaseEENKUlvE_clEvENKUlvE_clEvEUldE_EEvS5_RKT_EUlibE_EEviT1_.numbered_sgpr, 56
	.set _ZN2at6native32elementwise_kernel_manual_unrollILi128ELi4EZNS0_22gpu_kernel_impl_nocastIZZZNS0_12_GLOBAL__N_119airy_ai_kernel_cudaERNS_18TensorIteratorBaseEENKUlvE_clEvENKUlvE_clEvEUldE_EEvS5_RKT_EUlibE_EEviT1_.num_named_barrier, 0
	.set _ZN2at6native32elementwise_kernel_manual_unrollILi128ELi4EZNS0_22gpu_kernel_impl_nocastIZZZNS0_12_GLOBAL__N_119airy_ai_kernel_cudaERNS_18TensorIteratorBaseEENKUlvE_clEvENKUlvE_clEvEUldE_EEvS5_RKT_EUlibE_EEviT1_.private_seg_size, 0
	.set _ZN2at6native32elementwise_kernel_manual_unrollILi128ELi4EZNS0_22gpu_kernel_impl_nocastIZZZNS0_12_GLOBAL__N_119airy_ai_kernel_cudaERNS_18TensorIteratorBaseEENKUlvE_clEvENKUlvE_clEvEUldE_EEvS5_RKT_EUlibE_EEviT1_.uses_vcc, 1
	.set _ZN2at6native32elementwise_kernel_manual_unrollILi128ELi4EZNS0_22gpu_kernel_impl_nocastIZZZNS0_12_GLOBAL__N_119airy_ai_kernel_cudaERNS_18TensorIteratorBaseEENKUlvE_clEvENKUlvE_clEvEUldE_EEvS5_RKT_EUlibE_EEviT1_.uses_flat_scratch, 0
	.set _ZN2at6native32elementwise_kernel_manual_unrollILi128ELi4EZNS0_22gpu_kernel_impl_nocastIZZZNS0_12_GLOBAL__N_119airy_ai_kernel_cudaERNS_18TensorIteratorBaseEENKUlvE_clEvENKUlvE_clEvEUldE_EEvS5_RKT_EUlibE_EEviT1_.has_dyn_sized_stack, 0
	.set _ZN2at6native32elementwise_kernel_manual_unrollILi128ELi4EZNS0_22gpu_kernel_impl_nocastIZZZNS0_12_GLOBAL__N_119airy_ai_kernel_cudaERNS_18TensorIteratorBaseEENKUlvE_clEvENKUlvE_clEvEUldE_EEvS5_RKT_EUlibE_EEviT1_.has_recursion, 0
	.set _ZN2at6native32elementwise_kernel_manual_unrollILi128ELi4EZNS0_22gpu_kernel_impl_nocastIZZZNS0_12_GLOBAL__N_119airy_ai_kernel_cudaERNS_18TensorIteratorBaseEENKUlvE_clEvENKUlvE_clEvEUldE_EEvS5_RKT_EUlibE_EEviT1_.has_indirect_call, 0
	.section	.AMDGPU.csdata,"",@progbits
; Kernel info:
; codeLenInByte = 57708
; TotalNumSgprs: 58
; NumVgprs: 83
; ScratchSize: 0
; MemoryBound: 0
; FloatMode: 240
; IeeeMode: 1
; LDSByteSize: 0 bytes/workgroup (compile time only)
; SGPRBlocks: 0
; VGPRBlocks: 10
; NumSGPRsForWavesPerEU: 58
; NumVGPRsForWavesPerEU: 83
; Occupancy: 10
; WaveLimiterHint : 1
; COMPUTE_PGM_RSRC2:SCRATCH_EN: 0
; COMPUTE_PGM_RSRC2:USER_SGPR: 6
; COMPUTE_PGM_RSRC2:TRAP_HANDLER: 0
; COMPUTE_PGM_RSRC2:TGID_X_EN: 1
; COMPUTE_PGM_RSRC2:TGID_Y_EN: 0
; COMPUTE_PGM_RSRC2:TGID_Z_EN: 0
; COMPUTE_PGM_RSRC2:TIDIG_COMP_CNT: 0
	.text
	.p2align	2                               ; -- Begin function _ZN2at6native6invokeIZZZNS0_12_GLOBAL__N_119airy_ai_kernel_cudaERNS_18TensorIteratorBaseEENKUlvE_clEvENKUlvE_clEvEUldE_i15function_traitsIS7_EEENT1_11result_typeERKT_PrKPcPKT0_PKN3c1010ScalarTypeEi
	.type	_ZN2at6native6invokeIZZZNS0_12_GLOBAL__N_119airy_ai_kernel_cudaERNS_18TensorIteratorBaseEENKUlvE_clEvENKUlvE_clEvEUldE_i15function_traitsIS7_EEENT1_11result_typeERKT_PrKPcPKT0_PKN3c1010ScalarTypeEi,@function
_ZN2at6native6invokeIZZZNS0_12_GLOBAL__N_119airy_ai_kernel_cudaERNS_18TensorIteratorBaseEENKUlvE_clEvENKUlvE_clEvEUldE_i15function_traitsIS7_EEENT1_11result_typeERKT_PrKPcPKT0_PKN3c1010ScalarTypeEi: ; @_ZN2at6native6invokeIZZZNS0_12_GLOBAL__N_119airy_ai_kernel_cudaERNS_18TensorIteratorBaseEENKUlvE_clEvENKUlvE_clEvEUldE_i15function_traitsIS7_EEENT1_11result_typeERKT_PrKPcPKT0_PKN3c1010ScalarTypeEi
; %bb.0:
	s_waitcnt vmcnt(0) expcnt(0) lgkmcnt(0)
	v_mul_lo_u32 v2, v4, v2
	v_mov_b32_e32 v5, 10
	s_mov_b32 s5, 0
	v_cmp_gt_i16_sdwa s4, v3, v5 src0_sel:BYTE_0 src1_sel:DWORD
	v_ashrrev_i32_e32 v4, 31, v2
	v_add_co_u32 v0, vcc_lo, v0, v2
	v_add_co_ci_u32_e64 v1, null, v1, v4, vcc_lo
                                        ; implicit-def: $vgpr4_vgpr5
	s_and_saveexec_b32 s6, s4
	s_xor_b32 s4, exec_lo, s6
	s_cbranch_execz .LBB8_55
; %bb.1:
	v_mov_b32_e32 v2, 25
	s_mov_b32 s8, 0
	s_mov_b32 s7, 0
                                        ; implicit-def: $vgpr4_vgpr5
	v_cmp_gt_i16_sdwa s6, v3, v2 src0_sel:BYTE_0 src1_sel:DWORD
	s_and_saveexec_b32 s9, s6
	s_xor_b32 s6, exec_lo, s9
	s_cbranch_execz .LBB8_98
; %bb.2:
	v_mov_b32_e32 v2, 28
	s_mov_b32 s9, 0
                                        ; implicit-def: $vgpr4_vgpr5
	v_cmp_gt_i16_sdwa s7, v3, v2 src0_sel:BYTE_0 src1_sel:DWORD
	s_and_saveexec_b32 s10, s7
	s_xor_b32 s7, exec_lo, s10
	s_cbranch_execz .LBB8_18
; %bb.3:
	v_mov_b32_e32 v2, 43
	s_mov_b32 s10, 0
	s_mov_b32 s11, 0
                                        ; implicit-def: $vgpr4_vgpr5
	v_cmp_gt_i16_sdwa s8, v3, v2 src0_sel:BYTE_0 src1_sel:DWORD
	s_and_saveexec_b32 s9, s8
	s_xor_b32 s8, exec_lo, s9
	s_cbranch_execz .LBB8_13
; %bb.4:
	v_mov_b32_e32 v2, 45
	s_mov_b32 s9, 0
                                        ; implicit-def: $vgpr4_vgpr5
	v_cmp_gt_i16_sdwa s11, v3, v2 src0_sel:BYTE_0 src1_sel:DWORD
	s_and_saveexec_b32 s12, s11
	s_xor_b32 s11, exec_lo, s12
	s_cbranch_execz .LBB8_8
; %bb.5:
	v_mov_b32_e32 v2, 46
	s_mov_b32 s12, -1
                                        ; implicit-def: $vgpr4_vgpr5
	v_cmp_eq_u16_sdwa s13, v3, v2 src0_sel:BYTE_0 src1_sel:DWORD
	s_and_saveexec_b32 s10, s13
	s_cbranch_execz .LBB8_7
; %bb.6:
	flat_load_dword v2, v[0:1]
	s_mov_b32 s9, exec_lo
	s_xor_b32 s12, exec_lo, -1
	s_waitcnt vmcnt(0) lgkmcnt(0)
	v_lshlrev_b32_e32 v2, 16, v2
	v_cvt_f64_f32_e32 v[4:5], v2
.LBB8_7:
	s_or_b32 exec_lo, exec_lo, s10
	s_and_b32 s10, s9, exec_lo
	s_and_b32 s9, s12, exec_lo
                                        ; implicit-def: $vgpr3
.LBB8_8:
	s_andn2_saveexec_b32 s11, s11
	s_cbranch_execz .LBB8_12
; %bb.9:
	v_mov_b32_e32 v2, 44
	s_mov_b32 s13, -1
	s_mov_b32 s14, s10
                                        ; implicit-def: $vgpr4_vgpr5
	v_cmp_eq_u16_sdwa s15, v3, v2 src0_sel:BYTE_0 src1_sel:DWORD
	s_and_saveexec_b32 s12, s15
	s_cbranch_execz .LBB8_11
; %bb.10:
	flat_load_ubyte v4, v[0:1]
	s_or_b32 s14, s10, exec_lo
	s_xor_b32 s13, exec_lo, -1
	s_waitcnt vmcnt(0) lgkmcnt(0)
	v_lshlrev_b32_e32 v2, 23, v4
	v_cmp_ne_u32_e32 vcc_lo, 0xff, v4
	v_cvt_f64_f32_e32 v[2:3], v2
	v_cndmask_b32_e32 v2, 0x20000000, v2, vcc_lo
	v_cndmask_b32_e32 v3, 0x7ff80000, v3, vcc_lo
	v_cmp_ne_u32_e32 vcc_lo, 0, v4
	v_cndmask_b32_e32 v5, 0x38000000, v3, vcc_lo
	v_cndmask_b32_e32 v4, 0, v2, vcc_lo
.LBB8_11:
	s_or_b32 exec_lo, exec_lo, s12
	s_andn2_b32 s10, s10, exec_lo
	s_and_b32 s12, s14, exec_lo
	s_andn2_b32 s9, s9, exec_lo
	s_and_b32 s13, s13, exec_lo
	s_or_b32 s10, s10, s12
	s_or_b32 s9, s9, s13
.LBB8_12:
	s_or_b32 exec_lo, exec_lo, s11
	s_and_b32 s11, s10, exec_lo
	s_and_b32 s10, s9, exec_lo
                                        ; implicit-def: $vgpr3
.LBB8_13:
	s_andn2_saveexec_b32 s8, s8
	s_cbranch_execz .LBB8_17
; %bb.14:
	v_mov_b32_e32 v2, 29
	s_mov_b32 s9, -1
	s_mov_b32 s12, s11
                                        ; implicit-def: $vgpr4_vgpr5
	v_cmp_eq_u16_sdwa s14, v3, v2 src0_sel:BYTE_0 src1_sel:DWORD
	s_and_saveexec_b32 s13, s14
	s_cbranch_execz .LBB8_16
; %bb.15:
	flat_load_dwordx2 v[2:3], v[0:1]
	s_or_b32 s12, s11, exec_lo
	s_xor_b32 s9, exec_lo, -1
	s_waitcnt vmcnt(0) lgkmcnt(0)
	v_cvt_f64_u32_e32 v[3:4], v3
	v_cvt_f64_u32_e32 v[5:6], v2
	v_ldexp_f64 v[3:4], v[3:4], 32
	v_add_f64 v[4:5], v[3:4], v[5:6]
.LBB8_16:
	s_or_b32 exec_lo, exec_lo, s13
	s_andn2_b32 s11, s11, exec_lo
	s_and_b32 s12, s12, exec_lo
	s_andn2_b32 s10, s10, exec_lo
	s_and_b32 s9, s9, exec_lo
	s_or_b32 s11, s11, s12
	s_or_b32 s10, s10, s9
.LBB8_17:
	s_or_b32 exec_lo, exec_lo, s8
	s_and_b32 s9, s11, exec_lo
	s_and_b32 s8, s10, exec_lo
                                        ; implicit-def: $vgpr3
.LBB8_18:
	s_andn2_saveexec_b32 s7, s7
	s_cbranch_execz .LBB8_36
; %bb.19:
	v_mov_b32_e32 v2, 26
                                        ; implicit-def: $vgpr4_vgpr5
	v_cmp_gt_i16_sdwa s10, v3, v2 src0_sel:BYTE_0 src1_sel:DWORD
	s_and_saveexec_b32 s11, s10
	s_xor_b32 s10, exec_lo, s11
	s_cbranch_execz .LBB8_25
; %bb.20:
	v_mov_b32_e32 v2, 27
                                        ; implicit-def: $vgpr4_vgpr5
	v_cmp_gt_i16_sdwa s11, v3, v2 src0_sel:BYTE_0 src1_sel:DWORD
	s_and_saveexec_b32 s12, s11
	s_xor_b32 s11, exec_lo, s12
	s_cbranch_execz .LBB8_22
; %bb.21:
	flat_load_dword v2, v[0:1]
	s_waitcnt vmcnt(0) lgkmcnt(0)
	v_cvt_f64_u32_e32 v[4:5], v2
.LBB8_22:
	s_andn2_saveexec_b32 s11, s11
	s_cbranch_execz .LBB8_24
; %bb.23:
	flat_load_ushort v2, v[0:1]
	s_waitcnt vmcnt(0) lgkmcnt(0)
	v_cvt_f64_u32_e32 v[4:5], v2
.LBB8_24:
	s_or_b32 exec_lo, exec_lo, s11
.LBB8_25:
	s_andn2_saveexec_b32 s10, s10
	s_cbranch_execz .LBB8_35
; %bb.26:
	flat_load_ubyte v2, v[0:1]
	s_mov_b32 s11, 0
	s_mov_b32 s12, exec_lo
	s_waitcnt vmcnt(0) lgkmcnt(0)
	v_cmpx_lt_i16_e32 0x7f, v2
	s_xor_b32 s12, exec_lo, s12
	s_cbranch_execz .LBB8_30
; %bb.27:
	s_mov_b32 s11, -1
	s_mov_b32 s13, exec_lo
	v_cmpx_eq_u16_e32 0x80, v2
; %bb.28:
	s_xor_b32 s11, exec_lo, -1
; %bb.29:
	s_or_b32 exec_lo, exec_lo, s13
	s_and_b32 s11, s11, exec_lo
.LBB8_30:
	s_or_saveexec_b32 s12, s12
	v_bfrev_b32_e32 v4, 4
	v_mov_b32_e32 v5, 0x7ff80000
	s_xor_b32 exec_lo, exec_lo, s12
; %bb.31:
	v_cmp_ne_u16_e32 vcc_lo, 0, v2
	v_mov_b32_e32 v4, 0
	v_mov_b32_e32 v5, 0
	s_andn2_b32 s11, s11, exec_lo
	s_and_b32 s13, vcc_lo, exec_lo
	s_or_b32 s11, s11, s13
; %bb.32:
	s_or_b32 exec_lo, exec_lo, s12
	s_and_saveexec_b32 s12, s11
	s_cbranch_execz .LBB8_34
; %bb.33:
	v_and_b32_e32 v3, 0xffff, v2
	v_lshlrev_b32_e32 v2, 24, v2
	v_and_b32_e32 v4, 7, v3
	v_bfe_u32 v7, v3, 3, 4
	v_and_b32_e32 v2, 0x80000000, v2
	v_ffbh_u32_e32 v5, v4
	v_cmp_eq_u32_e32 vcc_lo, 0, v7
	v_min_u32_e32 v5, 32, v5
	v_subrev_nc_u32_e32 v6, 28, v5
	v_sub_nc_u32_e32 v5, 29, v5
	v_lshlrev_b32_e32 v3, v6, v3
	v_cndmask_b32_e32 v5, v7, v5, vcc_lo
	v_and_b32_e32 v3, 7, v3
	v_cndmask_b32_e32 v3, v4, v3, vcc_lo
	v_lshl_add_u32 v4, v5, 23, 0x3b800000
	v_lshlrev_b32_e32 v3, 20, v3
	v_or3_b32 v2, v2, v4, v3
	v_cvt_f64_f32_e32 v[4:5], v2
.LBB8_34:
	s_or_b32 exec_lo, exec_lo, s12
.LBB8_35:
	s_or_b32 exec_lo, exec_lo, s10
	s_or_b32 s9, s9, exec_lo
.LBB8_36:
	s_or_b32 exec_lo, exec_lo, s7
	s_and_b32 s7, s9, exec_lo
	s_and_b32 s8, s8, exec_lo
                                        ; implicit-def: $vgpr3
	s_andn2_saveexec_b32 s6, s6
	s_cbranch_execnz .LBB8_99
.LBB8_37:
	s_or_b32 exec_lo, exec_lo, s6
	s_and_saveexec_b32 s6, s8
	s_cbranch_execnz .LBB8_126
.LBB8_38:
	s_or_b32 exec_lo, exec_lo, s6
	s_and_saveexec_b32 s6, s5
	s_xor_b32 s5, exec_lo, s6
	s_cbranch_execz .LBB8_40
.LBB8_39:
	flat_load_ubyte v0, v[0:1]
	v_mov_b32_e32 v4, 0
	s_or_b32 s7, s7, exec_lo
	s_waitcnt vmcnt(0) lgkmcnt(0)
	v_cmp_ne_u16_e32 vcc_lo, 0, v0
	v_cndmask_b32_e64 v5, 0, 0x3ff00000, vcc_lo
.LBB8_40:
	s_or_b32 exec_lo, exec_lo, s5
	s_and_b32 s5, s7, exec_lo
                                        ; implicit-def: $vgpr3
                                        ; implicit-def: $vgpr0_vgpr1
	s_andn2_saveexec_b32 s4, s4
	s_cbranch_execnz .LBB8_56
.LBB8_41:
	s_or_b32 exec_lo, exec_lo, s4
                                        ; implicit-def: $vgpr0_vgpr1
	s_and_saveexec_b32 s16, s5
	s_cbranch_execz .LBB8_97
.LBB8_42:
	v_mov_b32_e32 v0, 0
	v_mov_b32_e32 v1, 0x7ff80000
	s_mov_b32 s17, exec_lo
	s_waitcnt vmcnt(0) lgkmcnt(0)
	v_cmpx_neq_f64_e64 0x7ff00000, |v[4:5]|
	s_cbranch_execz .LBB8_136
; %bb.43:
	v_mov_b32_e32 v0, 0
	v_mov_b32_e32 v1, 0
	s_mov_b32 s4, 0x872b020c
	s_mov_b32 s5, 0x4059f916
	s_mov_b32 s18, exec_lo
	v_cmpx_nlt_f64_e32 s[4:5], v[4:5]
	s_cbranch_execz .LBB8_135
; %bb.44:
	s_mov_b32 s5, 0xc000b851
	s_mov_b32 s4, 0xeb851eb8
                                        ; implicit-def: $vgpr0_vgpr1
	v_cmp_ngt_f64_e32 vcc_lo, s[4:5], v[4:5]
	s_and_saveexec_b32 s5, vcc_lo
	s_xor_b32 s6, exec_lo, s5
	s_cbranch_execz .LBB8_52
; %bb.45:
	s_mov_b32 s5, 0x4000b851
	v_mov_b32_e32 v0, 0
	v_cmp_nle_f64_e64 s7, s[4:5], v[4:5]
	v_cmp_le_f64_e32 vcc_lo, s[4:5], v[4:5]
	v_mov_b32_e32 v1, 0
	s_mov_b32 s4, s7
	s_and_saveexec_b32 s8, vcc_lo
	s_cbranch_execz .LBB8_47
; %bb.46:
	v_cmp_gt_f64_e32 vcc_lo, 0x10000000, v[4:5]
	s_mov_b32 s4, 0x2537b658
	s_mov_b32 s10, 0x2624d31
	;; [unrolled: 1-line block ×4, first 2 shown]
	v_cndmask_b32_e64 v0, 0, 0x100, vcc_lo
	v_ldexp_f64 v[0:1], v[4:5], v0
	v_rsq_f64_e32 v[2:3], v[0:1]
	v_mul_f64 v[6:7], v[0:1], v[2:3]
	v_mul_f64 v[2:3], v[2:3], 0.5
	v_fma_f64 v[8:9], -v[2:3], v[6:7], 0.5
	v_fma_f64 v[6:7], v[6:7], v[8:9], v[6:7]
	v_fma_f64 v[2:3], v[2:3], v[8:9], v[2:3]
	v_fma_f64 v[8:9], -v[6:7], v[6:7], v[0:1]
	v_fma_f64 v[6:7], v[8:9], v[2:3], v[6:7]
	v_fma_f64 v[8:9], -v[6:7], v[6:7], v[0:1]
	v_fma_f64 v[2:3], v[8:9], v[2:3], v[6:7]
	v_cndmask_b32_e64 v6, 0, 0xffffff80, vcc_lo
	v_cmp_class_f64_e64 vcc_lo, v[0:1], 0x260
	v_ldexp_f64 v[2:3], v[2:3], v6
	v_add_f64 v[6:7], v[4:5], v[4:5]
	v_cndmask_b32_e32 v1, v3, v1, vcc_lo
	v_cndmask_b32_e32 v0, v2, v0, vcc_lo
	v_mul_f64 v[2:3], v[6:7], v[0:1]
	v_div_scale_f64 v[6:7], null, 0x40080000, 0x40080000, v[2:3]
	v_div_scale_f64 v[12:13], vcc_lo, v[2:3], 0x40080000, v[2:3]
	v_rcp_f64_e32 v[8:9], v[6:7]
	v_fma_f64 v[10:11], -v[6:7], v[8:9], 1.0
	v_fma_f64 v[8:9], v[8:9], v[10:11], v[8:9]
	v_fma_f64 v[10:11], -v[6:7], v[8:9], 1.0
	v_fma_f64 v[8:9], v[8:9], v[10:11], v[8:9]
	v_mul_f64 v[10:11], v[12:13], v[8:9]
	v_fma_f64 v[6:7], -v[6:7], v[10:11], v[12:13]
	v_div_fmas_f64 v[6:7], v[6:7], v[8:9], v[10:11]
	v_div_fixup_f64 v[2:3], v[6:7], 0x40080000, v[2:3]
	v_div_scale_f64 v[6:7], null, v[2:3], v[2:3], 1.0
	v_div_scale_f64 v[12:13], vcc_lo, 1.0, v[2:3], 1.0
	v_rcp_f64_e32 v[8:9], v[6:7]
	v_fma_f64 v[10:11], -v[6:7], v[8:9], 1.0
	v_fma_f64 v[8:9], v[8:9], v[10:11], v[8:9]
	v_fma_f64 v[10:11], -v[6:7], v[8:9], 1.0
	v_fma_f64 v[8:9], v[8:9], v[10:11], v[8:9]
	v_mul_f64 v[10:11], v[12:13], v[8:9]
	v_fma_f64 v[6:7], -v[6:7], v[10:11], v[12:13]
	v_div_fmas_f64 v[6:7], v[6:7], v[8:9], v[10:11]
	v_cmp_gt_f64_e32 vcc_lo, 0x10000000, v[0:1]
	v_div_fixup_f64 v[6:7], v[6:7], v[2:3], 1.0
	v_cndmask_b32_e64 v18, 0, 0x100, vcc_lo
	v_ldexp_f64 v[0:1], v[0:1], v18
	v_fma_f64 v[8:9], v[6:7], 0, s[10:11]
	v_fma_f64 v[10:11], v[6:7], 0, s[4:5]
	s_mov_b32 s4, 0x652b82fe
	s_mov_b32 s5, 0x3ff71547
	;; [unrolled: 1-line block ×3, first 2 shown]
	v_mul_f64 v[12:13], v[2:3], s[4:5]
	s_mov_b32 s4, 0x871a9067
	s_mov_b32 s5, 0x402803e3
	;; [unrolled: 1-line block ×3, first 2 shown]
	v_fma_f64 v[8:9], v[6:7], v[8:9], s[10:11]
	v_fma_f64 v[10:11], v[6:7], v[10:11], s[4:5]
	s_mov_b32 s4, 0xde2e1e3
	s_mov_b32 s10, 0xb04d51a0
	;; [unrolled: 1-line block ×3, first 2 shown]
	v_rndne_f64_e32 v[12:13], v[12:13]
	s_mov_b32 s11, 0x405520e3
	v_fma_f64 v[8:9], v[6:7], v[8:9], s[10:11]
	v_fma_f64 v[10:11], v[6:7], v[10:11], s[4:5]
	s_mov_b32 s4, 0xfefa39ef
	s_mov_b32 s5, 0xbfe62e42
	;; [unrolled: 1-line block ×3, first 2 shown]
	v_fma_f64 v[14:15], v[12:13], s[4:5], v[2:3]
	s_mov_b32 s4, 0xee40073c
	s_mov_b32 s5, 0x406502da
	;; [unrolled: 1-line block ×3, first 2 shown]
	v_fma_f64 v[8:9], v[6:7], v[8:9], s[10:11]
	v_fma_f64 v[10:11], v[6:7], v[10:11], s[4:5]
	s_mov_b32 s4, 0x3b39803f
	s_mov_b32 s5, 0xbc7abc9e
	;; [unrolled: 1-line block ×3, first 2 shown]
	v_fma_f64 v[14:15], v[12:13], s[4:5], v[14:15]
	s_mov_b32 s4, 0x5ba1fddf
	s_mov_b32 s5, 0x4063f834
	;; [unrolled: 1-line block ×3, first 2 shown]
	v_fma_f64 v[8:9], v[6:7], v[8:9], s[10:11]
	v_fma_f64 v[10:11], v[6:7], v[10:11], s[4:5]
	s_mov_b32 s4, 0xfca7ab0c
	s_mov_b32 s10, 0x6a5dcb37
	;; [unrolled: 1-line block ×4, first 2 shown]
	v_fma_f64 v[16:17], v[14:15], s[10:11], s[4:5]
	s_mov_b32 s4, 0x4f4cea4f
	s_mov_b32 s10, 0xee91d35f
	;; [unrolled: 1-line block ×4, first 2 shown]
	v_fma_f64 v[8:9], v[6:7], v[8:9], s[10:11]
	v_fma_f64 v[10:11], v[6:7], v[10:11], s[4:5]
	s_mov_b32 s4, 0x623fde64
	s_mov_b32 s5, 0x3ec71dee
	;; [unrolled: 1-line block ×4, first 2 shown]
	v_fma_f64 v[16:17], v[14:15], v[16:17], s[4:5]
	s_mov_b32 s4, 0x5c2a0f4d
	s_mov_b32 s5, 0x402c0d8d
	v_fma_f64 v[8:9], v[6:7], v[8:9], s[10:11]
	v_fma_f64 v[10:11], v[6:7], v[10:11], s[4:5]
	s_mov_b32 s4, 0x7c89e6b0
	s_mov_b32 s5, 0x3efa0199
	v_fma_f64 v[16:17], v[14:15], v[16:17], s[4:5]
	s_mov_b32 s4, 0x14761f6e
	s_mov_b32 s5, 0x3f2a01a0
	v_fma_f64 v[8:9], v[6:7], v[8:9], 1.0
	v_fma_f64 v[6:7], v[6:7], v[10:11], 1.0
	v_rsq_f64_e32 v[10:11], v[0:1]
	v_fma_f64 v[16:17], v[14:15], v[16:17], s[4:5]
	s_mov_b32 s4, 0x1852b7b0
	s_mov_b32 s5, 0x3f56c16c
	v_div_scale_f64 v[18:19], null, v[8:9], v[8:9], v[6:7]
	v_mul_f64 v[20:21], v[0:1], v[10:11]
	v_mul_f64 v[10:11], v[10:11], 0.5
	v_fma_f64 v[16:17], v[14:15], v[16:17], s[4:5]
	s_mov_b32 s4, 0x11122322
	s_mov_b32 s5, 0x3f811111
	v_rcp_f64_e32 v[22:23], v[18:19]
	v_fma_f64 v[24:25], -v[10:11], v[20:21], 0.5
	v_fma_f64 v[16:17], v[14:15], v[16:17], s[4:5]
	s_mov_b32 s4, 0x555502a1
	s_mov_b32 s5, 0x3fa55555
	v_fma_f64 v[26:27], -v[18:19], v[22:23], 1.0
	v_fma_f64 v[20:21], v[20:21], v[24:25], v[20:21]
	v_fma_f64 v[10:11], v[10:11], v[24:25], v[10:11]
	;; [unrolled: 1-line block ×3, first 2 shown]
	s_mov_b32 s4, 0x55555511
	s_mov_b32 s5, 0x3fc55555
	v_fma_f64 v[22:23], v[22:23], v[26:27], v[22:23]
	v_fma_f64 v[24:25], -v[20:21], v[20:21], v[0:1]
	v_fma_f64 v[16:17], v[14:15], v[16:17], s[4:5]
	s_mov_b32 s4, 11
	s_mov_b32 s5, 0x3fe00000
	v_fma_f64 v[26:27], -v[18:19], v[22:23], 1.0
	v_fma_f64 v[20:21], v[24:25], v[10:11], v[20:21]
	v_fma_f64 v[16:17], v[14:15], v[16:17], s[4:5]
	v_div_scale_f64 v[24:25], s4, v[6:7], v[8:9], v[6:7]
	v_cmp_class_f64_e64 s5, v[0:1], 0x260
	v_fma_f64 v[22:23], v[22:23], v[26:27], v[22:23]
	v_fma_f64 v[26:27], -v[20:21], v[20:21], v[0:1]
	v_fma_f64 v[16:17], v[14:15], v[16:17], 1.0
	v_mul_f64 v[28:29], v[24:25], v[22:23]
	v_fma_f64 v[10:11], v[26:27], v[10:11], v[20:21]
	v_cvt_i32_f64_e32 v20, v[12:13]
	v_fma_f64 v[12:13], v[14:15], v[16:17], 1.0
	v_cndmask_b32_e64 v16, 0, 0xffffff80, vcc_lo
	s_mov_b32 vcc_lo, s4
	v_cmp_ngt_f64_e64 s4, 0xc090cc00, v[2:3]
	v_fma_f64 v[14:15], -v[18:19], v[28:29], v[24:25]
	v_ldexp_f64 v[10:11], v[10:11], v16
	v_ldexp_f64 v[12:13], v[12:13], v20
	v_div_fmas_f64 v[14:15], v[14:15], v[22:23], v[28:29]
	v_cmp_nlt_f64_e32 vcc_lo, 0x40900000, v[2:3]
	v_cndmask_b32_e64 v1, v11, v1, s5
	v_cndmask_b32_e64 v0, v10, v0, s5
	v_add_f64 v[0:1], v[0:1], v[0:1]
	v_div_fixup_f64 v[2:3], v[14:15], v[8:9], v[6:7]
	v_cndmask_b32_e32 v11, 0x7ff00000, v13, vcc_lo
	s_and_b32 vcc_lo, s4, vcc_lo
	v_cndmask_b32_e32 v6, 0, v12, vcc_lo
	v_cndmask_b32_e64 v7, 0, v11, s4
	s_mov_b32 s4, 0x50429b6d
	s_mov_b32 s5, 0x3fe20dd7
	v_mul_f64 v[0:1], v[0:1], v[6:7]
	v_mul_f64 v[2:3], v[2:3], s[4:5]
	s_mov_b32 s4, 0xfd0a823a
	s_mov_b32 s5, 0x4020a402
	v_div_scale_f64 v[6:7], null, v[0:1], v[0:1], v[2:3]
	v_rcp_f64_e32 v[8:9], v[6:7]
	v_fma_f64 v[10:11], -v[6:7], v[8:9], 1.0
	v_fma_f64 v[8:9], v[8:9], v[10:11], v[8:9]
	v_fma_f64 v[10:11], -v[6:7], v[8:9], 1.0
	v_fma_f64 v[8:9], v[8:9], v[10:11], v[8:9]
	v_div_scale_f64 v[10:11], vcc_lo, v[2:3], v[0:1], v[2:3]
	v_mul_f64 v[12:13], v[10:11], v[8:9]
	v_fma_f64 v[6:7], -v[6:7], v[12:13], v[10:11]
	v_div_fmas_f64 v[6:7], v[6:7], v[8:9], v[12:13]
	v_cmp_nlt_f64_e32 vcc_lo, s[4:5], v[4:5]
	s_andn2_b32 s4, s7, exec_lo
	v_div_fixup_f64 v[0:1], v[6:7], v[0:1], v[2:3]
	s_and_b32 s5, vcc_lo, exec_lo
	s_or_b32 s4, s4, s5
.LBB8_47:
	s_or_b32 exec_lo, exec_lo, s8
	s_and_saveexec_b32 s5, s4
	s_cbranch_execz .LBB8_51
; %bb.48:
	v_mul_f64 v[2:3], v[4:5], v[4:5]
	v_mov_b32_e32 v10, 0
	v_mov_b32_e32 v12, 0
	;; [unrolled: 1-line block ×6, first 2 shown]
	s_mov_b32 s8, 0
	v_mul_f64 v[6:7], v[4:5], v[2:3]
	v_mov_b32_e32 v2, 0
	v_mov_b32_e32 v3, 0x3ff00000
.LBB8_49:                               ; =>This Inner Loop Header: Depth=1
	v_mul_f64 v[10:11], v[6:7], v[10:11]
	v_add_f64 v[12:13], v[12:13], 1.0
	v_mul_f64 v[4:5], v[6:7], v[4:5]
	v_div_scale_f64 v[14:15], null, v[12:13], v[12:13], v[10:11]
	v_div_scale_f64 v[20:21], vcc_lo, v[10:11], v[12:13], v[10:11]
	v_rcp_f64_e32 v[16:17], v[14:15]
	v_fma_f64 v[18:19], -v[14:15], v[16:17], 1.0
	v_fma_f64 v[16:17], v[16:17], v[18:19], v[16:17]
	v_fma_f64 v[18:19], -v[14:15], v[16:17], 1.0
	v_fma_f64 v[16:17], v[16:17], v[18:19], v[16:17]
	v_mul_f64 v[18:19], v[20:21], v[16:17]
	v_fma_f64 v[14:15], -v[14:15], v[18:19], v[20:21]
	v_div_fmas_f64 v[14:15], v[14:15], v[16:17], v[18:19]
	v_add_f64 v[16:17], v[12:13], 1.0
	v_div_fixup_f64 v[10:11], v[14:15], v[12:13], v[10:11]
	v_div_scale_f64 v[12:13], null, v[16:17], v[16:17], v[4:5]
	v_div_scale_f64 v[26:27], vcc_lo, v[4:5], v[16:17], v[4:5]
	v_div_scale_f64 v[14:15], null, v[16:17], v[16:17], v[10:11]
	v_rcp_f64_e32 v[18:19], v[12:13]
	v_rcp_f64_e32 v[20:21], v[14:15]
	v_fma_f64 v[22:23], -v[12:13], v[18:19], 1.0
	v_fma_f64 v[24:25], -v[14:15], v[20:21], 1.0
	v_fma_f64 v[18:19], v[18:19], v[22:23], v[18:19]
	v_fma_f64 v[20:21], v[20:21], v[24:25], v[20:21]
	v_fma_f64 v[22:23], -v[12:13], v[18:19], 1.0
	v_fma_f64 v[24:25], -v[14:15], v[20:21], 1.0
	v_fma_f64 v[18:19], v[18:19], v[22:23], v[18:19]
	v_div_scale_f64 v[22:23], s4, v[10:11], v[16:17], v[10:11]
	v_fma_f64 v[20:21], v[20:21], v[24:25], v[20:21]
	v_mul_f64 v[24:25], v[26:27], v[18:19]
	v_mul_f64 v[28:29], v[22:23], v[20:21]
	v_fma_f64 v[12:13], -v[12:13], v[24:25], v[26:27]
	v_fma_f64 v[14:15], -v[14:15], v[28:29], v[22:23]
	v_div_fmas_f64 v[18:19], v[12:13], v[18:19], v[24:25]
	s_mov_b32 vcc_lo, s4
	v_div_fmas_f64 v[12:13], v[14:15], v[20:21], v[28:29]
	v_div_fixup_f64 v[4:5], v[18:19], v[16:17], v[4:5]
	v_div_fixup_f64 v[10:11], v[12:13], v[16:17], v[10:11]
	v_add_f64 v[12:13], v[16:17], 1.0
	v_add_f64 v[2:3], v[2:3], v[10:11]
	v_div_scale_f64 v[14:15], null, v[12:13], v[12:13], v[4:5]
	v_div_scale_f64 v[26:27], vcc_lo, v[4:5], v[12:13], v[4:5]
	v_div_scale_f64 v[16:17], null, v[2:3], v[2:3], v[10:11]
	v_rcp_f64_e32 v[18:19], v[14:15]
	v_rcp_f64_e32 v[20:21], v[16:17]
	v_fma_f64 v[22:23], -v[14:15], v[18:19], 1.0
	v_fma_f64 v[24:25], -v[16:17], v[20:21], 1.0
	v_fma_f64 v[18:19], v[18:19], v[22:23], v[18:19]
	v_fma_f64 v[20:21], v[20:21], v[24:25], v[20:21]
	v_fma_f64 v[22:23], -v[14:15], v[18:19], 1.0
	v_fma_f64 v[24:25], -v[16:17], v[20:21], 1.0
	v_fma_f64 v[18:19], v[18:19], v[22:23], v[18:19]
	v_div_scale_f64 v[22:23], s4, v[10:11], v[2:3], v[10:11]
	v_fma_f64 v[20:21], v[20:21], v[24:25], v[20:21]
	v_mul_f64 v[24:25], v[26:27], v[18:19]
	v_mul_f64 v[28:29], v[22:23], v[20:21]
	v_fma_f64 v[14:15], -v[14:15], v[24:25], v[26:27]
	v_fma_f64 v[16:17], -v[16:17], v[28:29], v[22:23]
	v_div_fmas_f64 v[14:15], v[14:15], v[18:19], v[24:25]
	s_mov_b32 vcc_lo, s4
	v_div_fmas_f64 v[16:17], v[16:17], v[20:21], v[28:29]
	v_div_fixup_f64 v[4:5], v[14:15], v[12:13], v[4:5]
	v_div_fixup_f64 v[16:17], v[16:17], v[2:3], v[10:11]
	v_add_f64 v[8:9], v[8:9], v[4:5]
	v_cmp_nlt_f64_e64 s4, 0x3cb00000, |v[16:17]|
	s_or_b32 s8, s4, s8
	s_andn2_b32 exec_lo, exec_lo, s8
	s_cbranch_execnz .LBB8_49
; %bb.50:
	s_or_b32 exec_lo, exec_lo, s8
	s_mov_b32 s8, 0x42b70f8b
	s_mov_b32 s9, 0xbfd0907f
	v_mul_f64 v[4:5], v[8:9], s[8:9]
	s_mov_b32 s8, 0x962715b8
	s_mov_b32 s9, 0x3fd6b8c7
	v_fma_f64 v[2:3], v[2:3], s[8:9], v[4:5]
	v_cndmask_b32_e64 v1, v1, v3, s7
	v_cndmask_b32_e64 v0, v0, v2, s7
.LBB8_51:
	s_or_b32 exec_lo, exec_lo, s5
                                        ; implicit-def: $vgpr4_vgpr5
.LBB8_52:
	s_andn2_saveexec_b32 s19, s6
	s_cbranch_execz .LBB8_134
; %bb.53:
	v_cmp_lt_f64_e32 vcc_lo, 0x90000000, v[4:5]
	s_mov_b32 s5, 0x3fe921fb
	s_mov_b32 s4, 0x54442d18
                                        ; implicit-def: $vgpr22
	v_cndmask_b32_e64 v0, 0, 0x100, vcc_lo
	v_ldexp_f64 v[0:1], -v[4:5], v0
	v_mul_f64 v[4:5], v[4:5], -2.0
	v_rsq_f64_e32 v[2:3], v[0:1]
	v_mul_f64 v[6:7], v[0:1], v[2:3]
	v_mul_f64 v[2:3], v[2:3], 0.5
	v_fma_f64 v[8:9], -v[2:3], v[6:7], 0.5
	v_fma_f64 v[6:7], v[6:7], v[8:9], v[6:7]
	v_fma_f64 v[2:3], v[2:3], v[8:9], v[2:3]
	v_fma_f64 v[8:9], -v[6:7], v[6:7], v[0:1]
	v_fma_f64 v[6:7], v[8:9], v[2:3], v[6:7]
	v_fma_f64 v[8:9], -v[6:7], v[6:7], v[0:1]
	v_fma_f64 v[2:3], v[8:9], v[2:3], v[6:7]
	v_cndmask_b32_e64 v6, 0, 0xffffff80, vcc_lo
	v_cmp_class_f64_e64 vcc_lo, v[0:1], 0x260
	v_ldexp_f64 v[2:3], v[2:3], v6
	v_cndmask_b32_e32 v7, v3, v1, vcc_lo
	v_cndmask_b32_e32 v6, v2, v0, vcc_lo
	v_mul_f64 v[0:1], v[4:5], v[6:7]
	v_div_scale_f64 v[2:3], null, 0x40080000, 0x40080000, v[0:1]
	v_div_scale_f64 v[10:11], vcc_lo, v[0:1], 0x40080000, v[0:1]
	v_rcp_f64_e32 v[4:5], v[2:3]
	v_fma_f64 v[8:9], -v[2:3], v[4:5], 1.0
	v_fma_f64 v[4:5], v[4:5], v[8:9], v[4:5]
	v_fma_f64 v[8:9], -v[2:3], v[4:5], 1.0
	v_fma_f64 v[4:5], v[4:5], v[8:9], v[4:5]
	v_mul_f64 v[8:9], v[10:11], v[4:5]
	v_fma_f64 v[2:3], -v[2:3], v[8:9], v[10:11]
	v_div_fmas_f64 v[2:3], v[2:3], v[4:5], v[8:9]
                                        ; implicit-def: $vgpr4_vgpr5
	v_div_fixup_f64 v[12:13], v[2:3], 0x40080000, v[0:1]
                                        ; implicit-def: $vgpr2_vgpr3
	v_add_f64 v[0:1], v[12:13], s[4:5]
	v_cmp_ngt_f64_e64 s6, 0x41d00000, |v[0:1]|
	v_trig_preop_f64 v[18:19], |v[0:1]|, 0
	v_trig_preop_f64 v[16:17], |v[0:1]|, 1
	v_ldexp_f64 v[20:21], |v[0:1]|, 0xffffff80
	v_trig_preop_f64 v[14:15], |v[0:1]|, 2
	v_and_b32_e32 v24, 0x7fffffff, v1
	s_and_saveexec_b32 s5, s6
	s_xor_b32 s7, exec_lo, s5
	s_cbranch_execz .LBB8_127
; %bb.54:
	v_cmp_le_f64_e64 vcc_lo, 0x7b000000, |v[0:1]|
	v_mov_b32_e32 v35, 0
	s_mov_b32 s5, 0x3ff921fb
	s_mov_b32 s8, 0x33145c07
	;; [unrolled: 1-line block ×3, first 2 shown]
	v_cndmask_b32_e32 v3, v24, v21, vcc_lo
	v_cndmask_b32_e32 v2, v0, v20, vcc_lo
	v_mul_f64 v[4:5], v[18:19], v[2:3]
	v_mul_f64 v[8:9], v[16:17], v[2:3]
	;; [unrolled: 1-line block ×3, first 2 shown]
	v_fma_f64 v[10:11], v[18:19], v[2:3], -v[4:5]
	v_fma_f64 v[33:34], v[16:17], v[2:3], -v[8:9]
	;; [unrolled: 1-line block ×3, first 2 shown]
	v_add_f64 v[22:23], v[8:9], v[10:11]
	v_add_f64 v[25:26], v[22:23], -v[8:9]
	v_add_f64 v[29:30], v[4:5], v[22:23]
	v_add_f64 v[27:28], v[22:23], -v[25:26]
	v_add_f64 v[10:11], v[10:11], -v[25:26]
	v_ldexp_f64 v[25:26], v[29:30], -2
	v_add_f64 v[4:5], v[29:30], -v[4:5]
	v_add_f64 v[8:9], v[8:9], -v[27:28]
	v_add_f64 v[27:28], v[31:32], v[33:34]
	v_cmp_neq_f64_e64 vcc_lo, 0x7ff00000, |v[25:26]|
	v_add_f64 v[4:5], v[22:23], -v[4:5]
	v_add_f64 v[8:9], v[10:11], v[8:9]
	v_fract_f64_e32 v[10:11], v[25:26]
	v_add_f64 v[22:23], v[27:28], v[8:9]
	v_ldexp_f64 v[10:11], v[10:11], 2
	v_add_f64 v[25:26], v[4:5], v[22:23]
	v_cndmask_b32_e32 v11, 0, v11, vcc_lo
	v_cndmask_b32_e32 v10, 0, v10, vcc_lo
	v_add_f64 v[29:30], v[25:26], v[10:11]
	v_add_f64 v[4:5], v[25:26], -v[4:5]
	v_cmp_gt_f64_e32 vcc_lo, 0, v[29:30]
	v_add_f64 v[29:30], v[27:28], -v[31:32]
	v_add_f64 v[4:5], v[22:23], -v[4:5]
	v_cndmask_b32_e64 v36, 0, 0x40100000, vcc_lo
	v_add_f64 v[48:49], v[27:28], -v[29:30]
	v_add_f64 v[29:30], v[33:34], -v[29:30]
	v_add_f64 v[10:11], v[10:11], v[35:36]
	v_add_f64 v[36:37], v[22:23], -v[27:28]
	v_add_f64 v[33:34], v[31:32], -v[48:49]
	v_add_f64 v[38:39], v[25:26], v[10:11]
	;; [unrolled: 3-line block ×3, first 2 shown]
	v_cvt_i32_f64_e32 v38, v[38:39]
	v_add_f64 v[27:28], v[27:28], -v[50:51]
	v_cvt_f64_i32_e32 v[36:37], v38
	v_add_f64 v[8:9], v[8:9], v[27:28]
	v_add_f64 v[10:11], v[10:11], -v[36:37]
	v_add_f64 v[8:9], v[29:30], v[8:9]
	v_add_f64 v[27:28], v[25:26], v[10:11]
	;; [unrolled: 1-line block ×3, first 2 shown]
	v_add_f64 v[8:9], v[27:28], -v[10:11]
	v_cmp_le_f64_e32 vcc_lo, 0.5, v[27:28]
	v_add_f64 v[2:3], v[4:5], v[2:3]
	v_add_f64 v[4:5], v[25:26], -v[8:9]
	v_cndmask_b32_e64 v36, 0, 0x3ff00000, vcc_lo
	v_add_co_ci_u32_e64 v22, null, 0, v38, vcc_lo
	v_add_f64 v[2:3], v[2:3], v[4:5]
	v_add_f64 v[4:5], v[27:28], -v[35:36]
	v_add_f64 v[8:9], v[4:5], v[2:3]
	v_mul_f64 v[10:11], v[8:9], s[4:5]
	v_add_f64 v[4:5], v[8:9], -v[4:5]
	v_fma_f64 v[25:26], v[8:9], s[4:5], -v[10:11]
	v_add_f64 v[2:3], v[2:3], -v[4:5]
	v_fma_f64 v[4:5], v[8:9], s[8:9], v[25:26]
	v_fma_f64 v[4:5], v[2:3], s[4:5], v[4:5]
	v_add_f64 v[2:3], v[10:11], v[4:5]
	v_add_f64 v[8:9], v[2:3], -v[10:11]
	v_add_f64 v[4:5], v[4:5], -v[8:9]
	s_andn2_saveexec_b32 s4, s7
	s_cbranch_execz .LBB8_129
	s_branch .LBB8_128
.LBB8_55:
	s_andn2_saveexec_b32 s4, s4
	s_cbranch_execz .LBB8_41
.LBB8_56:
	v_mov_b32_e32 v2, 4
                                        ; implicit-def: $vgpr4_vgpr5
	v_cmp_gt_i16_sdwa s6, v3, v2 src0_sel:BYTE_0 src1_sel:DWORD
	s_and_saveexec_b32 s7, s6
	s_xor_b32 s6, exec_lo, s7
	s_cbranch_execz .LBB8_78
; %bb.57:
	v_mov_b32_e32 v2, 7
                                        ; implicit-def: $vgpr4_vgpr5
	v_cmp_gt_i16_sdwa s7, v3, v2 src0_sel:BYTE_0 src1_sel:DWORD
	s_and_saveexec_b32 s8, s7
	s_xor_b32 s7, exec_lo, s8
	s_cbranch_execz .LBB8_67
; %bb.58:
	;; [unrolled: 7-line block ×4, first 2 shown]
	flat_load_dwordx2 v[4:5], v[0:1]
                                        ; implicit-def: $vgpr0_vgpr1
.LBB8_61:
	s_andn2_saveexec_b32 s9, s9
	s_cbranch_execz .LBB8_63
; %bb.62:
	flat_load_dword v0, v[0:1]
	s_waitcnt vmcnt(0) lgkmcnt(0)
	v_cvt_f64_f32_e32 v[4:5], v0
.LBB8_63:
	s_or_b32 exec_lo, exec_lo, s9
                                        ; implicit-def: $vgpr0_vgpr1
.LBB8_64:
	s_andn2_saveexec_b32 s8, s8
	s_cbranch_execz .LBB8_66
; %bb.65:
	flat_load_dword v0, v[0:1]
	s_waitcnt vmcnt(0) lgkmcnt(0)
	v_cvt_f32_f16_e32 v0, v0
	v_cvt_f64_f32_e32 v[4:5], v0
.LBB8_66:
	s_or_b32 exec_lo, exec_lo, s8
                                        ; implicit-def: $vgpr0_vgpr1
                                        ; implicit-def: $vgpr3
.LBB8_67:
	s_andn2_saveexec_b32 s7, s7
	s_cbranch_execz .LBB8_77
; %bb.68:
	v_mov_b32_e32 v2, 5
                                        ; implicit-def: $vgpr4_vgpr5
	v_cmp_gt_i16_sdwa s8, v3, v2 src0_sel:BYTE_0 src1_sel:DWORD
	s_and_saveexec_b32 s9, s8
	s_xor_b32 s8, exec_lo, s9
	s_cbranch_execz .LBB8_74
; %bb.69:
	v_mov_b32_e32 v2, 6
                                        ; implicit-def: $vgpr4_vgpr5
	v_cmp_gt_i16_sdwa s9, v3, v2 src0_sel:BYTE_0 src1_sel:DWORD
	s_and_saveexec_b32 s10, s9
	s_xor_b32 s9, exec_lo, s10
	s_cbranch_execz .LBB8_71
; %bb.70:
	s_waitcnt vmcnt(0) lgkmcnt(0)
	flat_load_dwordx2 v[4:5], v[0:1]
                                        ; implicit-def: $vgpr0_vgpr1
.LBB8_71:
	s_andn2_saveexec_b32 s9, s9
	s_cbranch_execz .LBB8_73
; %bb.72:
	flat_load_dword v0, v[0:1]
	s_waitcnt vmcnt(0) lgkmcnt(0)
	v_cvt_f64_f32_e32 v[4:5], v0
.LBB8_73:
	s_or_b32 exec_lo, exec_lo, s9
                                        ; implicit-def: $vgpr0_vgpr1
.LBB8_74:
	s_andn2_saveexec_b32 s8, s8
	s_cbranch_execz .LBB8_76
; %bb.75:
	flat_load_ushort v0, v[0:1]
	s_waitcnt vmcnt(0) lgkmcnt(0)
	v_cvt_f32_f16_e32 v0, v0
	v_cvt_f64_f32_e32 v[4:5], v0
.LBB8_76:
	s_or_b32 exec_lo, exec_lo, s8
.LBB8_77:
	s_or_b32 exec_lo, exec_lo, s7
                                        ; implicit-def: $vgpr3
                                        ; implicit-def: $vgpr0_vgpr1
.LBB8_78:
	s_andn2_saveexec_b32 s6, s6
	s_cbranch_execz .LBB8_96
; %bb.79:
	v_mov_b32_e32 v2, 1
                                        ; implicit-def: $vgpr4_vgpr5
	v_cmp_gt_i16_sdwa s7, v3, v2 src0_sel:BYTE_0 src1_sel:DWORD
	s_and_saveexec_b32 s8, s7
	s_xor_b32 s7, exec_lo, s8
	s_cbranch_execz .LBB8_89
; %bb.80:
	v_mov_b32_e32 v2, 2
                                        ; implicit-def: $vgpr4_vgpr5
	v_cmp_gt_i16_sdwa s8, v3, v2 src0_sel:BYTE_0 src1_sel:DWORD
	s_and_saveexec_b32 s9, s8
	s_xor_b32 s8, exec_lo, s9
	;; [unrolled: 7-line block ×3, first 2 shown]
	s_cbranch_execz .LBB8_83
; %bb.82:
	flat_load_dwordx2 v[0:1], v[0:1]
	s_waitcnt vmcnt(0) lgkmcnt(0)
	v_cvt_f64_i32_e32 v[1:2], v1
	v_cvt_f64_u32_e32 v[3:4], v0
	v_ldexp_f64 v[1:2], v[1:2], 32
	v_add_f64 v[4:5], v[1:2], v[3:4]
                                        ; implicit-def: $vgpr0_vgpr1
.LBB8_83:
	s_andn2_saveexec_b32 s9, s9
	s_cbranch_execz .LBB8_85
; %bb.84:
	flat_load_dword v0, v[0:1]
	s_waitcnt vmcnt(0) lgkmcnt(0)
	v_cvt_f64_i32_e32 v[4:5], v0
.LBB8_85:
	s_or_b32 exec_lo, exec_lo, s9
                                        ; implicit-def: $vgpr0_vgpr1
.LBB8_86:
	s_andn2_saveexec_b32 s8, s8
	s_cbranch_execz .LBB8_88
; %bb.87:
	flat_load_sshort v0, v[0:1]
	s_waitcnt vmcnt(0) lgkmcnt(0)
	v_cvt_f64_i32_e32 v[4:5], v0
.LBB8_88:
	s_or_b32 exec_lo, exec_lo, s8
                                        ; implicit-def: $vgpr0_vgpr1
                                        ; implicit-def: $vgpr3
.LBB8_89:
	s_andn2_saveexec_b32 s7, s7
	s_cbranch_execz .LBB8_95
; %bb.90:
	v_mov_b32_e32 v2, 0
                                        ; implicit-def: $vgpr4_vgpr5
	v_cmp_gt_i16_sdwa s8, v3, v2 src0_sel:BYTE_0 src1_sel:DWORD
	s_and_saveexec_b32 s9, s8
	s_xor_b32 s8, exec_lo, s9
	s_cbranch_execz .LBB8_92
; %bb.91:
	flat_load_sbyte v0, v[0:1]
	s_waitcnt vmcnt(0) lgkmcnt(0)
	v_cvt_f64_i32_e32 v[4:5], v0
                                        ; implicit-def: $vgpr0_vgpr1
.LBB8_92:
	s_andn2_saveexec_b32 s8, s8
	s_cbranch_execz .LBB8_94
; %bb.93:
	flat_load_ubyte v0, v[0:1]
	s_waitcnt vmcnt(0) lgkmcnt(0)
	v_cvt_f64_u32_e32 v[4:5], v0
.LBB8_94:
	s_or_b32 exec_lo, exec_lo, s8
.LBB8_95:
	s_or_b32 exec_lo, exec_lo, s7
.LBB8_96:
	s_or_b32 exec_lo, exec_lo, s6
	s_or_b32 s5, s5, exec_lo
	s_or_b32 exec_lo, exec_lo, s4
                                        ; implicit-def: $vgpr0_vgpr1
	s_and_saveexec_b32 s16, s5
	s_cbranch_execnz .LBB8_42
.LBB8_97:
	s_or_b32 exec_lo, exec_lo, s16
	s_waitcnt vmcnt(0) lgkmcnt(0)
	s_setpc_b64 s[30:31]
.LBB8_98:
	s_andn2_saveexec_b32 s6, s6
	s_cbranch_execz .LBB8_37
.LBB8_99:
	v_mov_b32_e32 v2, 22
	s_mov_b32 s9, s7
                                        ; implicit-def: $vgpr4_vgpr5
	v_cmp_gt_i16_sdwa s5, v3, v2 src0_sel:BYTE_0 src1_sel:DWORD
	s_and_saveexec_b32 s10, s5
	s_xor_b32 s5, exec_lo, s10
	s_cbranch_execz .LBB8_117
; %bb.100:
	v_mov_b32_e32 v2, 23
                                        ; implicit-def: $vgpr4_vgpr5
	v_cmp_gt_i16_sdwa s9, v3, v2 src0_sel:BYTE_0 src1_sel:DWORD
	s_and_saveexec_b32 s10, s9
	s_xor_b32 s9, exec_lo, s10
	s_cbranch_execz .LBB8_114
; %bb.101:
	v_mov_b32_e32 v2, 24
                                        ; implicit-def: $vgpr4_vgpr5
	v_cmp_gt_i16_sdwa s10, v3, v2 src0_sel:BYTE_0 src1_sel:DWORD
	s_and_saveexec_b32 s11, s10
	s_xor_b32 s10, exec_lo, s11
	s_cbranch_execz .LBB8_111
; %bb.102:
	flat_load_ubyte v2, v[0:1]
	s_mov_b32 s11, 0
	s_mov_b32 s12, exec_lo
	s_waitcnt vmcnt(0) lgkmcnt(0)
	v_cmpx_lt_i16_e32 0x7f, v2
	s_xor_b32 s12, exec_lo, s12
	s_cbranch_execz .LBB8_106
; %bb.103:
	s_mov_b32 s11, -1
	s_mov_b32 s13, exec_lo
	v_cmpx_eq_u16_e32 0x80, v2
; %bb.104:
	s_xor_b32 s11, exec_lo, -1
; %bb.105:
	s_or_b32 exec_lo, exec_lo, s13
	s_and_b32 s11, s11, exec_lo
.LBB8_106:
	s_or_saveexec_b32 s12, s12
	v_bfrev_b32_e32 v4, 4
	v_mov_b32_e32 v5, 0x7ff80000
	s_xor_b32 exec_lo, exec_lo, s12
; %bb.107:
	v_cmp_ne_u16_e32 vcc_lo, 0, v2
	v_mov_b32_e32 v4, 0
	v_mov_b32_e32 v5, 0
	s_andn2_b32 s11, s11, exec_lo
	s_and_b32 s13, vcc_lo, exec_lo
	s_or_b32 s11, s11, s13
; %bb.108:
	s_or_b32 exec_lo, exec_lo, s12
	s_and_saveexec_b32 s12, s11
	s_cbranch_execz .LBB8_110
; %bb.109:
	v_and_b32_e32 v3, 0xffff, v2
	v_lshlrev_b32_e32 v2, 24, v2
	v_and_b32_e32 v4, 3, v3
	v_bfe_u32 v7, v3, 2, 5
	v_and_b32_e32 v2, 0x80000000, v2
	v_ffbh_u32_e32 v5, v4
	v_cmp_eq_u32_e32 vcc_lo, 0, v7
	v_min_u32_e32 v5, 32, v5
	v_subrev_nc_u32_e32 v6, 29, v5
	v_sub_nc_u32_e32 v5, 30, v5
	v_lshlrev_b32_e32 v3, v6, v3
	v_cndmask_b32_e32 v5, v7, v5, vcc_lo
	v_and_b32_e32 v3, 3, v3
	v_cndmask_b32_e32 v3, v4, v3, vcc_lo
	v_lshl_add_u32 v4, v5, 23, 0x37800000
	v_lshlrev_b32_e32 v3, 21, v3
	v_or3_b32 v2, v2, v4, v3
	v_cvt_f64_f32_e32 v[4:5], v2
.LBB8_110:
	s_or_b32 exec_lo, exec_lo, s12
.LBB8_111:
	s_andn2_saveexec_b32 s10, s10
	s_cbranch_execz .LBB8_113
; %bb.112:
	flat_load_ubyte v2, v[0:1]
	s_waitcnt vmcnt(0) lgkmcnt(0)
	v_lshlrev_b32_e32 v2, 24, v2
	v_and_b32_e32 v3, 0x7f000000, v2
	v_ffbh_u32_e32 v4, v3
	v_add_nc_u32_e32 v6, 0x1000000, v3
	v_cmp_ne_u32_e32 vcc_lo, 0, v3
	v_min_u32_e32 v4, 32, v4
	v_sub_nc_u32_e64 v4, v4, 4 clamp
	v_lshlrev_b32_e32 v5, v4, v3
	v_lshlrev_b32_e32 v4, 23, v4
	v_lshrrev_b32_e32 v5, 4, v5
	v_sub_nc_u32_e32 v4, v5, v4
	v_ashrrev_i32_e32 v5, 8, v6
	v_add_nc_u32_e32 v4, 0x3c000000, v4
	v_and_or_b32 v4, 0x7f800000, v5, v4
	v_cndmask_b32_e32 v3, 0, v4, vcc_lo
	v_and_or_b32 v2, 0x80000000, v2, v3
	v_cvt_f64_f32_e32 v[4:5], v2
.LBB8_113:
	s_or_b32 exec_lo, exec_lo, s10
.LBB8_114:
	s_andn2_saveexec_b32 s9, s9
	s_cbranch_execz .LBB8_116
; %bb.115:
	flat_load_ubyte v2, v[0:1]
	s_waitcnt vmcnt(0) lgkmcnt(0)
	v_lshlrev_b32_e32 v3, 25, v2
	v_lshlrev_b16 v2, 8, v2
	v_lshrrev_b32_e32 v4, 4, v3
	v_and_or_b32 v5, 0x7f00, v2, 0.5
	v_cmp_gt_u32_e32 vcc_lo, 0x8000000, v3
	v_bfe_i32 v2, v2, 0, 16
	v_or_b32_e32 v4, 0x70000000, v4
	v_add_f32_e32 v5, -0.5, v5
	v_mul_f32_e32 v4, 0x7800000, v4
	v_cndmask_b32_e32 v3, v4, v5, vcc_lo
	v_and_or_b32 v2, 0x80000000, v2, v3
	v_cvt_f64_f32_e32 v[4:5], v2
.LBB8_116:
	s_or_b32 exec_lo, exec_lo, s9
	s_or_b32 s9, s7, exec_lo
                                        ; implicit-def: $vgpr3
.LBB8_117:
	s_or_saveexec_b32 s5, s5
	s_mov_b32 s10, 0
	s_mov_b32 s11, s8
	s_xor_b32 exec_lo, exec_lo, s5
	s_cbranch_execz .LBB8_125
; %bb.118:
	v_mov_b32_e32 v2, 14
	s_mov_b32 s10, s8
	s_mov_b32 s11, s9
                                        ; implicit-def: $vgpr4_vgpr5
	v_cmp_gt_i16_sdwa s12, v3, v2 src0_sel:BYTE_0 src1_sel:DWORD
	s_and_saveexec_b32 s13, s12
	s_xor_b32 s12, exec_lo, s13
	s_cbranch_execz .LBB8_122
; %bb.119:
	v_mov_b32_e32 v2, 15
	s_mov_b32 s10, -1
	s_mov_b32 s11, s9
                                        ; implicit-def: $vgpr4_vgpr5
	v_cmp_eq_u16_sdwa s14, v3, v2 src0_sel:BYTE_0 src1_sel:DWORD
	s_and_saveexec_b32 s13, s14
	s_cbranch_execz .LBB8_121
; %bb.120:
	flat_load_ushort v2, v[0:1]
	s_or_b32 s11, s9, exec_lo
	s_xor_b32 s10, exec_lo, -1
	s_waitcnt vmcnt(0) lgkmcnt(0)
	v_lshlrev_b32_e32 v2, 16, v2
	v_cvt_f64_f32_e32 v[4:5], v2
.LBB8_121:
	s_or_b32 exec_lo, exec_lo, s13
	s_andn2_b32 s13, s9, exec_lo
	s_and_b32 s11, s11, exec_lo
	s_andn2_b32 s14, s8, exec_lo
	s_and_b32 s10, s10, exec_lo
	s_or_b32 s11, s13, s11
	s_or_b32 s10, s14, s10
                                        ; implicit-def: $vgpr3
.LBB8_122:
	s_or_saveexec_b32 s12, s12
	s_mov_b32 s13, 0
	s_xor_b32 exec_lo, exec_lo, s12
; %bb.123:
	v_mov_b32_e32 v2, 11
	s_andn2_b32 s10, s10, exec_lo
	s_mov_b32 s13, exec_lo
	v_cmp_ne_u16_sdwa s14, v3, v2 src0_sel:BYTE_0 src1_sel:DWORD
	s_and_b32 s14, s14, exec_lo
	s_or_b32 s10, s10, s14
; %bb.124:
	s_or_b32 exec_lo, exec_lo, s12
	s_andn2_b32 s9, s9, exec_lo
	s_and_b32 s11, s11, exec_lo
	s_and_b32 s12, s10, exec_lo
	s_or_b32 s9, s9, s11
	s_andn2_b32 s11, s8, exec_lo
	s_and_b32 s10, s13, exec_lo
	s_or_b32 s11, s11, s12
.LBB8_125:
	s_or_b32 exec_lo, exec_lo, s5
	s_andn2_b32 s5, s7, exec_lo
	s_and_b32 s7, s9, exec_lo
	s_andn2_b32 s8, s8, exec_lo
	s_and_b32 s9, s11, exec_lo
	s_or_b32 s7, s5, s7
	s_and_b32 s5, s10, exec_lo
	s_or_b32 s8, s8, s9
	s_or_b32 exec_lo, exec_lo, s6
	s_and_saveexec_b32 s6, s8
	s_cbranch_execz .LBB8_38
.LBB8_126:
	s_trap 2
	; divergent unreachable
	s_andn2_b32 s5, s5, exec_lo
	s_or_b32 exec_lo, exec_lo, s6
	s_and_saveexec_b32 s6, s5
	s_xor_b32 s5, exec_lo, s6
	s_cbranch_execnz .LBB8_39
	s_branch .LBB8_40
.LBB8_127:
	s_andn2_saveexec_b32 s4, s7
	s_cbranch_execz .LBB8_129
.LBB8_128:
	s_mov_b32 s8, 0x6dc9c883
	s_mov_b32 s9, 0x3fe45f30
	;; [unrolled: 1-line block ×3, first 2 shown]
	v_mul_f64 v[2:3], |v[0:1]|, s[8:9]
	s_mov_b32 s8, 0x54442d18
	s_mov_b32 s9, 0xbff921fb
	s_mov_b32 s10, 0x33145c00
	v_rndne_f64_e32 v[8:9], v[2:3]
	v_fma_f64 v[2:3], v[8:9], s[8:9], |v[0:1]|
	v_mul_f64 v[4:5], v[8:9], s[10:11]
	s_mov_b32 s8, 0x252049c0
	s_mov_b32 s9, 0xb97b839a
	v_fma_f64 v[22:23], v[8:9], s[10:11], v[2:3]
	v_add_f64 v[10:11], v[2:3], v[4:5]
	s_mov_b32 s11, 0x3c91a626
	v_add_f64 v[2:3], v[2:3], -v[10:11]
	v_add_f64 v[10:11], v[10:11], -v[22:23]
	v_add_f64 v[2:3], v[2:3], v[4:5]
	v_fma_f64 v[4:5], v[8:9], s[10:11], v[4:5]
	v_add_f64 v[2:3], v[10:11], v[2:3]
	v_add_f64 v[2:3], v[2:3], -v[4:5]
	v_fma_f64 v[4:5], v[8:9], s[8:9], v[2:3]
	v_add_f64 v[2:3], v[22:23], v[4:5]
	v_add_f64 v[10:11], v[2:3], -v[22:23]
	v_cvt_i32_f64_e32 v22, v[8:9]
	v_add_f64 v[4:5], v[4:5], -v[10:11]
.LBB8_129:
	s_or_b32 exec_lo, exec_lo, s4
                                        ; implicit-def: $vgpr23
                                        ; implicit-def: $vgpr8_vgpr9
                                        ; implicit-def: $vgpr10_vgpr11
	s_and_saveexec_b32 s4, s6
	s_xor_b32 s4, exec_lo, s4
	s_cbranch_execz .LBB8_131
; %bb.130:
	v_cmp_le_f64_e64 vcc_lo, 0x7b000000, |v[0:1]|
	v_mov_b32_e32 v33, 0
	s_mov_b32 s6, 0x54442d18
	s_mov_b32 s7, 0x3ff921fb
	;; [unrolled: 1-line block ×4, first 2 shown]
	v_cndmask_b32_e32 v9, v24, v21, vcc_lo
	v_cndmask_b32_e32 v8, v0, v20, vcc_lo
	v_mul_f64 v[10:11], v[18:19], v[8:9]
	v_mul_f64 v[20:21], v[16:17], v[8:9]
	;; [unrolled: 1-line block ×3, first 2 shown]
	v_fma_f64 v[18:19], v[18:19], v[8:9], -v[10:11]
	v_fma_f64 v[16:17], v[16:17], v[8:9], -v[20:21]
	;; [unrolled: 1-line block ×3, first 2 shown]
	v_add_f64 v[23:24], v[20:21], v[18:19]
	v_add_f64 v[25:26], v[23:24], -v[20:21]
	v_add_f64 v[29:30], v[10:11], v[23:24]
	v_add_f64 v[27:28], v[23:24], -v[25:26]
	v_add_f64 v[18:19], v[18:19], -v[25:26]
	v_ldexp_f64 v[25:26], v[29:30], -2
	v_add_f64 v[10:11], v[29:30], -v[10:11]
	v_add_f64 v[20:21], v[20:21], -v[27:28]
	v_add_f64 v[27:28], v[31:32], v[16:17]
	v_cmp_neq_f64_e64 vcc_lo, 0x7ff00000, |v[25:26]|
	v_add_f64 v[10:11], v[23:24], -v[10:11]
	v_add_f64 v[18:19], v[18:19], v[20:21]
	v_fract_f64_e32 v[20:21], v[25:26]
	v_add_f64 v[23:24], v[27:28], v[18:19]
	v_ldexp_f64 v[20:21], v[20:21], 2
	v_add_f64 v[25:26], v[10:11], v[23:24]
	v_cndmask_b32_e32 v21, 0, v21, vcc_lo
	v_cndmask_b32_e32 v20, 0, v20, vcc_lo
	v_add_f64 v[29:30], v[25:26], v[20:21]
	v_add_f64 v[10:11], v[25:26], -v[10:11]
	v_cmp_gt_f64_e32 vcc_lo, 0, v[29:30]
	v_add_f64 v[29:30], v[27:28], -v[31:32]
	v_add_f64 v[10:11], v[23:24], -v[10:11]
	v_cndmask_b32_e64 v34, 0, 0x40100000, vcc_lo
	v_add_f64 v[38:39], v[27:28], -v[29:30]
	v_add_f64 v[16:17], v[16:17], -v[29:30]
	v_add_f64 v[20:21], v[20:21], v[33:34]
	v_add_f64 v[34:35], v[23:24], -v[27:28]
	v_add_f64 v[29:30], v[31:32], -v[38:39]
	v_add_f64 v[36:37], v[25:26], v[20:21]
	;; [unrolled: 3-line block ×3, first 2 shown]
	v_cvt_i32_f64_e32 v36, v[36:37]
	v_add_f64 v[27:28], v[27:28], -v[48:49]
	v_cvt_f64_i32_e32 v[34:35], v36
	v_add_f64 v[18:19], v[18:19], v[27:28]
	v_add_f64 v[20:21], v[20:21], -v[34:35]
	v_add_f64 v[14:15], v[16:17], v[18:19]
	v_add_f64 v[16:17], v[25:26], v[20:21]
	;; [unrolled: 1-line block ×3, first 2 shown]
	v_add_f64 v[14:15], v[16:17], -v[20:21]
	v_cmp_le_f64_e32 vcc_lo, 0.5, v[16:17]
	v_add_f64 v[8:9], v[10:11], v[8:9]
	v_add_f64 v[10:11], v[25:26], -v[14:15]
	v_cndmask_b32_e64 v34, 0, 0x3ff00000, vcc_lo
	v_add_co_ci_u32_e64 v23, null, 0, v36, vcc_lo
	v_add_f64 v[8:9], v[8:9], v[10:11]
	v_add_f64 v[10:11], v[16:17], -v[33:34]
	v_add_f64 v[14:15], v[10:11], v[8:9]
	v_mul_f64 v[16:17], v[14:15], s[6:7]
	v_add_f64 v[10:11], v[14:15], -v[10:11]
	v_fma_f64 v[18:19], v[14:15], s[6:7], -v[16:17]
	v_add_f64 v[8:9], v[8:9], -v[10:11]
	v_fma_f64 v[10:11], v[14:15], s[8:9], v[18:19]
	v_fma_f64 v[10:11], v[8:9], s[6:7], v[10:11]
	v_add_f64 v[8:9], v[16:17], v[10:11]
	v_add_f64 v[14:15], v[8:9], -v[16:17]
	v_add_f64 v[10:11], v[10:11], -v[14:15]
	s_andn2_saveexec_b32 s4, s4
	s_cbranch_execnz .LBB8_132
	s_branch .LBB8_133
.LBB8_131:
	s_andn2_saveexec_b32 s4, s4
	s_cbranch_execz .LBB8_133
.LBB8_132:
	s_mov_b32 s6, 0x6dc9c883
	s_mov_b32 s7, 0x3fe45f30
	;; [unrolled: 1-line block ×3, first 2 shown]
	v_mul_f64 v[8:9], |v[0:1]|, s[6:7]
	s_mov_b32 s6, 0x54442d18
	s_mov_b32 s7, 0xbff921fb
	;; [unrolled: 1-line block ×3, first 2 shown]
	v_rndne_f64_e32 v[14:15], v[8:9]
	v_fma_f64 v[8:9], v[14:15], s[6:7], |v[0:1]|
	v_mul_f64 v[10:11], v[14:15], s[8:9]
	s_mov_b32 s6, 0x252049c0
	s_mov_b32 s7, 0xb97b839a
	v_cvt_i32_f64_e32 v23, v[14:15]
	v_fma_f64 v[18:19], v[14:15], s[8:9], v[8:9]
	v_add_f64 v[16:17], v[8:9], v[10:11]
	s_mov_b32 s9, 0x3c91a626
	v_add_f64 v[8:9], v[8:9], -v[16:17]
	v_add_f64 v[16:17], v[16:17], -v[18:19]
	v_add_f64 v[8:9], v[8:9], v[10:11]
	v_fma_f64 v[10:11], v[14:15], s[8:9], v[10:11]
	v_add_f64 v[8:9], v[16:17], v[8:9]
	v_add_f64 v[8:9], v[8:9], -v[10:11]
	v_fma_f64 v[10:11], v[14:15], s[6:7], v[8:9]
	v_add_f64 v[8:9], v[18:19], v[10:11]
	v_add_f64 v[16:17], v[8:9], -v[18:19]
	v_add_f64 v[10:11], v[10:11], -v[16:17]
.LBB8_133:
	s_or_b32 exec_lo, exec_lo, s4
	v_div_scale_f64 v[14:15], null, v[12:13], v[12:13], 1.0
	v_div_scale_f64 v[20:21], vcc_lo, 1.0, v[12:13], 1.0
	s_mov_b32 s4, 0xddcfbbde
	s_mov_b32 s5, 0x3f943525
	;; [unrolled: 1-line block ×4, first 2 shown]
	v_mul_f64 v[32:33], v[2:3], v[2:3]
	s_mov_b32 s8, 0xaf76e73b
	s_mov_b32 s10, 0xf68ea2d2
	;; [unrolled: 1-line block ×12, first 2 shown]
	v_mul_f64 v[38:39], v[8:9], v[8:9]
	v_rcp_f64_e32 v[16:17], v[14:15]
	s_mov_b32 s24, 0x19f4ec90
	s_mov_b32 s25, 0x3efa01a0
	;; [unrolled: 1-line block ×4, first 2 shown]
	v_mul_f64 v[54:55], v[4:5], 0.5
	v_mul_f64 v[34:35], v[32:33], 0.5
	v_mul_f64 v[64:65], v[2:3], -v[32:33]
	v_mul_f64 v[68:69], v[38:39], 0.5
	v_fma_f64 v[18:19], -v[14:15], v[16:17], 1.0
	v_fma_f64 v[16:17], v[16:17], v[18:19], v[16:17]
	v_fma_f64 v[18:19], -v[14:15], v[16:17], 1.0
	v_fma_f64 v[16:17], v[16:17], v[18:19], v[16:17]
	v_mul_f64 v[18:19], v[20:21], v[16:17]
	v_fma_f64 v[14:15], -v[14:15], v[18:19], v[20:21]
	v_div_fmas_f64 v[14:15], v[14:15], v[16:17], v[18:19]
	v_cmp_gt_f64_e32 vcc_lo, 0x10000000, v[6:7]
	v_div_fixup_f64 v[12:13], v[14:15], v[12:13], 1.0
	v_cndmask_b32_e64 v18, 0, 0x100, vcc_lo
	v_ldexp_f64 v[6:7], v[6:7], v18
	v_mul_f64 v[14:15], v[12:13], v[12:13]
	v_rsq_f64_e32 v[20:21], v[6:7]
	v_fma_f64 v[16:17], v[14:15], 0, s[4:5]
	s_mov_b32 s4, 0x6437b7
	s_mov_b32 s5, 0x3fd907d5
	v_fma_f64 v[24:25], v[14:15], 0, s[6:7]
	s_mov_b32 s6, 0x2572edf2
	s_mov_b32 s7, 0x402ab64b
	;; [unrolled: 3-line block ×3, first 2 shown]
	v_mul_f64 v[28:29], v[6:7], v[20:21]
	v_mul_f64 v[20:21], v[20:21], 0.5
	v_fma_f64 v[16:17], v[14:15], v[16:17], s[4:5]
	s_mov_b32 s4, 0xd50ae6fb
	s_mov_b32 s5, 0xbfc0db6c
	v_fma_f64 v[24:25], v[14:15], v[24:25], s[6:7]
	v_fma_f64 v[18:19], v[14:15], 0, s[4:5]
	s_mov_b32 s4, 0x3a2034eb
	s_mov_b32 s5, 0x3ff10d83
	;; [unrolled: 1-line block ×4, first 2 shown]
	v_fma_f64 v[26:27], v[14:15], v[26:27], s[6:7]
	s_mov_b32 s6, 0x7ea7dc35
	s_mov_b32 s7, 0x402f211b
	v_fma_f64 v[30:31], -v[20:21], v[28:29], 0.5
	v_fma_f64 v[16:17], v[14:15], v[16:17], s[4:5]
	s_mov_b32 s4, 0x98566852
	s_mov_b32 s5, 0xbfe40bee
	v_fma_f64 v[24:25], v[14:15], v[24:25], s[6:7]
	v_fma_f64 v[18:19], v[14:15], v[18:19], s[4:5]
	s_mov_b32 s4, 0xa0ef1acb
	s_mov_b32 s5, 0x3fee0dac
	s_mov_b32 s6, 0xa3b73410
	s_mov_b32 s7, 0x403abc98
	v_fma_f64 v[26:27], v[14:15], v[26:27], s[6:7]
	s_mov_b32 s6, 0x2b79dbce
	s_mov_b32 s7, 0x4015e84e
	v_fma_f64 v[28:29], v[28:29], v[30:31], v[28:29]
	v_fma_f64 v[20:21], v[20:21], v[30:31], v[20:21]
	;; [unrolled: 1-line block ×3, first 2 shown]
	s_mov_b32 s4, 0xc2f79f7d
	s_mov_b32 s5, 0xbfe62e59
	v_fma_f64 v[24:25], v[14:15], v[24:25], s[6:7]
	v_fma_f64 v[18:19], v[14:15], v[18:19], s[4:5]
	s_mov_b32 s4, 0xcea8fe1d
	s_mov_b32 s5, 0x3fd67e69
	;; [unrolled: 1-line block ×4, first 2 shown]
	v_fma_f64 v[26:27], v[14:15], v[26:27], s[6:7]
	s_mov_b32 s6, 0xc195ece3
	s_mov_b32 s7, 0x3fee8992
	v_fma_f64 v[30:31], -v[28:29], v[28:29], v[6:7]
	v_fma_f64 v[16:17], v[14:15], v[16:17], s[4:5]
	s_mov_b32 s4, 0x4bb3f40b
	s_mov_b32 s5, 0xbfd1e7ea
	v_fma_f64 v[24:25], v[14:15], v[24:25], s[6:7]
	v_fma_f64 v[18:19], v[14:15], v[18:19], s[4:5]
	s_mov_b32 s4, 0x21e90978
	s_mov_b32 s5, 0x3fb03a41
	;; [unrolled: 1-line block ×4, first 2 shown]
	v_fma_f64 v[26:27], v[14:15], v[26:27], s[6:7]
	s_mov_b32 s6, 0xed64a9ee
	s_mov_b32 s7, 0x3fb6221d
	v_fma_f64 v[28:29], v[30:31], v[20:21], v[28:29]
	v_fma_f64 v[16:17], v[14:15], v[16:17], s[4:5]
	s_mov_b32 s4, 0xf47dbd8a
	s_mov_b32 s5, 0xbfa92f6e
	v_fma_f64 v[24:25], v[14:15], v[24:25], s[6:7]
	v_fma_f64 v[18:19], v[14:15], v[18:19], s[4:5]
	s_mov_b32 s4, 0xf12f5043
	s_mov_b32 s5, 0x3f77fe99
	;; [unrolled: 1-line block ×4, first 2 shown]
	v_fma_f64 v[26:27], v[14:15], v[26:27], s[6:7]
	s_mov_b32 s6, 0x6be393bb
	s_mov_b32 s7, 0x3f70e704
	v_fma_f64 v[30:31], -v[28:29], v[28:29], v[6:7]
	v_fma_f64 v[16:17], v[14:15], v[16:17], s[4:5]
	s_mov_b32 s4, 0xc8d9e090
	s_mov_b32 s5, 0xbf70a401
	v_fma_f64 v[24:25], v[14:15], v[24:25], s[6:7]
	v_fma_f64 v[18:19], v[14:15], v[18:19], s[4:5]
	s_mov_b32 s4, 0x600e17a2
	s_mov_b32 s5, 0x3f328976
	;; [unrolled: 1-line block ×4, first 2 shown]
	v_fma_f64 v[26:27], v[14:15], v[26:27], s[6:7]
	s_mov_b32 s6, 0xd603a5a0
	s_mov_b32 s7, 0x3f1a8b61
	v_fma_f64 v[20:21], v[30:31], v[20:21], v[28:29]
	v_cndmask_b32_e64 v30, 0, 0xffffff80, vcc_lo
	v_cmp_class_f64_e64 vcc_lo, v[6:7], 0x260
	v_fma_f64 v[16:17], v[14:15], v[16:17], s[4:5]
	s_mov_b32 s4, 0xaf4b009c
	s_mov_b32 s5, 0xbf24e06e
	v_fma_f64 v[24:25], v[14:15], v[24:25], s[6:7]
	v_fma_f64 v[18:19], v[14:15], v[18:19], s[4:5]
	s_mov_b32 s4, 0x69f8574e
	s_mov_b32 s5, 0x3edd4f3d
	;; [unrolled: 1-line block ×4, first 2 shown]
	v_fma_f64 v[26:27], v[14:15], v[26:27], s[8:9]
	s_mov_b32 s8, 0x7d97ee7a
	s_mov_b32 s9, 0x3df778a4
	v_ldexp_f64 v[20:21], v[20:21], v30
	v_fma_f64 v[16:17], v[14:15], v[16:17], s[4:5]
	s_mov_b32 s4, 0x1d42366d
	s_mov_b32 s5, 0xbec74a78
	v_fma_f64 v[18:19], v[14:15], v[18:19], s[4:5]
	s_mov_b32 s4, 0xbbad11c8
	s_mov_b32 s5, 0x3e75ca92
	v_cndmask_b32_e32 v7, v21, v7, vcc_lo
	v_cndmask_b32_e32 v6, v20, v6, vcc_lo
	v_fma_f64 v[16:17], v[14:15], v[16:17], s[4:5]
	s_mov_b32 s4, 0xb42fdfa7
	s_mov_b32 s5, 0xbe5ae600
	v_fma_f64 v[18:19], v[14:15], v[18:19], s[10:11]
	s_mov_b32 s10, 0xdb0724e8
	s_mov_b32 s11, 0x3eb3a845
	v_fma_f64 v[28:29], v[32:33], s[6:7], s[4:5]
	v_fma_f64 v[24:25], v[14:15], v[24:25], s[10:11]
	s_mov_b32 s10, 0x9037ab78
	s_mov_b32 s11, 0x3e21eeb6
	v_fma_f64 v[70:71], v[38:39], s[6:7], s[4:5]
	;; [unrolled: 4-line block ×3, first 2 shown]
	s_mov_b32 s8, 0xb99518a7
	s_mov_b32 s9, 0x3e9e52b9
	v_fma_f64 v[26:27], v[14:15], v[26:27], s[8:9]
	v_mul_f64 v[18:19], v[14:15], v[18:19]
	s_mov_b32 s8, 0x3dd589d4
	s_mov_b32 s9, 0x3e351fc7
	v_fma_f64 v[14:15], v[14:15], v[24:25], s[8:9]
	s_mov_b32 s8, 0x50429b6d
	s_mov_b32 s9, 0x3fe20dd7
	v_fma_f64 v[70:71], v[38:39], v[70:71], s[14:15]
	v_div_scale_f64 v[20:21], null, v[6:7], v[6:7], s[8:9]
	v_mul_f64 v[12:13], v[12:13], v[16:17]
	v_fma_f64 v[16:17], v[32:33], v[28:29], s[14:15]
	v_fma_f64 v[28:29], v[32:33], v[30:31], s[20:21]
	v_add_f64 v[30:31], -v[34:35], 1.0
	v_div_scale_f64 v[24:25], null, v[26:27], v[26:27], v[18:19]
	v_fma_f64 v[70:71], v[38:39], v[70:71], s[22:23]
	v_rcp_f64_e32 v[48:49], v[20:21]
	v_div_scale_f64 v[36:37], null, v[14:15], v[14:15], v[12:13]
	v_fma_f64 v[16:17], v[32:33], v[16:17], s[22:23]
	v_fma_f64 v[28:29], v[32:33], v[28:29], s[24:25]
	v_add_f64 v[52:53], -v[30:31], 1.0
	v_rcp_f64_e32 v[50:51], v[24:25]
	v_fma_f64 v[80:81], -v[20:21], v[48:49], 1.0
	v_rcp_f64_e32 v[66:67], v[36:37]
	v_fma_f64 v[16:17], v[32:33], v[16:17], s[26:27]
	v_fma_f64 v[28:29], v[32:33], v[28:29], s[6:7]
	v_add_f64 v[34:35], v[52:53], -v[34:35]
	v_fma_f64 v[82:83], -v[24:25], v[50:51], 1.0
	v_fma_f64 v[48:49], v[48:49], v[80:81], v[48:49]
	v_fma_f64 v[80:81], v[38:39], s[12:13], s[10:11]
	s_mov_b32 s10, 0x55555555
	s_mov_b32 s11, 0x3fa55555
	v_fma_f64 v[16:17], v[64:65], v[16:17], v[54:55]
	v_fma_f64 v[52:53], -v[36:37], v[66:67], 1.0
	v_add_f64 v[54:55], -v[68:69], 1.0
	v_fma_f64 v[28:29], v[32:33], v[28:29], s[10:11]
	v_fma_f64 v[34:35], v[2:3], -v[4:5], v[34:35]
	v_fma_f64 v[50:51], v[50:51], v[82:83], v[50:51]
	v_mul_f64 v[82:83], v[32:33], v[32:33]
	v_fma_f64 v[80:81], v[38:39], v[80:81], s[20:21]
	v_fma_f64 v[4:5], v[32:33], v[16:17], -v[4:5]
	v_fma_f64 v[52:53], v[66:67], v[52:53], v[66:67]
	v_add_f64 v[66:67], -v[54:55], 1.0
	v_fma_f64 v[16:17], -v[20:21], v[48:49], 1.0
	v_mul_f64 v[32:33], v[8:9], -v[38:39]
	v_fma_f64 v[28:29], v[82:83], v[28:29], v[34:35]
	v_fma_f64 v[34:35], -v[24:25], v[50:51], 1.0
	v_mul_f64 v[82:83], v[10:11], 0.5
	v_fma_f64 v[80:81], v[38:39], v[80:81], s[24:25]
	v_add_f64 v[66:67], v[66:67], -v[68:69]
	v_fma_f64 v[68:69], v[38:39], v[70:71], s[26:27]
	v_fma_f64 v[70:71], -v[36:37], v[52:53], 1.0
	v_fma_f64 v[16:17], v[48:49], v[16:17], v[48:49]
	v_div_scale_f64 v[48:49], s4, s[8:9], v[6:7], s[8:9]
	v_fma_f64 v[34:35], v[50:51], v[34:35], v[50:51]
	v_div_scale_f64 v[50:51], vcc_lo, v[18:19], v[26:27], v[18:19]
	v_add_f64 v[28:29], v[30:31], v[28:29]
	v_fma_f64 v[80:81], v[38:39], v[80:81], s[6:7]
	s_mov_b32 s7, 0xbfc55555
	s_mov_b32 s6, s10
	v_fma_f64 v[4:5], v[64:65], s[6:7], v[4:5]
	v_fma_f64 v[68:69], v[32:33], v[68:69], v[82:83]
	;; [unrolled: 1-line block ×3, first 2 shown]
	v_div_scale_f64 v[70:71], s5, v[12:13], v[14:15], v[12:13]
	v_mul_f64 v[64:65], v[48:49], v[16:17]
	v_mul_f64 v[82:83], v[50:51], v[34:35]
	v_fma_f64 v[80:81], v[38:39], v[80:81], s[10:11]
	v_add_f64 v[2:3], v[2:3], -v[4:5]
	v_fma_f64 v[68:69], v[38:39], v[68:69], -v[10:11]
	v_fma_f64 v[10:11], v[8:9], -v[10:11], v[66:67]
	v_mul_f64 v[66:67], v[70:71], v[52:53]
	v_mul_f64 v[38:39], v[38:39], v[38:39]
	v_fma_f64 v[20:21], -v[20:21], v[64:65], v[48:49]
	v_fma_f64 v[24:25], -v[24:25], v[82:83], v[50:51]
	v_fma_f64 v[32:33], v[32:33], s[6:7], v[68:69]
	v_fma_f64 v[36:37], -v[36:37], v[66:67], v[70:71]
	v_fma_f64 v[10:11], v[38:39], v[80:81], v[10:11]
	v_div_fmas_f64 v[4:5], v[24:25], v[34:35], v[82:83]
	s_mov_b32 vcc_lo, s4
	v_cmp_class_f64_e64 s4, v[0:1], 0x1f8
	v_div_fmas_f64 v[16:17], v[20:21], v[16:17], v[64:65]
	s_mov_b32 vcc_lo, s5
	v_and_b32_e32 v0, 1, v23
	v_and_b32_e32 v24, 1, v22
	v_cmp_eq_u32_e64 s5, 0, v0
	v_lshlrev_b32_e32 v0, 30, v23
	v_and_b32_e32 v0, 0x80000000, v0
	v_add_f64 v[8:9], v[8:9], -v[32:33]
	v_div_fmas_f64 v[20:21], v[36:37], v[52:53], v[66:67]
	v_add_f64 v[10:11], v[54:55], v[10:11]
	v_cmp_eq_u32_e32 vcc_lo, 0, v24
	v_div_fixup_f64 v[4:5], v[4:5], v[26:27], v[18:19]
	v_cndmask_b32_e32 v2, v28, v2, vcc_lo
	v_xor_b32_e32 v9, 0x80000000, v9
	v_div_fixup_f64 v[12:13], v[20:21], v[14:15], v[12:13]
	v_cndmask_b32_e64 v8, v8, v10, s5
	v_cndmask_b32_e64 v9, v9, v11, s5
	v_add_f64 v[4:5], v[4:5], 1.0
	v_cndmask_b32_e64 v8, 0, v8, s4
	v_xor_b32_e32 v9, v9, v0
	v_cndmask_b32_e64 v0, 0, v2, s4
	v_lshlrev_b32_e32 v2, 30, v22
	v_cndmask_b32_e64 v9, 0x7ff80000, v9, s4
	v_xor_b32_e32 v1, v2, v1
	v_cndmask_b32_e32 v2, v29, v3, vcc_lo
	v_and_b32_e32 v1, 0x80000000, v1
	v_mul_f64 v[8:9], v[12:13], v[8:9]
	v_xor_b32_e32 v1, v2, v1
	v_div_fixup_f64 v[2:3], v[16:17], v[6:7], s[8:9]
	v_cndmask_b32_e64 v1, 0x7ff80000, v1, s4
	v_fma_f64 v[0:1], v[4:5], v[0:1], -v[8:9]
	v_mul_f64 v[0:1], v[2:3], v[0:1]
.LBB8_134:
	s_or_b32 exec_lo, exec_lo, s19
.LBB8_135:
	s_or_b32 exec_lo, exec_lo, s18
.LBB8_136:
	s_or_b32 exec_lo, exec_lo, s17
	s_or_b32 exec_lo, exec_lo, s16
	s_setpc_b64 s[30:31]
.Lfunc_end8:
	.size	_ZN2at6native6invokeIZZZNS0_12_GLOBAL__N_119airy_ai_kernel_cudaERNS_18TensorIteratorBaseEENKUlvE_clEvENKUlvE_clEvEUldE_i15function_traitsIS7_EEENT1_11result_typeERKT_PrKPcPKT0_PKN3c1010ScalarTypeEi, .Lfunc_end8-_ZN2at6native6invokeIZZZNS0_12_GLOBAL__N_119airy_ai_kernel_cudaERNS_18TensorIteratorBaseEENKUlvE_clEvENKUlvE_clEvEUldE_i15function_traitsIS7_EEENT1_11result_typeERKT_PrKPcPKT0_PKN3c1010ScalarTypeEi
                                        ; -- End function
	.set .L_ZN2at6native6invokeIZZZNS0_12_GLOBAL__N_119airy_ai_kernel_cudaERNS_18TensorIteratorBaseEENKUlvE_clEvENKUlvE_clEvEUldE_i15function_traitsIS7_EEENT1_11result_typeERKT_PrKPcPKT0_PKN3c1010ScalarTypeEi.num_vgpr, 84
	.set .L_ZN2at6native6invokeIZZZNS0_12_GLOBAL__N_119airy_ai_kernel_cudaERNS_18TensorIteratorBaseEENKUlvE_clEvENKUlvE_clEvEUldE_i15function_traitsIS7_EEENT1_11result_typeERKT_PrKPcPKT0_PKN3c1010ScalarTypeEi.num_agpr, 0
	.set .L_ZN2at6native6invokeIZZZNS0_12_GLOBAL__N_119airy_ai_kernel_cudaERNS_18TensorIteratorBaseEENKUlvE_clEvENKUlvE_clEvEUldE_i15function_traitsIS7_EEENT1_11result_typeERKT_PrKPcPKT0_PKN3c1010ScalarTypeEi.numbered_sgpr, 32
	.set .L_ZN2at6native6invokeIZZZNS0_12_GLOBAL__N_119airy_ai_kernel_cudaERNS_18TensorIteratorBaseEENKUlvE_clEvENKUlvE_clEvEUldE_i15function_traitsIS7_EEENT1_11result_typeERKT_PrKPcPKT0_PKN3c1010ScalarTypeEi.num_named_barrier, 0
	.set .L_ZN2at6native6invokeIZZZNS0_12_GLOBAL__N_119airy_ai_kernel_cudaERNS_18TensorIteratorBaseEENKUlvE_clEvENKUlvE_clEvEUldE_i15function_traitsIS7_EEENT1_11result_typeERKT_PrKPcPKT0_PKN3c1010ScalarTypeEi.private_seg_size, 0
	.set .L_ZN2at6native6invokeIZZZNS0_12_GLOBAL__N_119airy_ai_kernel_cudaERNS_18TensorIteratorBaseEENKUlvE_clEvENKUlvE_clEvEUldE_i15function_traitsIS7_EEENT1_11result_typeERKT_PrKPcPKT0_PKN3c1010ScalarTypeEi.uses_vcc, 1
	.set .L_ZN2at6native6invokeIZZZNS0_12_GLOBAL__N_119airy_ai_kernel_cudaERNS_18TensorIteratorBaseEENKUlvE_clEvENKUlvE_clEvEUldE_i15function_traitsIS7_EEENT1_11result_typeERKT_PrKPcPKT0_PKN3c1010ScalarTypeEi.uses_flat_scratch, 0
	.set .L_ZN2at6native6invokeIZZZNS0_12_GLOBAL__N_119airy_ai_kernel_cudaERNS_18TensorIteratorBaseEENKUlvE_clEvENKUlvE_clEvEUldE_i15function_traitsIS7_EEENT1_11result_typeERKT_PrKPcPKT0_PKN3c1010ScalarTypeEi.has_dyn_sized_stack, 0
	.set .L_ZN2at6native6invokeIZZZNS0_12_GLOBAL__N_119airy_ai_kernel_cudaERNS_18TensorIteratorBaseEENKUlvE_clEvENKUlvE_clEvEUldE_i15function_traitsIS7_EEENT1_11result_typeERKT_PrKPcPKT0_PKN3c1010ScalarTypeEi.has_recursion, 0
	.set .L_ZN2at6native6invokeIZZZNS0_12_GLOBAL__N_119airy_ai_kernel_cudaERNS_18TensorIteratorBaseEENKUlvE_clEvENKUlvE_clEvEUldE_i15function_traitsIS7_EEENT1_11result_typeERKT_PrKPcPKT0_PKN3c1010ScalarTypeEi.has_indirect_call, 0
	.section	.AMDGPU.csdata,"",@progbits
; Function info:
; codeLenInByte = 8784
; TotalNumSgprs: 34
; NumVgprs: 84
; ScratchSize: 0
; MemoryBound: 1
	.section	.text._ZN2at6native32elementwise_kernel_manual_unrollILi128ELi4EZNS0_15gpu_kernel_implIZZZNS0_12_GLOBAL__N_119airy_ai_kernel_cudaERNS_18TensorIteratorBaseEENKUlvE_clEvENKUlvE_clEvEUldE_EEvS5_RKT_EUlibE_EEviT1_,"axG",@progbits,_ZN2at6native32elementwise_kernel_manual_unrollILi128ELi4EZNS0_15gpu_kernel_implIZZZNS0_12_GLOBAL__N_119airy_ai_kernel_cudaERNS_18TensorIteratorBaseEENKUlvE_clEvENKUlvE_clEvEUldE_EEvS5_RKT_EUlibE_EEviT1_,comdat
	.globl	_ZN2at6native32elementwise_kernel_manual_unrollILi128ELi4EZNS0_15gpu_kernel_implIZZZNS0_12_GLOBAL__N_119airy_ai_kernel_cudaERNS_18TensorIteratorBaseEENKUlvE_clEvENKUlvE_clEvEUldE_EEvS5_RKT_EUlibE_EEviT1_ ; -- Begin function _ZN2at6native32elementwise_kernel_manual_unrollILi128ELi4EZNS0_15gpu_kernel_implIZZZNS0_12_GLOBAL__N_119airy_ai_kernel_cudaERNS_18TensorIteratorBaseEENKUlvE_clEvENKUlvE_clEvEUldE_EEvS5_RKT_EUlibE_EEviT1_
	.p2align	8
	.type	_ZN2at6native32elementwise_kernel_manual_unrollILi128ELi4EZNS0_15gpu_kernel_implIZZZNS0_12_GLOBAL__N_119airy_ai_kernel_cudaERNS_18TensorIteratorBaseEENKUlvE_clEvENKUlvE_clEvEUldE_EEvS5_RKT_EUlibE_EEviT1_,@function
_ZN2at6native32elementwise_kernel_manual_unrollILi128ELi4EZNS0_15gpu_kernel_implIZZZNS0_12_GLOBAL__N_119airy_ai_kernel_cudaERNS_18TensorIteratorBaseEENKUlvE_clEvENKUlvE_clEvEUldE_EEvS5_RKT_EUlibE_EEviT1_: ; @_ZN2at6native32elementwise_kernel_manual_unrollILi128ELi4EZNS0_15gpu_kernel_implIZZZNS0_12_GLOBAL__N_119airy_ai_kernel_cudaERNS_18TensorIteratorBaseEENKUlvE_clEvENKUlvE_clEvEUldE_EEvS5_RKT_EUlibE_EEviT1_
; %bb.0:
	v_mov_b32_e32 v1, 0
	s_clause 0x2
	s_load_dword s41, s[4:5], 0x0
	s_load_dwordx2 s[28:29], s[4:5], 0x18
	s_load_dwordx4 s[36:39], s[4:5], 0x8
	v_lshl_or_b32 v46, s6, 9, v0
	v_mov_b32_e32 v0, 8
	s_add_u32 s0, s0, s7
	global_load_ushort v1, v1, s[4:5] offset:33
	s_addc_u32 s1, s1, 0
	v_or_b32_e32 v56, 0x180, v46
	s_mov_b32 s34, 0
	s_mov_b32 s40, 0
	;; [unrolled: 1-line block ×3, first 2 shown]
	s_mov_b32 s4, exec_lo
	s_waitcnt vmcnt(0)
	v_readfirstlane_b32 s33, v1
	v_lshrrev_b32_sdwa v47, v0, v1 dst_sel:DWORD dst_unused:UNUSED_PAD src0_sel:DWORD src1_sel:WORD_0
	s_waitcnt lgkmcnt(0)
	v_cmpx_le_i32_e64 s41, v56
	s_xor_b32 s35, exec_lo, s4
	s_cbranch_execz .LBB9_512
; %bb.1:
	s_mov_b32 s4, -1
	s_mov_b32 s43, 0
	s_mov_b32 s42, exec_lo
	v_cmpx_gt_i32_e64 s41, v46
                                        ; implicit-def: $vgpr2_vgpr3
	s_cbranch_execz .LBB9_124
; %bb.2:
	v_mov_b32_e32 v0, s38
	v_mov_b32_e32 v1, s39
	;; [unrolled: 1-line block ×5, first 2 shown]
	s_getpc_b64 s[4:5]
	s_add_u32 s4, s4, _ZN2at6native6invokeIZZZNS0_12_GLOBAL__N_119airy_ai_kernel_cudaERNS_18TensorIteratorBaseEENKUlvE_clEvENKUlvE_clEvEUldE_i15function_traitsIS7_EEENT1_11result_typeERKT_PrKPcPKT0_PKN3c1010ScalarTypeEi@rel32@lo+4
	s_addc_u32 s5, s5, _ZN2at6native6invokeIZZZNS0_12_GLOBAL__N_119airy_ai_kernel_cudaERNS_18TensorIteratorBaseEENKUlvE_clEvENKUlvE_clEvEUldE_i15function_traitsIS7_EEENT1_11result_typeERKT_PrKPcPKT0_PKN3c1010ScalarTypeEi@rel32@hi+12
	s_swappc_b64 s[30:31], s[4:5]
	v_mul_lo_u32 v2, v46, s28
	s_and_b32 s5, s33, 0xff
	s_cmp_lt_i32 s5, 11
	v_ashrrev_i32_e32 v3, 31, v2
	v_add_co_u32 v4, vcc_lo, s36, v2
	v_add_co_ci_u32_e64 v5, null, s37, v3, vcc_lo
	s_cbranch_scc1 .LBB9_9
; %bb.3:
	s_and_b32 s6, 0xffff, s5
	s_cmp_gt_i32 s6, 25
	s_cbranch_scc0 .LBB9_12
; %bb.4:
	s_cmp_gt_i32 s6, 28
	s_cbranch_scc0 .LBB9_13
; %bb.5:
	;; [unrolled: 3-line block ×4, first 2 shown]
	s_mov_b32 s8, 0
	s_mov_b32 s4, -1
	s_cmp_eq_u32 s6, 46
	s_mov_b32 s7, 0
	s_cbranch_scc0 .LBB9_16
; %bb.8:
	v_cvt_f32_f64_e32 v2, v[0:1]
	s_mov_b32 s7, -1
	s_mov_b32 s4, 0
	v_bfe_u32 v3, v2, 16, 1
	v_cmp_o_f32_e32 vcc_lo, v2, v2
	v_add3_u32 v2, v2, v3, 0x7fff
	v_mov_b32_e32 v3, 0x7fc0
	v_cndmask_b32_sdwa v2, v3, v2, vcc_lo dst_sel:DWORD dst_unused:UNUSED_PAD src0_sel:DWORD src1_sel:WORD_1
	global_store_dword v[4:5], v2, off
	s_branch .LBB9_16
.LBB9_9:
	s_mov_b32 s4, 0
	s_mov_b32 s7, 0
	s_cbranch_execnz .LBB9_84
.LBB9_10:
	s_andn2_b32 vcc_lo, exec_lo, s7
	s_cbranch_vccnz .LBB9_122
.LBB9_11:
	v_add_nc_u32_e32 v46, 0x80, v46
	s_mov_b32 s5, -1
	s_branch .LBB9_123
.LBB9_12:
	s_mov_b32 s4, 0
	s_mov_b32 s7, 0
	s_cbranch_execnz .LBB9_43
	s_branch .LBB9_83
.LBB9_13:
	s_mov_b32 s8, -1
	s_mov_b32 s4, 0
	s_mov_b32 s7, 0
	s_branch .LBB9_26
.LBB9_14:
	s_mov_b32 s8, -1
	s_mov_b32 s4, 0
	s_mov_b32 s7, 0
	s_branch .LBB9_22
.LBB9_15:
	s_mov_b32 s8, -1
	s_mov_b32 s4, 0
	s_mov_b32 s7, 0
.LBB9_16:
	s_and_b32 vcc_lo, exec_lo, s8
	s_cbranch_vccz .LBB9_21
; %bb.17:
	s_cmp_eq_u32 s6, 44
	s_mov_b32 s4, -1
	s_cbranch_scc0 .LBB9_21
; %bb.18:
	v_cvt_f32_f64_e32 v2, v[0:1]
	v_mov_b32_e32 v3, 0xff
	s_mov_b32 s7, exec_lo
	v_bfe_u32 v6, v2, 23, 8
	v_cmpx_ne_u32_e32 0xff, v6
	s_cbranch_execz .LBB9_20
; %bb.19:
	v_and_b32_e32 v3, 0x400000, v2
	v_and_or_b32 v6, 0x3fffff, v2, v6
	v_lshrrev_b32_e32 v2, 23, v2
	v_cmp_ne_u32_e32 vcc_lo, 0, v3
	v_cmp_ne_u32_e64 s4, 0, v6
	s_and_b32 s4, vcc_lo, s4
	v_cndmask_b32_e64 v3, 0, 1, s4
	v_add_nc_u32_e32 v3, v2, v3
.LBB9_20:
	s_or_b32 exec_lo, exec_lo, s7
	s_mov_b32 s7, -1
	s_mov_b32 s4, 0
	global_store_byte v[4:5], v3, off
.LBB9_21:
	s_mov_b32 s8, 0
.LBB9_22:
	s_and_b32 vcc_lo, exec_lo, s8
	s_cbranch_vccz .LBB9_25
; %bb.23:
	s_cmp_eq_u32 s6, 29
	s_mov_b32 s4, -1
	s_cbranch_scc0 .LBB9_25
; %bb.24:
	v_trunc_f64_e32 v[2:3], v[0:1]
	s_mov_b32 s7, -1
	s_mov_b32 s4, 0
	s_mov_b32 s8, 0
	v_ldexp_f64 v[6:7], v[2:3], 0xffffffe0
	v_floor_f64_e32 v[6:7], v[6:7]
	v_fma_f64 v[2:3], 0xc1f00000, v[6:7], v[2:3]
	v_cvt_u32_f64_e32 v7, v[6:7]
	v_cvt_u32_f64_e32 v6, v[2:3]
	global_store_dwordx2 v[4:5], v[6:7], off
	s_branch .LBB9_26
.LBB9_25:
	s_mov_b32 s8, 0
.LBB9_26:
	s_and_b32 vcc_lo, exec_lo, s8
	s_cbranch_vccz .LBB9_42
; %bb.27:
	s_cmp_lt_i32 s6, 27
	s_mov_b32 s7, -1
	s_cbranch_scc1 .LBB9_33
; %bb.28:
	v_cvt_u32_f64_e32 v2, v[0:1]
	s_cmp_gt_i32 s6, 27
	s_cbranch_scc0 .LBB9_30
; %bb.29:
	s_mov_b32 s7, 0
	global_store_dword v[4:5], v2, off
.LBB9_30:
	s_andn2_b32 vcc_lo, exec_lo, s7
	s_cbranch_vccnz .LBB9_32
; %bb.31:
	global_store_short v[4:5], v2, off
.LBB9_32:
	s_mov_b32 s7, 0
.LBB9_33:
	s_andn2_b32 vcc_lo, exec_lo, s7
	s_cbranch_vccnz .LBB9_41
; %bb.34:
	v_cvt_f32_f64_e32 v2, v[0:1]
	v_mov_b32_e32 v6, 0x80
	s_mov_b32 s7, exec_lo
	v_and_b32_e32 v3, 0x7fffffff, v2
	v_cmpx_gt_u32_e32 0x43800000, v3
	s_cbranch_execz .LBB9_40
; %bb.35:
	v_cmp_lt_u32_e32 vcc_lo, 0x3bffffff, v3
	s_mov_b32 s8, 0
                                        ; implicit-def: $vgpr3
	s_and_saveexec_b32 s9, vcc_lo
	s_xor_b32 s9, exec_lo, s9
	s_cbranch_execz .LBB9_141
; %bb.36:
	v_bfe_u32 v3, v2, 20, 1
	s_mov_b32 s8, exec_lo
	v_add3_u32 v3, v2, v3, 0x487ffff
	v_lshrrev_b32_e32 v3, 20, v3
	s_andn2_saveexec_b32 s9, s9
	s_cbranch_execnz .LBB9_142
.LBB9_37:
	s_or_b32 exec_lo, exec_lo, s9
	v_mov_b32_e32 v6, 0
	s_and_saveexec_b32 s9, s8
.LBB9_38:
	v_lshrrev_b32_e32 v2, 24, v2
	v_and_or_b32 v6, 0x80, v2, v3
.LBB9_39:
	s_or_b32 exec_lo, exec_lo, s9
.LBB9_40:
	s_or_b32 exec_lo, exec_lo, s7
	global_store_byte v[4:5], v6, off
.LBB9_41:
	s_mov_b32 s7, -1
.LBB9_42:
	s_branch .LBB9_83
.LBB9_43:
	s_cmp_gt_i32 s6, 22
	s_mov_b32 s8, -1
	s_cbranch_scc0 .LBB9_75
; %bb.44:
	s_cmp_lt_i32 s6, 24
	s_mov_b32 s7, -1
	s_cbranch_scc1 .LBB9_64
; %bb.45:
	s_cmp_gt_i32 s6, 24
	s_cbranch_scc0 .LBB9_53
; %bb.46:
	v_cvt_f32_f64_e32 v2, v[0:1]
	v_mov_b32_e32 v6, 0x80
	s_mov_b32 s7, exec_lo
	v_and_b32_e32 v3, 0x7fffffff, v2
	v_cmpx_gt_u32_e32 0x47800000, v3
	s_cbranch_execz .LBB9_52
; %bb.47:
	v_cmp_lt_u32_e32 vcc_lo, 0x37ffffff, v3
	s_mov_b32 s8, 0
                                        ; implicit-def: $vgpr3
	s_and_saveexec_b32 s9, vcc_lo
	s_xor_b32 s9, exec_lo, s9
	s_cbranch_execz .LBB9_144
; %bb.48:
	v_bfe_u32 v3, v2, 21, 1
	s_mov_b32 s8, exec_lo
	v_add3_u32 v3, v2, v3, 0x88fffff
	v_lshrrev_b32_e32 v3, 21, v3
	s_andn2_saveexec_b32 s9, s9
	s_cbranch_execnz .LBB9_145
.LBB9_49:
	s_or_b32 exec_lo, exec_lo, s9
	v_mov_b32_e32 v6, 0
	s_and_saveexec_b32 s9, s8
.LBB9_50:
	v_lshrrev_b32_e32 v2, 24, v2
	v_and_or_b32 v6, 0x80, v2, v3
.LBB9_51:
	s_or_b32 exec_lo, exec_lo, s9
.LBB9_52:
	s_or_b32 exec_lo, exec_lo, s7
	s_mov_b32 s7, 0
	global_store_byte v[4:5], v6, off
.LBB9_53:
	s_and_b32 vcc_lo, exec_lo, s7
	s_cbranch_vccz .LBB9_63
; %bb.54:
	v_cvt_f32_f64_e32 v2, v[0:1]
	s_mov_b32 s7, exec_lo
                                        ; implicit-def: $vgpr3
	v_and_b32_e32 v6, 0x7fffffff, v2
	v_cmpx_gt_u32_e32 0x43f00000, v6
	s_xor_b32 s7, exec_lo, s7
	s_cbranch_execz .LBB9_60
; %bb.55:
	s_mov_b32 s8, exec_lo
                                        ; implicit-def: $vgpr3
	v_cmpx_lt_u32_e32 0x3c7fffff, v6
	s_xor_b32 s8, exec_lo, s8
; %bb.56:
	v_bfe_u32 v3, v2, 20, 1
	v_add3_u32 v3, v2, v3, 0x407ffff
	v_and_b32_e32 v6, 0xff00000, v3
	v_lshrrev_b32_e32 v3, 20, v3
	v_cmp_ne_u32_e32 vcc_lo, 0x7f00000, v6
	v_cndmask_b32_e32 v3, 0x7e, v3, vcc_lo
; %bb.57:
	s_andn2_saveexec_b32 s8, s8
; %bb.58:
	v_add_f32_e64 v3, 0x46800000, |v2|
; %bb.59:
	s_or_b32 exec_lo, exec_lo, s8
                                        ; implicit-def: $vgpr6
.LBB9_60:
	s_andn2_saveexec_b32 s7, s7
; %bb.61:
	v_mov_b32_e32 v3, 0x7f
	v_cmp_lt_u32_e32 vcc_lo, 0x7f800000, v6
	v_cndmask_b32_e32 v3, 0x7e, v3, vcc_lo
; %bb.62:
	s_or_b32 exec_lo, exec_lo, s7
	v_lshrrev_b32_e32 v2, 24, v2
	v_and_or_b32 v2, 0x80, v2, v3
	global_store_byte v[4:5], v2, off
.LBB9_63:
	s_mov_b32 s7, 0
.LBB9_64:
	s_andn2_b32 vcc_lo, exec_lo, s7
	s_cbranch_vccnz .LBB9_74
; %bb.65:
	v_cvt_f32_f64_e32 v2, v[0:1]
	s_mov_b32 s7, exec_lo
                                        ; implicit-def: $vgpr3
	v_and_b32_e32 v6, 0x7fffffff, v2
	v_cmpx_gt_u32_e32 0x47800000, v6
	s_xor_b32 s7, exec_lo, s7
	s_cbranch_execz .LBB9_71
; %bb.66:
	s_mov_b32 s8, exec_lo
                                        ; implicit-def: $vgpr3
	v_cmpx_lt_u32_e32 0x387fffff, v6
	s_xor_b32 s8, exec_lo, s8
; %bb.67:
	v_bfe_u32 v3, v2, 21, 1
	v_add3_u32 v3, v2, v3, 0x80fffff
	v_lshrrev_b32_e32 v3, 21, v3
; %bb.68:
	s_andn2_saveexec_b32 s8, s8
; %bb.69:
	v_add_f32_e64 v3, 0x43000000, |v2|
; %bb.70:
	s_or_b32 exec_lo, exec_lo, s8
                                        ; implicit-def: $vgpr6
.LBB9_71:
	s_andn2_saveexec_b32 s7, s7
; %bb.72:
	v_mov_b32_e32 v3, 0x7f
	v_cmp_lt_u32_e32 vcc_lo, 0x7f800000, v6
	v_cndmask_b32_e32 v3, 0x7c, v3, vcc_lo
; %bb.73:
	s_or_b32 exec_lo, exec_lo, s7
	v_lshrrev_b32_e32 v2, 24, v2
	v_and_or_b32 v2, 0x80, v2, v3
	global_store_byte v[4:5], v2, off
.LBB9_74:
	s_mov_b32 s8, 0
	s_mov_b32 s7, -1
.LBB9_75:
	s_andn2_b32 vcc_lo, exec_lo, s8
	s_cbranch_vccnz .LBB9_83
; %bb.76:
	s_cmp_gt_i32 s6, 14
	s_mov_b32 s8, -1
	s_cbranch_scc0 .LBB9_80
; %bb.77:
	s_cmp_eq_u32 s6, 15
	s_mov_b32 s4, -1
	s_cbranch_scc0 .LBB9_79
; %bb.78:
	v_cvt_f32_f64_e32 v2, v[0:1]
	s_mov_b32 s7, -1
	s_mov_b32 s4, 0
	v_bfe_u32 v3, v2, 16, 1
	v_cmp_o_f32_e32 vcc_lo, v2, v2
	v_add3_u32 v2, v2, v3, 0x7fff
	v_mov_b32_e32 v3, 0x7fc0
	v_cndmask_b32_sdwa v2, v3, v2, vcc_lo dst_sel:DWORD dst_unused:UNUSED_PAD src0_sel:DWORD src1_sel:WORD_1
	global_store_short v[4:5], v2, off
.LBB9_79:
	s_mov_b32 s8, 0
.LBB9_80:
	s_and_b32 vcc_lo, exec_lo, s8
	s_cbranch_vccz .LBB9_83
; %bb.81:
	s_cmp_eq_u32 s6, 11
	s_mov_b32 s4, -1
	s_cbranch_scc0 .LBB9_83
; %bb.82:
	v_cmp_neq_f64_e32 vcc_lo, 0, v[0:1]
	s_mov_b32 s7, -1
	s_mov_b32 s4, 0
	v_cndmask_b32_e64 v2, 0, 1, vcc_lo
	global_store_byte v[4:5], v2, off
.LBB9_83:
	s_branch .LBB9_10
.LBB9_84:
	s_and_b32 s5, 0xffff, s5
	s_mov_b32 s6, -1
	s_cmp_lt_i32 s5, 5
	s_cbranch_scc1 .LBB9_105
; %bb.85:
	s_cmp_lt_i32 s5, 8
	s_cbranch_scc1 .LBB9_95
; %bb.86:
	;; [unrolled: 3-line block ×3, first 2 shown]
	s_cmp_gt_i32 s5, 9
	s_cbranch_scc0 .LBB9_89
; %bb.88:
	v_mov_b32_e32 v2, 0
	s_mov_b32 s6, 0
	v_mov_b32_e32 v3, v2
	global_store_dwordx4 v[4:5], v[0:3], off
.LBB9_89:
	s_andn2_b32 vcc_lo, exec_lo, s6
	s_cbranch_vccnz .LBB9_91
; %bb.90:
	v_cvt_f32_f64_e32 v2, v[0:1]
	v_mov_b32_e32 v3, 0
	global_store_dwordx2 v[4:5], v[2:3], off
.LBB9_91:
	s_mov_b32 s6, 0
.LBB9_92:
	s_andn2_b32 vcc_lo, exec_lo, s6
	s_cbranch_vccnz .LBB9_94
; %bb.93:
	v_and_or_b32 v2, 0x1ff, v1, v0
	v_lshrrev_b32_e32 v3, 8, v1
	v_bfe_u32 v6, v1, 20, 11
	v_cmp_ne_u32_e32 vcc_lo, 0, v2
	v_sub_nc_u32_e32 v7, 0x3f1, v6
	v_add_nc_u32_e32 v6, 0xfffffc10, v6
	v_cndmask_b32_e64 v2, 0, 1, vcc_lo
	v_and_or_b32 v2, 0xffe, v3, v2
	v_med3_i32 v3, v7, 0, 13
	v_or_b32_e32 v7, 0x1000, v2
	v_lshrrev_b32_e32 v8, v3, v7
	v_lshlrev_b32_e32 v3, v3, v8
	v_cmp_ne_u32_e32 vcc_lo, v3, v7
	v_lshl_or_b32 v7, v6, 12, v2
	v_cndmask_b32_e64 v3, 0, 1, vcc_lo
	v_cmp_gt_i32_e32 vcc_lo, 1, v6
	v_or_b32_e32 v3, v8, v3
	v_cndmask_b32_e32 v3, v7, v3, vcc_lo
	v_and_b32_e32 v7, 7, v3
	v_lshrrev_b32_e32 v3, 2, v3
	v_cmp_lt_i32_e32 vcc_lo, 5, v7
	v_cndmask_b32_e64 v8, 0, 1, vcc_lo
	v_cmp_eq_u32_e32 vcc_lo, 3, v7
	v_cndmask_b32_e64 v7, 0, 1, vcc_lo
	v_cmp_ne_u32_e32 vcc_lo, 0, v2
	v_or_b32_e32 v7, v7, v8
	v_mov_b32_e32 v8, 0x7e00
	v_add_nc_u32_e32 v3, v3, v7
	v_cndmask_b32_e32 v2, 0x7c00, v8, vcc_lo
	v_cmp_gt_i32_e32 vcc_lo, 31, v6
	v_cndmask_b32_e32 v3, 0x7c00, v3, vcc_lo
	v_cmp_eq_u32_e32 vcc_lo, 0x40f, v6
	v_cndmask_b32_e32 v2, v3, v2, vcc_lo
	v_lshrrev_b32_e32 v3, 16, v1
	v_and_or_b32 v2, 0x8000, v3, v2
	v_and_b32_e32 v2, 0xffff, v2
	global_store_dword v[4:5], v2, off
.LBB9_94:
	s_mov_b32 s6, 0
.LBB9_95:
	s_andn2_b32 vcc_lo, exec_lo, s6
	s_cbranch_vccnz .LBB9_104
; %bb.96:
	s_cmp_lt_i32 s5, 6
	s_mov_b32 s6, -1
	s_cbranch_scc1 .LBB9_102
; %bb.97:
	s_cmp_gt_i32 s5, 6
	s_cbranch_scc0 .LBB9_99
; %bb.98:
	s_mov_b32 s6, 0
	global_store_dwordx2 v[4:5], v[0:1], off
.LBB9_99:
	s_andn2_b32 vcc_lo, exec_lo, s6
	s_cbranch_vccnz .LBB9_101
; %bb.100:
	v_cvt_f32_f64_e32 v2, v[0:1]
	global_store_dword v[4:5], v2, off
.LBB9_101:
	s_mov_b32 s6, 0
.LBB9_102:
	s_andn2_b32 vcc_lo, exec_lo, s6
	s_cbranch_vccnz .LBB9_104
; %bb.103:
	v_and_or_b32 v2, 0x1ff, v1, v0
	v_lshrrev_b32_e32 v3, 8, v1
	v_bfe_u32 v6, v1, 20, 11
	v_cmp_ne_u32_e32 vcc_lo, 0, v2
	v_sub_nc_u32_e32 v7, 0x3f1, v6
	v_add_nc_u32_e32 v6, 0xfffffc10, v6
	v_cndmask_b32_e64 v2, 0, 1, vcc_lo
	v_and_or_b32 v2, 0xffe, v3, v2
	v_med3_i32 v3, v7, 0, 13
	v_or_b32_e32 v7, 0x1000, v2
	v_lshrrev_b32_e32 v8, v3, v7
	v_lshlrev_b32_e32 v3, v3, v8
	v_cmp_ne_u32_e32 vcc_lo, v3, v7
	v_lshl_or_b32 v7, v6, 12, v2
	v_cndmask_b32_e64 v3, 0, 1, vcc_lo
	v_cmp_gt_i32_e32 vcc_lo, 1, v6
	v_or_b32_e32 v3, v8, v3
	v_cndmask_b32_e32 v3, v7, v3, vcc_lo
	v_and_b32_e32 v7, 7, v3
	v_lshrrev_b32_e32 v3, 2, v3
	v_cmp_lt_i32_e32 vcc_lo, 5, v7
	v_cndmask_b32_e64 v8, 0, 1, vcc_lo
	v_cmp_eq_u32_e32 vcc_lo, 3, v7
	v_cndmask_b32_e64 v7, 0, 1, vcc_lo
	v_cmp_ne_u32_e32 vcc_lo, 0, v2
	v_or_b32_e32 v7, v7, v8
	v_mov_b32_e32 v8, 0x7e00
	v_add_nc_u32_e32 v3, v3, v7
	v_cndmask_b32_e32 v2, 0x7c00, v8, vcc_lo
	v_cmp_gt_i32_e32 vcc_lo, 31, v6
	v_cndmask_b32_e32 v3, 0x7c00, v3, vcc_lo
	v_cmp_eq_u32_e32 vcc_lo, 0x40f, v6
	v_cndmask_b32_e32 v2, v3, v2, vcc_lo
	v_lshrrev_b32_e32 v3, 16, v1
	v_and_or_b32 v2, 0x8000, v3, v2
	global_store_short v[4:5], v2, off
.LBB9_104:
	s_mov_b32 s6, 0
.LBB9_105:
	s_andn2_b32 vcc_lo, exec_lo, s6
	s_cbranch_vccnz .LBB9_121
; %bb.106:
	s_cmp_lt_i32 s5, 2
	s_mov_b32 s6, -1
	s_cbranch_scc1 .LBB9_116
; %bb.107:
	s_cmp_lt_i32 s5, 3
	s_cbranch_scc1 .LBB9_113
; %bb.108:
	s_cmp_gt_i32 s5, 3
	s_cbranch_scc0 .LBB9_110
; %bb.109:
	v_trunc_f64_e32 v[2:3], v[0:1]
	s_mov_b32 s6, 0
	v_ldexp_f64 v[6:7], v[2:3], 0xffffffe0
	v_floor_f64_e32 v[6:7], v[6:7]
	v_fma_f64 v[2:3], 0xc1f00000, v[6:7], v[2:3]
	v_cvt_i32_f64_e32 v7, v[6:7]
	v_cvt_u32_f64_e32 v6, v[2:3]
	global_store_dwordx2 v[4:5], v[6:7], off
.LBB9_110:
	s_andn2_b32 vcc_lo, exec_lo, s6
	s_cbranch_vccnz .LBB9_112
; %bb.111:
	v_cvt_i32_f64_e32 v2, v[0:1]
	global_store_dword v[4:5], v2, off
.LBB9_112:
	s_mov_b32 s6, 0
.LBB9_113:
	s_andn2_b32 vcc_lo, exec_lo, s6
	s_cbranch_vccnz .LBB9_115
; %bb.114:
	v_cvt_i32_f64_e32 v2, v[0:1]
	global_store_short v[4:5], v2, off
.LBB9_115:
	s_mov_b32 s6, 0
.LBB9_116:
	s_andn2_b32 vcc_lo, exec_lo, s6
	s_cbranch_vccnz .LBB9_121
; %bb.117:
	s_cmp_gt_i32 s5, 0
	s_mov_b32 s5, -1
	s_cbranch_scc0 .LBB9_119
; %bb.118:
	v_cvt_i32_f64_e32 v2, v[0:1]
	s_mov_b32 s5, 0
	global_store_byte v[4:5], v2, off
.LBB9_119:
	s_andn2_b32 vcc_lo, exec_lo, s5
	s_cbranch_vccnz .LBB9_121
; %bb.120:
	v_trunc_f64_e32 v[0:1], v[0:1]
	v_ldexp_f64 v[2:3], v[0:1], 0xffffffe0
	v_floor_f64_e32 v[2:3], v[2:3]
	v_fma_f64 v[0:1], 0xc1f00000, v[2:3], v[0:1]
	v_cvt_u32_f64_e32 v0, v[0:1]
	global_store_byte v[4:5], v0, off
.LBB9_121:
	s_branch .LBB9_11
.LBB9_122:
	s_mov_b32 s5, 0
                                        ; implicit-def: $vgpr46
.LBB9_123:
	s_and_b32 s40, s4, exec_lo
	s_orn2_b32 s4, s5, exec_lo
.LBB9_124:
	s_or_b32 exec_lo, exec_lo, s42
	s_mov_b32 s6, 0
                                        ; implicit-def: $sgpr5
                                        ; implicit-def: $vgpr4_vgpr5
                                        ; implicit-def: $vgpr0_vgpr1
	s_and_saveexec_b32 s42, s4
	s_cbranch_execz .LBB9_133
; %bb.125:
	s_mov_b32 s7, -1
	s_mov_b32 s43, s40
	s_mov_b32 s44, exec_lo
	v_cmpx_gt_i32_e64 s41, v46
	s_cbranch_execz .LBB9_256
; %bb.126:
	v_mov_b32_e32 v0, s38
	v_mov_b32_e32 v1, s39
	;; [unrolled: 1-line block ×5, first 2 shown]
	s_getpc_b64 s[4:5]
	s_add_u32 s4, s4, _ZN2at6native6invokeIZZZNS0_12_GLOBAL__N_119airy_ai_kernel_cudaERNS_18TensorIteratorBaseEENKUlvE_clEvENKUlvE_clEvEUldE_i15function_traitsIS7_EEENT1_11result_typeERKT_PrKPcPKT0_PKN3c1010ScalarTypeEi@rel32@lo+4
	s_addc_u32 s5, s5, _ZN2at6native6invokeIZZZNS0_12_GLOBAL__N_119airy_ai_kernel_cudaERNS_18TensorIteratorBaseEENKUlvE_clEvENKUlvE_clEvEUldE_i15function_traitsIS7_EEENT1_11result_typeERKT_PrKPcPKT0_PKN3c1010ScalarTypeEi@rel32@hi+12
	s_swappc_b64 s[30:31], s[4:5]
	v_mul_lo_u32 v2, v46, s28
	s_and_b32 s5, s33, 0xff
	s_cmp_lt_i32 s5, 11
	v_ashrrev_i32_e32 v3, 31, v2
	v_add_co_u32 v4, vcc_lo, s36, v2
	v_add_co_ci_u32_e64 v5, null, s37, v3, vcc_lo
	s_cbranch_scc1 .LBB9_136
; %bb.127:
	s_and_b32 s6, 0xffff, s5
	s_cmp_gt_i32 s6, 25
	s_cbranch_scc0 .LBB9_139
; %bb.128:
	s_cmp_gt_i32 s6, 28
	s_cbranch_scc0 .LBB9_140
; %bb.129:
	;; [unrolled: 3-line block ×4, first 2 shown]
	s_mov_b32 s8, 0
	s_mov_b32 s4, -1
	s_cmp_eq_u32 s6, 46
	s_mov_b32 s7, 0
	s_cbranch_scc0 .LBB9_147
; %bb.132:
	v_cvt_f32_f64_e32 v2, v[0:1]
	s_mov_b32 s7, -1
	s_mov_b32 s4, 0
	v_bfe_u32 v3, v2, 16, 1
	v_cmp_o_f32_e32 vcc_lo, v2, v2
	v_add3_u32 v2, v2, v3, 0x7fff
	v_mov_b32_e32 v3, 0x7fc0
	v_cndmask_b32_sdwa v2, v3, v2, vcc_lo dst_sel:DWORD dst_unused:UNUSED_PAD src0_sel:DWORD src1_sel:WORD_1
	global_store_dword v[4:5], v2, off
	s_branch .LBB9_147
.LBB9_133:
	s_or_b32 exec_lo, exec_lo, s42
	s_mov_b32 s4, 0
	s_and_saveexec_b32 s7, s40
	s_cbranch_execnz .LBB9_472
.LBB9_134:
	s_or_b32 exec_lo, exec_lo, s7
	s_and_saveexec_b32 s7, s43
	s_xor_b32 s7, exec_lo, s7
	s_cbranch_execz .LBB9_473
.LBB9_135:
	v_cmp_neq_f64_e32 vcc_lo, 0, v[0:1]
	v_cndmask_b32_e64 v2, 0, 1, vcc_lo
	global_store_byte v[4:5], v2, off
	s_or_b32 exec_lo, exec_lo, s7
	s_and_saveexec_b32 s7, s6
	s_xor_b32 s6, exec_lo, s7
	s_cbranch_execz .LBB9_511
	s_branch .LBB9_474
.LBB9_136:
	s_mov_b32 s7, 0
	s_mov_b32 s4, s40
	s_cbranch_execnz .LBB9_216
.LBB9_137:
	s_andn2_b32 vcc_lo, exec_lo, s7
	s_cbranch_vccnz .LBB9_254
.LBB9_138:
	v_add_nc_u32_e32 v46, 0x80, v46
	s_mov_b32 s5, -1
	s_branch .LBB9_255
.LBB9_139:
	s_mov_b32 s8, -1
	s_mov_b32 s7, 0
	s_mov_b32 s4, s40
	s_branch .LBB9_174
.LBB9_140:
	s_mov_b32 s8, -1
	s_mov_b32 s7, 0
	s_mov_b32 s4, s40
	s_branch .LBB9_157
.LBB9_141:
	s_andn2_saveexec_b32 s9, s9
	s_cbranch_execz .LBB9_37
.LBB9_142:
	v_add_f32_e64 v3, 0x46000000, |v2|
	s_andn2_b32 s8, s8, exec_lo
	v_and_b32_e32 v3, 0xff, v3
	v_cmp_ne_u32_e32 vcc_lo, 0, v3
	s_and_b32 s10, vcc_lo, exec_lo
	s_or_b32 s8, s8, s10
	s_or_b32 exec_lo, exec_lo, s9
	v_mov_b32_e32 v6, 0
	s_and_saveexec_b32 s9, s8
	s_cbranch_execnz .LBB9_38
	s_branch .LBB9_39
.LBB9_143:
	s_mov_b32 s8, -1
	s_mov_b32 s7, 0
	s_mov_b32 s4, s40
	s_branch .LBB9_153
.LBB9_144:
	s_andn2_saveexec_b32 s9, s9
	s_cbranch_execz .LBB9_49
.LBB9_145:
	v_add_f32_e64 v3, 0x42800000, |v2|
	s_andn2_b32 s8, s8, exec_lo
	v_and_b32_e32 v3, 0xff, v3
	v_cmp_ne_u32_e32 vcc_lo, 0, v3
	s_and_b32 s10, vcc_lo, exec_lo
	s_or_b32 s8, s8, s10
	s_or_b32 exec_lo, exec_lo, s9
	v_mov_b32_e32 v6, 0
	s_and_saveexec_b32 s9, s8
	s_cbranch_execnz .LBB9_50
	s_branch .LBB9_51
.LBB9_146:
	s_mov_b32 s8, -1
	s_mov_b32 s7, 0
	s_mov_b32 s4, s40
.LBB9_147:
	s_and_b32 vcc_lo, exec_lo, s8
	s_cbranch_vccz .LBB9_152
; %bb.148:
	s_cmp_eq_u32 s6, 44
	s_mov_b32 s4, -1
	s_cbranch_scc0 .LBB9_152
; %bb.149:
	v_cvt_f32_f64_e32 v2, v[0:1]
	v_mov_b32_e32 v3, 0xff
	s_mov_b32 s7, exec_lo
	v_bfe_u32 v6, v2, 23, 8
	v_cmpx_ne_u32_e32 0xff, v6
	s_cbranch_execz .LBB9_151
; %bb.150:
	v_and_b32_e32 v3, 0x400000, v2
	v_and_or_b32 v6, 0x3fffff, v2, v6
	v_lshrrev_b32_e32 v2, 23, v2
	v_cmp_ne_u32_e32 vcc_lo, 0, v3
	v_cmp_ne_u32_e64 s4, 0, v6
	s_and_b32 s4, vcc_lo, s4
	v_cndmask_b32_e64 v3, 0, 1, s4
	v_add_nc_u32_e32 v3, v2, v3
.LBB9_151:
	s_or_b32 exec_lo, exec_lo, s7
	s_mov_b32 s7, -1
	s_mov_b32 s4, 0
	global_store_byte v[4:5], v3, off
.LBB9_152:
	s_mov_b32 s8, 0
.LBB9_153:
	s_and_b32 vcc_lo, exec_lo, s8
	s_cbranch_vccz .LBB9_156
; %bb.154:
	s_cmp_eq_u32 s6, 29
	s_mov_b32 s4, -1
	s_cbranch_scc0 .LBB9_156
; %bb.155:
	v_trunc_f64_e32 v[2:3], v[0:1]
	s_mov_b32 s7, -1
	s_mov_b32 s4, 0
	s_mov_b32 s8, 0
	v_ldexp_f64 v[6:7], v[2:3], 0xffffffe0
	v_floor_f64_e32 v[6:7], v[6:7]
	v_fma_f64 v[2:3], 0xc1f00000, v[6:7], v[2:3]
	v_cvt_u32_f64_e32 v7, v[6:7]
	v_cvt_u32_f64_e32 v6, v[2:3]
	global_store_dwordx2 v[4:5], v[6:7], off
	s_branch .LBB9_157
.LBB9_156:
	s_mov_b32 s8, 0
.LBB9_157:
	s_and_b32 vcc_lo, exec_lo, s8
	s_cbranch_vccz .LBB9_173
; %bb.158:
	s_cmp_lt_i32 s6, 27
	s_mov_b32 s7, -1
	s_cbranch_scc1 .LBB9_164
; %bb.159:
	v_cvt_u32_f64_e32 v2, v[0:1]
	s_cmp_gt_i32 s6, 27
	s_cbranch_scc0 .LBB9_161
; %bb.160:
	s_mov_b32 s7, 0
	global_store_dword v[4:5], v2, off
.LBB9_161:
	s_andn2_b32 vcc_lo, exec_lo, s7
	s_cbranch_vccnz .LBB9_163
; %bb.162:
	global_store_short v[4:5], v2, off
.LBB9_163:
	s_mov_b32 s7, 0
.LBB9_164:
	s_andn2_b32 vcc_lo, exec_lo, s7
	s_cbranch_vccnz .LBB9_172
; %bb.165:
	v_cvt_f32_f64_e32 v2, v[0:1]
	v_mov_b32_e32 v6, 0x80
	s_mov_b32 s7, exec_lo
	v_and_b32_e32 v3, 0x7fffffff, v2
	v_cmpx_gt_u32_e32 0x43800000, v3
	s_cbranch_execz .LBB9_171
; %bb.166:
	v_cmp_lt_u32_e32 vcc_lo, 0x3bffffff, v3
	s_mov_b32 s8, 0
                                        ; implicit-def: $vgpr3
	s_and_saveexec_b32 s9, vcc_lo
	s_xor_b32 s9, exec_lo, s9
	s_cbranch_execz .LBB9_268
; %bb.167:
	v_bfe_u32 v3, v2, 20, 1
	s_mov_b32 s8, exec_lo
	v_add3_u32 v3, v2, v3, 0x487ffff
	v_lshrrev_b32_e32 v3, 20, v3
	s_andn2_saveexec_b32 s9, s9
	s_cbranch_execnz .LBB9_269
.LBB9_168:
	s_or_b32 exec_lo, exec_lo, s9
	v_mov_b32_e32 v6, 0
	s_and_saveexec_b32 s9, s8
.LBB9_169:
	v_lshrrev_b32_e32 v2, 24, v2
	v_and_or_b32 v6, 0x80, v2, v3
.LBB9_170:
	s_or_b32 exec_lo, exec_lo, s9
.LBB9_171:
	s_or_b32 exec_lo, exec_lo, s7
	global_store_byte v[4:5], v6, off
.LBB9_172:
	s_mov_b32 s7, -1
.LBB9_173:
	s_mov_b32 s8, 0
.LBB9_174:
	s_and_b32 vcc_lo, exec_lo, s8
	s_cbranch_vccz .LBB9_215
; %bb.175:
	s_cmp_gt_i32 s6, 22
	s_mov_b32 s8, -1
	s_cbranch_scc0 .LBB9_207
; %bb.176:
	s_cmp_lt_i32 s6, 24
	s_mov_b32 s7, -1
	s_cbranch_scc1 .LBB9_196
; %bb.177:
	s_cmp_gt_i32 s6, 24
	s_cbranch_scc0 .LBB9_185
; %bb.178:
	v_cvt_f32_f64_e32 v2, v[0:1]
	v_mov_b32_e32 v6, 0x80
	s_mov_b32 s7, exec_lo
	v_and_b32_e32 v3, 0x7fffffff, v2
	v_cmpx_gt_u32_e32 0x47800000, v3
	s_cbranch_execz .LBB9_184
; %bb.179:
	v_cmp_lt_u32_e32 vcc_lo, 0x37ffffff, v3
	s_mov_b32 s8, 0
                                        ; implicit-def: $vgpr3
	s_and_saveexec_b32 s9, vcc_lo
	s_xor_b32 s9, exec_lo, s9
	s_cbranch_execz .LBB9_271
; %bb.180:
	v_bfe_u32 v3, v2, 21, 1
	s_mov_b32 s8, exec_lo
	v_add3_u32 v3, v2, v3, 0x88fffff
	v_lshrrev_b32_e32 v3, 21, v3
	s_andn2_saveexec_b32 s9, s9
	s_cbranch_execnz .LBB9_272
.LBB9_181:
	s_or_b32 exec_lo, exec_lo, s9
	v_mov_b32_e32 v6, 0
	s_and_saveexec_b32 s9, s8
.LBB9_182:
	v_lshrrev_b32_e32 v2, 24, v2
	v_and_or_b32 v6, 0x80, v2, v3
.LBB9_183:
	s_or_b32 exec_lo, exec_lo, s9
.LBB9_184:
	s_or_b32 exec_lo, exec_lo, s7
	s_mov_b32 s7, 0
	global_store_byte v[4:5], v6, off
.LBB9_185:
	s_and_b32 vcc_lo, exec_lo, s7
	s_cbranch_vccz .LBB9_195
; %bb.186:
	v_cvt_f32_f64_e32 v2, v[0:1]
	s_mov_b32 s7, exec_lo
                                        ; implicit-def: $vgpr3
	v_and_b32_e32 v6, 0x7fffffff, v2
	v_cmpx_gt_u32_e32 0x43f00000, v6
	s_xor_b32 s7, exec_lo, s7
	s_cbranch_execz .LBB9_192
; %bb.187:
	s_mov_b32 s8, exec_lo
                                        ; implicit-def: $vgpr3
	v_cmpx_lt_u32_e32 0x3c7fffff, v6
	s_xor_b32 s8, exec_lo, s8
; %bb.188:
	v_bfe_u32 v3, v2, 20, 1
	v_add3_u32 v3, v2, v3, 0x407ffff
	v_and_b32_e32 v6, 0xff00000, v3
	v_lshrrev_b32_e32 v3, 20, v3
	v_cmp_ne_u32_e32 vcc_lo, 0x7f00000, v6
	v_cndmask_b32_e32 v3, 0x7e, v3, vcc_lo
; %bb.189:
	s_andn2_saveexec_b32 s8, s8
; %bb.190:
	v_add_f32_e64 v3, 0x46800000, |v2|
; %bb.191:
	s_or_b32 exec_lo, exec_lo, s8
                                        ; implicit-def: $vgpr6
.LBB9_192:
	s_andn2_saveexec_b32 s7, s7
; %bb.193:
	v_mov_b32_e32 v3, 0x7f
	v_cmp_lt_u32_e32 vcc_lo, 0x7f800000, v6
	v_cndmask_b32_e32 v3, 0x7e, v3, vcc_lo
; %bb.194:
	s_or_b32 exec_lo, exec_lo, s7
	v_lshrrev_b32_e32 v2, 24, v2
	v_and_or_b32 v2, 0x80, v2, v3
	global_store_byte v[4:5], v2, off
.LBB9_195:
	s_mov_b32 s7, 0
.LBB9_196:
	s_andn2_b32 vcc_lo, exec_lo, s7
	s_cbranch_vccnz .LBB9_206
; %bb.197:
	v_cvt_f32_f64_e32 v2, v[0:1]
	s_mov_b32 s7, exec_lo
                                        ; implicit-def: $vgpr3
	v_and_b32_e32 v6, 0x7fffffff, v2
	v_cmpx_gt_u32_e32 0x47800000, v6
	s_xor_b32 s7, exec_lo, s7
	s_cbranch_execz .LBB9_203
; %bb.198:
	s_mov_b32 s8, exec_lo
                                        ; implicit-def: $vgpr3
	v_cmpx_lt_u32_e32 0x387fffff, v6
	s_xor_b32 s8, exec_lo, s8
; %bb.199:
	v_bfe_u32 v3, v2, 21, 1
	v_add3_u32 v3, v2, v3, 0x80fffff
	v_lshrrev_b32_e32 v3, 21, v3
; %bb.200:
	s_andn2_saveexec_b32 s8, s8
; %bb.201:
	v_add_f32_e64 v3, 0x43000000, |v2|
; %bb.202:
	s_or_b32 exec_lo, exec_lo, s8
                                        ; implicit-def: $vgpr6
.LBB9_203:
	s_andn2_saveexec_b32 s7, s7
; %bb.204:
	v_mov_b32_e32 v3, 0x7f
	v_cmp_lt_u32_e32 vcc_lo, 0x7f800000, v6
	v_cndmask_b32_e32 v3, 0x7c, v3, vcc_lo
; %bb.205:
	s_or_b32 exec_lo, exec_lo, s7
	v_lshrrev_b32_e32 v2, 24, v2
	v_and_or_b32 v2, 0x80, v2, v3
	global_store_byte v[4:5], v2, off
.LBB9_206:
	s_mov_b32 s8, 0
	s_mov_b32 s7, -1
.LBB9_207:
	s_andn2_b32 vcc_lo, exec_lo, s8
	s_cbranch_vccnz .LBB9_215
; %bb.208:
	s_cmp_gt_i32 s6, 14
	s_mov_b32 s8, -1
	s_cbranch_scc0 .LBB9_212
; %bb.209:
	s_cmp_eq_u32 s6, 15
	s_mov_b32 s4, -1
	s_cbranch_scc0 .LBB9_211
; %bb.210:
	v_cvt_f32_f64_e32 v2, v[0:1]
	s_mov_b32 s7, -1
	s_mov_b32 s4, 0
	v_bfe_u32 v3, v2, 16, 1
	v_cmp_o_f32_e32 vcc_lo, v2, v2
	v_add3_u32 v2, v2, v3, 0x7fff
	v_mov_b32_e32 v3, 0x7fc0
	v_cndmask_b32_sdwa v2, v3, v2, vcc_lo dst_sel:DWORD dst_unused:UNUSED_PAD src0_sel:DWORD src1_sel:WORD_1
	global_store_short v[4:5], v2, off
.LBB9_211:
	s_mov_b32 s8, 0
.LBB9_212:
	s_and_b32 vcc_lo, exec_lo, s8
	s_cbranch_vccz .LBB9_215
; %bb.213:
	s_cmp_eq_u32 s6, 11
	s_mov_b32 s4, -1
	s_cbranch_scc0 .LBB9_215
; %bb.214:
	v_cmp_neq_f64_e32 vcc_lo, 0, v[0:1]
	s_mov_b32 s7, -1
	s_mov_b32 s4, 0
	v_cndmask_b32_e64 v2, 0, 1, vcc_lo
	global_store_byte v[4:5], v2, off
.LBB9_215:
	s_branch .LBB9_137
.LBB9_216:
	s_and_b32 s5, 0xffff, s5
	s_mov_b32 s6, -1
	s_cmp_lt_i32 s5, 5
	s_cbranch_scc1 .LBB9_237
; %bb.217:
	s_cmp_lt_i32 s5, 8
	s_cbranch_scc1 .LBB9_227
; %bb.218:
	;; [unrolled: 3-line block ×3, first 2 shown]
	s_cmp_gt_i32 s5, 9
	s_cbranch_scc0 .LBB9_221
; %bb.220:
	v_mov_b32_e32 v2, 0
	s_mov_b32 s6, 0
	v_mov_b32_e32 v3, v2
	global_store_dwordx4 v[4:5], v[0:3], off
.LBB9_221:
	s_andn2_b32 vcc_lo, exec_lo, s6
	s_cbranch_vccnz .LBB9_223
; %bb.222:
	v_cvt_f32_f64_e32 v2, v[0:1]
	v_mov_b32_e32 v3, 0
	global_store_dwordx2 v[4:5], v[2:3], off
.LBB9_223:
	s_mov_b32 s6, 0
.LBB9_224:
	s_andn2_b32 vcc_lo, exec_lo, s6
	s_cbranch_vccnz .LBB9_226
; %bb.225:
	v_and_or_b32 v2, 0x1ff, v1, v0
	v_lshrrev_b32_e32 v3, 8, v1
	v_bfe_u32 v6, v1, 20, 11
	v_cmp_ne_u32_e32 vcc_lo, 0, v2
	v_sub_nc_u32_e32 v7, 0x3f1, v6
	v_add_nc_u32_e32 v6, 0xfffffc10, v6
	v_cndmask_b32_e64 v2, 0, 1, vcc_lo
	v_and_or_b32 v2, 0xffe, v3, v2
	v_med3_i32 v3, v7, 0, 13
	v_or_b32_e32 v7, 0x1000, v2
	v_lshrrev_b32_e32 v8, v3, v7
	v_lshlrev_b32_e32 v3, v3, v8
	v_cmp_ne_u32_e32 vcc_lo, v3, v7
	v_lshl_or_b32 v7, v6, 12, v2
	v_cndmask_b32_e64 v3, 0, 1, vcc_lo
	v_cmp_gt_i32_e32 vcc_lo, 1, v6
	v_or_b32_e32 v3, v8, v3
	v_cndmask_b32_e32 v3, v7, v3, vcc_lo
	v_and_b32_e32 v7, 7, v3
	v_lshrrev_b32_e32 v3, 2, v3
	v_cmp_lt_i32_e32 vcc_lo, 5, v7
	v_cndmask_b32_e64 v8, 0, 1, vcc_lo
	v_cmp_eq_u32_e32 vcc_lo, 3, v7
	v_cndmask_b32_e64 v7, 0, 1, vcc_lo
	v_cmp_ne_u32_e32 vcc_lo, 0, v2
	v_or_b32_e32 v7, v7, v8
	v_mov_b32_e32 v8, 0x7e00
	v_add_nc_u32_e32 v3, v3, v7
	v_cndmask_b32_e32 v2, 0x7c00, v8, vcc_lo
	v_cmp_gt_i32_e32 vcc_lo, 31, v6
	v_cndmask_b32_e32 v3, 0x7c00, v3, vcc_lo
	v_cmp_eq_u32_e32 vcc_lo, 0x40f, v6
	v_cndmask_b32_e32 v2, v3, v2, vcc_lo
	v_lshrrev_b32_e32 v3, 16, v1
	v_and_or_b32 v2, 0x8000, v3, v2
	v_and_b32_e32 v2, 0xffff, v2
	global_store_dword v[4:5], v2, off
.LBB9_226:
	s_mov_b32 s6, 0
.LBB9_227:
	s_andn2_b32 vcc_lo, exec_lo, s6
	s_cbranch_vccnz .LBB9_236
; %bb.228:
	s_cmp_lt_i32 s5, 6
	s_mov_b32 s6, -1
	s_cbranch_scc1 .LBB9_234
; %bb.229:
	s_cmp_gt_i32 s5, 6
	s_cbranch_scc0 .LBB9_231
; %bb.230:
	s_mov_b32 s6, 0
	global_store_dwordx2 v[4:5], v[0:1], off
.LBB9_231:
	s_andn2_b32 vcc_lo, exec_lo, s6
	s_cbranch_vccnz .LBB9_233
; %bb.232:
	v_cvt_f32_f64_e32 v2, v[0:1]
	global_store_dword v[4:5], v2, off
.LBB9_233:
	s_mov_b32 s6, 0
.LBB9_234:
	s_andn2_b32 vcc_lo, exec_lo, s6
	s_cbranch_vccnz .LBB9_236
; %bb.235:
	v_and_or_b32 v2, 0x1ff, v1, v0
	v_lshrrev_b32_e32 v3, 8, v1
	v_bfe_u32 v6, v1, 20, 11
	v_cmp_ne_u32_e32 vcc_lo, 0, v2
	v_sub_nc_u32_e32 v7, 0x3f1, v6
	v_add_nc_u32_e32 v6, 0xfffffc10, v6
	v_cndmask_b32_e64 v2, 0, 1, vcc_lo
	v_and_or_b32 v2, 0xffe, v3, v2
	v_med3_i32 v3, v7, 0, 13
	v_or_b32_e32 v7, 0x1000, v2
	v_lshrrev_b32_e32 v8, v3, v7
	v_lshlrev_b32_e32 v3, v3, v8
	v_cmp_ne_u32_e32 vcc_lo, v3, v7
	v_lshl_or_b32 v7, v6, 12, v2
	v_cndmask_b32_e64 v3, 0, 1, vcc_lo
	v_cmp_gt_i32_e32 vcc_lo, 1, v6
	v_or_b32_e32 v3, v8, v3
	v_cndmask_b32_e32 v3, v7, v3, vcc_lo
	v_and_b32_e32 v7, 7, v3
	v_lshrrev_b32_e32 v3, 2, v3
	v_cmp_lt_i32_e32 vcc_lo, 5, v7
	v_cndmask_b32_e64 v8, 0, 1, vcc_lo
	v_cmp_eq_u32_e32 vcc_lo, 3, v7
	v_cndmask_b32_e64 v7, 0, 1, vcc_lo
	v_cmp_ne_u32_e32 vcc_lo, 0, v2
	v_or_b32_e32 v7, v7, v8
	v_mov_b32_e32 v8, 0x7e00
	v_add_nc_u32_e32 v3, v3, v7
	v_cndmask_b32_e32 v2, 0x7c00, v8, vcc_lo
	v_cmp_gt_i32_e32 vcc_lo, 31, v6
	v_cndmask_b32_e32 v3, 0x7c00, v3, vcc_lo
	v_cmp_eq_u32_e32 vcc_lo, 0x40f, v6
	v_cndmask_b32_e32 v2, v3, v2, vcc_lo
	v_lshrrev_b32_e32 v3, 16, v1
	v_and_or_b32 v2, 0x8000, v3, v2
	global_store_short v[4:5], v2, off
.LBB9_236:
	s_mov_b32 s6, 0
.LBB9_237:
	s_andn2_b32 vcc_lo, exec_lo, s6
	s_cbranch_vccnz .LBB9_253
; %bb.238:
	s_cmp_lt_i32 s5, 2
	s_mov_b32 s6, -1
	s_cbranch_scc1 .LBB9_248
; %bb.239:
	s_cmp_lt_i32 s5, 3
	s_cbranch_scc1 .LBB9_245
; %bb.240:
	s_cmp_gt_i32 s5, 3
	s_cbranch_scc0 .LBB9_242
; %bb.241:
	v_trunc_f64_e32 v[2:3], v[0:1]
	s_mov_b32 s6, 0
	v_ldexp_f64 v[6:7], v[2:3], 0xffffffe0
	v_floor_f64_e32 v[6:7], v[6:7]
	v_fma_f64 v[2:3], 0xc1f00000, v[6:7], v[2:3]
	v_cvt_i32_f64_e32 v7, v[6:7]
	v_cvt_u32_f64_e32 v6, v[2:3]
	global_store_dwordx2 v[4:5], v[6:7], off
.LBB9_242:
	s_andn2_b32 vcc_lo, exec_lo, s6
	s_cbranch_vccnz .LBB9_244
; %bb.243:
	v_cvt_i32_f64_e32 v2, v[0:1]
	global_store_dword v[4:5], v2, off
.LBB9_244:
	s_mov_b32 s6, 0
.LBB9_245:
	s_andn2_b32 vcc_lo, exec_lo, s6
	s_cbranch_vccnz .LBB9_247
; %bb.246:
	v_cvt_i32_f64_e32 v2, v[0:1]
	global_store_short v[4:5], v2, off
.LBB9_247:
	s_mov_b32 s6, 0
.LBB9_248:
	s_andn2_b32 vcc_lo, exec_lo, s6
	s_cbranch_vccnz .LBB9_253
; %bb.249:
	s_cmp_gt_i32 s5, 0
	s_mov_b32 s5, -1
	s_cbranch_scc0 .LBB9_251
; %bb.250:
	v_cvt_i32_f64_e32 v2, v[0:1]
	s_mov_b32 s5, 0
	global_store_byte v[4:5], v2, off
.LBB9_251:
	s_andn2_b32 vcc_lo, exec_lo, s5
	s_cbranch_vccnz .LBB9_253
; %bb.252:
	v_trunc_f64_e32 v[0:1], v[0:1]
	v_ldexp_f64 v[2:3], v[0:1], 0xffffffe0
	v_floor_f64_e32 v[2:3], v[2:3]
	v_fma_f64 v[0:1], 0xc1f00000, v[2:3], v[0:1]
	v_cvt_u32_f64_e32 v0, v[0:1]
	global_store_byte v[4:5], v0, off
.LBB9_253:
	s_branch .LBB9_138
.LBB9_254:
	s_mov_b32 s5, 0
                                        ; implicit-def: $vgpr46
.LBB9_255:
	s_andn2_b32 s6, s40, exec_lo
	s_and_b32 s4, s4, exec_lo
	s_orn2_b32 s7, s5, exec_lo
	s_or_b32 s43, s6, s4
.LBB9_256:
	s_or_b32 exec_lo, exec_lo, s44
	s_mov_b32 s4, 0
	s_mov_b32 s6, 0
                                        ; implicit-def: $sgpr5
                                        ; implicit-def: $vgpr4_vgpr5
                                        ; implicit-def: $vgpr0_vgpr1
	s_and_saveexec_b32 s44, s7
	s_cbranch_execz .LBB9_471
; %bb.257:
	s_mov_b32 s7, -1
	s_mov_b32 s46, s43
	s_mov_b32 s45, exec_lo
	v_cmpx_gt_i32_e64 s41, v46
	s_cbranch_execz .LBB9_386
; %bb.258:
	v_mov_b32_e32 v0, s38
	v_mov_b32_e32 v1, s39
	v_mov_b32_e32 v2, s29
	v_mov_b32_e32 v3, v47
	v_mov_b32_e32 v4, v46
	s_getpc_b64 s[4:5]
	s_add_u32 s4, s4, _ZN2at6native6invokeIZZZNS0_12_GLOBAL__N_119airy_ai_kernel_cudaERNS_18TensorIteratorBaseEENKUlvE_clEvENKUlvE_clEvEUldE_i15function_traitsIS7_EEENT1_11result_typeERKT_PrKPcPKT0_PKN3c1010ScalarTypeEi@rel32@lo+4
	s_addc_u32 s5, s5, _ZN2at6native6invokeIZZZNS0_12_GLOBAL__N_119airy_ai_kernel_cudaERNS_18TensorIteratorBaseEENKUlvE_clEvENKUlvE_clEvEUldE_i15function_traitsIS7_EEENT1_11result_typeERKT_PrKPcPKT0_PKN3c1010ScalarTypeEi@rel32@hi+12
	s_swappc_b64 s[30:31], s[4:5]
	v_mul_lo_u32 v2, v46, s28
	s_and_b32 s5, s33, 0xff
	s_cmp_lt_i32 s5, 11
	v_ashrrev_i32_e32 v3, 31, v2
	v_add_co_u32 v4, vcc_lo, s36, v2
	v_add_co_ci_u32_e64 v5, null, s37, v3, vcc_lo
	s_cbranch_scc1 .LBB9_265
; %bb.259:
	s_and_b32 s6, 0xffff, s5
	s_cmp_gt_i32 s6, 25
	s_cbranch_scc0 .LBB9_266
; %bb.260:
	s_cmp_gt_i32 s6, 28
	s_cbranch_scc0 .LBB9_267
; %bb.261:
	;; [unrolled: 3-line block ×4, first 2 shown]
	s_mov_b32 s8, 0
	s_mov_b32 s4, -1
	s_cmp_eq_u32 s6, 46
	s_mov_b32 s7, 0
	s_cbranch_scc0 .LBB9_274
; %bb.264:
	v_cvt_f32_f64_e32 v2, v[0:1]
	s_mov_b32 s7, -1
	s_mov_b32 s4, 0
	v_bfe_u32 v3, v2, 16, 1
	v_cmp_o_f32_e32 vcc_lo, v2, v2
	v_add3_u32 v2, v2, v3, 0x7fff
	v_mov_b32_e32 v3, 0x7fc0
	v_cndmask_b32_sdwa v2, v3, v2, vcc_lo dst_sel:DWORD dst_unused:UNUSED_PAD src0_sel:DWORD src1_sel:WORD_1
	global_store_dword v[4:5], v2, off
	s_branch .LBB9_274
.LBB9_265:
	s_mov_b32 s6, -1
	s_mov_b32 s7, 0
	s_mov_b32 s4, s43
	s_branch .LBB9_343
.LBB9_266:
	s_mov_b32 s8, -1
	s_mov_b32 s7, 0
	s_mov_b32 s4, s43
	s_branch .LBB9_301
.LBB9_267:
	s_mov_b32 s8, -1
	s_mov_b32 s7, 0
	s_mov_b32 s4, s43
	s_branch .LBB9_284
.LBB9_268:
	s_andn2_saveexec_b32 s9, s9
	s_cbranch_execz .LBB9_168
.LBB9_269:
	v_add_f32_e64 v3, 0x46000000, |v2|
	s_andn2_b32 s8, s8, exec_lo
	v_and_b32_e32 v3, 0xff, v3
	v_cmp_ne_u32_e32 vcc_lo, 0, v3
	s_and_b32 s10, vcc_lo, exec_lo
	s_or_b32 s8, s8, s10
	s_or_b32 exec_lo, exec_lo, s9
	v_mov_b32_e32 v6, 0
	s_and_saveexec_b32 s9, s8
	s_cbranch_execnz .LBB9_169
	s_branch .LBB9_170
.LBB9_270:
	s_mov_b32 s8, -1
	s_mov_b32 s7, 0
	s_mov_b32 s4, s43
	s_branch .LBB9_280
.LBB9_271:
	s_andn2_saveexec_b32 s9, s9
	s_cbranch_execz .LBB9_181
.LBB9_272:
	v_add_f32_e64 v3, 0x42800000, |v2|
	s_andn2_b32 s8, s8, exec_lo
	v_and_b32_e32 v3, 0xff, v3
	v_cmp_ne_u32_e32 vcc_lo, 0, v3
	s_and_b32 s10, vcc_lo, exec_lo
	s_or_b32 s8, s8, s10
	s_or_b32 exec_lo, exec_lo, s9
	v_mov_b32_e32 v6, 0
	s_and_saveexec_b32 s9, s8
	s_cbranch_execnz .LBB9_182
	s_branch .LBB9_183
.LBB9_273:
	s_mov_b32 s8, -1
	s_mov_b32 s7, 0
	s_mov_b32 s4, s43
.LBB9_274:
	s_and_b32 vcc_lo, exec_lo, s8
	s_cbranch_vccz .LBB9_279
; %bb.275:
	s_cmp_eq_u32 s6, 44
	s_mov_b32 s4, -1
	s_cbranch_scc0 .LBB9_279
; %bb.276:
	v_cvt_f32_f64_e32 v2, v[0:1]
	v_mov_b32_e32 v3, 0xff
	s_mov_b32 s7, exec_lo
	v_bfe_u32 v6, v2, 23, 8
	v_cmpx_ne_u32_e32 0xff, v6
	s_cbranch_execz .LBB9_278
; %bb.277:
	v_and_b32_e32 v3, 0x400000, v2
	v_and_or_b32 v6, 0x3fffff, v2, v6
	v_lshrrev_b32_e32 v2, 23, v2
	v_cmp_ne_u32_e32 vcc_lo, 0, v3
	v_cmp_ne_u32_e64 s4, 0, v6
	s_and_b32 s4, vcc_lo, s4
	v_cndmask_b32_e64 v3, 0, 1, s4
	v_add_nc_u32_e32 v3, v2, v3
.LBB9_278:
	s_or_b32 exec_lo, exec_lo, s7
	s_mov_b32 s7, -1
	s_mov_b32 s4, 0
	global_store_byte v[4:5], v3, off
.LBB9_279:
	s_mov_b32 s8, 0
.LBB9_280:
	s_and_b32 vcc_lo, exec_lo, s8
	s_cbranch_vccz .LBB9_283
; %bb.281:
	s_cmp_eq_u32 s6, 29
	s_mov_b32 s4, -1
	s_cbranch_scc0 .LBB9_283
; %bb.282:
	v_trunc_f64_e32 v[2:3], v[0:1]
	s_mov_b32 s7, -1
	s_mov_b32 s4, 0
	s_mov_b32 s8, 0
	v_ldexp_f64 v[6:7], v[2:3], 0xffffffe0
	v_floor_f64_e32 v[6:7], v[6:7]
	v_fma_f64 v[2:3], 0xc1f00000, v[6:7], v[2:3]
	v_cvt_u32_f64_e32 v7, v[6:7]
	v_cvt_u32_f64_e32 v6, v[2:3]
	global_store_dwordx2 v[4:5], v[6:7], off
	s_branch .LBB9_284
.LBB9_283:
	s_mov_b32 s8, 0
.LBB9_284:
	s_and_b32 vcc_lo, exec_lo, s8
	s_cbranch_vccz .LBB9_300
; %bb.285:
	s_cmp_lt_i32 s6, 27
	s_mov_b32 s7, -1
	s_cbranch_scc1 .LBB9_291
; %bb.286:
	v_cvt_u32_f64_e32 v2, v[0:1]
	s_cmp_gt_i32 s6, 27
	s_cbranch_scc0 .LBB9_288
; %bb.287:
	s_mov_b32 s7, 0
	global_store_dword v[4:5], v2, off
.LBB9_288:
	s_andn2_b32 vcc_lo, exec_lo, s7
	s_cbranch_vccnz .LBB9_290
; %bb.289:
	global_store_short v[4:5], v2, off
.LBB9_290:
	s_mov_b32 s7, 0
.LBB9_291:
	s_andn2_b32 vcc_lo, exec_lo, s7
	s_cbranch_vccnz .LBB9_299
; %bb.292:
	v_cvt_f32_f64_e32 v2, v[0:1]
	v_mov_b32_e32 v6, 0x80
	s_mov_b32 s7, exec_lo
	v_and_b32_e32 v3, 0x7fffffff, v2
	v_cmpx_gt_u32_e32 0x43800000, v3
	s_cbranch_execz .LBB9_298
; %bb.293:
	v_cmp_lt_u32_e32 vcc_lo, 0x3bffffff, v3
	s_mov_b32 s8, 0
                                        ; implicit-def: $vgpr3
	s_and_saveexec_b32 s9, vcc_lo
	s_xor_b32 s9, exec_lo, s9
	s_cbranch_execz .LBB9_396
; %bb.294:
	v_bfe_u32 v3, v2, 20, 1
	s_mov_b32 s8, exec_lo
	v_add3_u32 v3, v2, v3, 0x487ffff
	v_lshrrev_b32_e32 v3, 20, v3
	s_andn2_saveexec_b32 s9, s9
	s_cbranch_execnz .LBB9_397
.LBB9_295:
	s_or_b32 exec_lo, exec_lo, s9
	v_mov_b32_e32 v6, 0
	s_and_saveexec_b32 s9, s8
.LBB9_296:
	v_lshrrev_b32_e32 v2, 24, v2
	v_and_or_b32 v6, 0x80, v2, v3
.LBB9_297:
	s_or_b32 exec_lo, exec_lo, s9
.LBB9_298:
	s_or_b32 exec_lo, exec_lo, s7
	global_store_byte v[4:5], v6, off
.LBB9_299:
	s_mov_b32 s7, -1
.LBB9_300:
	s_mov_b32 s8, 0
.LBB9_301:
	s_and_b32 vcc_lo, exec_lo, s8
	s_cbranch_vccz .LBB9_342
; %bb.302:
	s_cmp_gt_i32 s6, 22
	s_mov_b32 s8, -1
	s_cbranch_scc0 .LBB9_334
; %bb.303:
	s_cmp_lt_i32 s6, 24
	s_mov_b32 s7, -1
	s_cbranch_scc1 .LBB9_323
; %bb.304:
	s_cmp_gt_i32 s6, 24
	s_cbranch_scc0 .LBB9_312
; %bb.305:
	v_cvt_f32_f64_e32 v2, v[0:1]
	v_mov_b32_e32 v6, 0x80
	s_mov_b32 s7, exec_lo
	v_and_b32_e32 v3, 0x7fffffff, v2
	v_cmpx_gt_u32_e32 0x47800000, v3
	s_cbranch_execz .LBB9_311
; %bb.306:
	v_cmp_lt_u32_e32 vcc_lo, 0x37ffffff, v3
	s_mov_b32 s8, 0
                                        ; implicit-def: $vgpr3
	s_and_saveexec_b32 s9, vcc_lo
	s_xor_b32 s9, exec_lo, s9
	s_cbranch_execz .LBB9_398
; %bb.307:
	v_bfe_u32 v3, v2, 21, 1
	s_mov_b32 s8, exec_lo
	v_add3_u32 v3, v2, v3, 0x88fffff
	v_lshrrev_b32_e32 v3, 21, v3
	s_andn2_saveexec_b32 s9, s9
	s_cbranch_execnz .LBB9_399
.LBB9_308:
	s_or_b32 exec_lo, exec_lo, s9
	v_mov_b32_e32 v6, 0
	s_and_saveexec_b32 s9, s8
.LBB9_309:
	v_lshrrev_b32_e32 v2, 24, v2
	v_and_or_b32 v6, 0x80, v2, v3
.LBB9_310:
	s_or_b32 exec_lo, exec_lo, s9
.LBB9_311:
	s_or_b32 exec_lo, exec_lo, s7
	s_mov_b32 s7, 0
	global_store_byte v[4:5], v6, off
.LBB9_312:
	s_and_b32 vcc_lo, exec_lo, s7
	s_cbranch_vccz .LBB9_322
; %bb.313:
	v_cvt_f32_f64_e32 v2, v[0:1]
	s_mov_b32 s7, exec_lo
                                        ; implicit-def: $vgpr3
	v_and_b32_e32 v6, 0x7fffffff, v2
	v_cmpx_gt_u32_e32 0x43f00000, v6
	s_xor_b32 s7, exec_lo, s7
	s_cbranch_execz .LBB9_319
; %bb.314:
	s_mov_b32 s8, exec_lo
                                        ; implicit-def: $vgpr3
	v_cmpx_lt_u32_e32 0x3c7fffff, v6
	s_xor_b32 s8, exec_lo, s8
; %bb.315:
	v_bfe_u32 v3, v2, 20, 1
	v_add3_u32 v3, v2, v3, 0x407ffff
	v_and_b32_e32 v6, 0xff00000, v3
	v_lshrrev_b32_e32 v3, 20, v3
	v_cmp_ne_u32_e32 vcc_lo, 0x7f00000, v6
	v_cndmask_b32_e32 v3, 0x7e, v3, vcc_lo
; %bb.316:
	s_andn2_saveexec_b32 s8, s8
; %bb.317:
	v_add_f32_e64 v3, 0x46800000, |v2|
; %bb.318:
	s_or_b32 exec_lo, exec_lo, s8
                                        ; implicit-def: $vgpr6
.LBB9_319:
	s_andn2_saveexec_b32 s7, s7
; %bb.320:
	v_mov_b32_e32 v3, 0x7f
	v_cmp_lt_u32_e32 vcc_lo, 0x7f800000, v6
	v_cndmask_b32_e32 v3, 0x7e, v3, vcc_lo
; %bb.321:
	s_or_b32 exec_lo, exec_lo, s7
	v_lshrrev_b32_e32 v2, 24, v2
	v_and_or_b32 v2, 0x80, v2, v3
	global_store_byte v[4:5], v2, off
.LBB9_322:
	s_mov_b32 s7, 0
.LBB9_323:
	s_andn2_b32 vcc_lo, exec_lo, s7
	s_cbranch_vccnz .LBB9_333
; %bb.324:
	v_cvt_f32_f64_e32 v2, v[0:1]
	s_mov_b32 s7, exec_lo
                                        ; implicit-def: $vgpr3
	v_and_b32_e32 v6, 0x7fffffff, v2
	v_cmpx_gt_u32_e32 0x47800000, v6
	s_xor_b32 s7, exec_lo, s7
	s_cbranch_execz .LBB9_330
; %bb.325:
	s_mov_b32 s8, exec_lo
                                        ; implicit-def: $vgpr3
	v_cmpx_lt_u32_e32 0x387fffff, v6
	s_xor_b32 s8, exec_lo, s8
; %bb.326:
	v_bfe_u32 v3, v2, 21, 1
	v_add3_u32 v3, v2, v3, 0x80fffff
	v_lshrrev_b32_e32 v3, 21, v3
; %bb.327:
	s_andn2_saveexec_b32 s8, s8
; %bb.328:
	v_add_f32_e64 v3, 0x43000000, |v2|
; %bb.329:
	s_or_b32 exec_lo, exec_lo, s8
                                        ; implicit-def: $vgpr6
.LBB9_330:
	s_andn2_saveexec_b32 s7, s7
; %bb.331:
	v_mov_b32_e32 v3, 0x7f
	v_cmp_lt_u32_e32 vcc_lo, 0x7f800000, v6
	v_cndmask_b32_e32 v3, 0x7c, v3, vcc_lo
; %bb.332:
	s_or_b32 exec_lo, exec_lo, s7
	v_lshrrev_b32_e32 v2, 24, v2
	v_and_or_b32 v2, 0x80, v2, v3
	global_store_byte v[4:5], v2, off
.LBB9_333:
	s_mov_b32 s8, 0
	s_mov_b32 s7, -1
.LBB9_334:
	s_andn2_b32 vcc_lo, exec_lo, s8
	s_cbranch_vccnz .LBB9_342
; %bb.335:
	s_cmp_gt_i32 s6, 14
	s_mov_b32 s8, -1
	s_cbranch_scc0 .LBB9_339
; %bb.336:
	s_cmp_eq_u32 s6, 15
	s_mov_b32 s4, -1
	s_cbranch_scc0 .LBB9_338
; %bb.337:
	v_cvt_f32_f64_e32 v2, v[0:1]
	s_mov_b32 s7, -1
	s_mov_b32 s4, 0
	v_bfe_u32 v3, v2, 16, 1
	v_cmp_o_f32_e32 vcc_lo, v2, v2
	v_add3_u32 v2, v2, v3, 0x7fff
	v_mov_b32_e32 v3, 0x7fc0
	v_cndmask_b32_sdwa v2, v3, v2, vcc_lo dst_sel:DWORD dst_unused:UNUSED_PAD src0_sel:DWORD src1_sel:WORD_1
	global_store_short v[4:5], v2, off
.LBB9_338:
	s_mov_b32 s8, 0
.LBB9_339:
	s_and_b32 vcc_lo, exec_lo, s8
	s_cbranch_vccz .LBB9_342
; %bb.340:
	s_cmp_eq_u32 s6, 11
	s_mov_b32 s4, -1
	s_cbranch_scc0 .LBB9_342
; %bb.341:
	v_cmp_neq_f64_e32 vcc_lo, 0, v[0:1]
	s_mov_b32 s7, -1
	s_mov_b32 s4, 0
	v_cndmask_b32_e64 v2, 0, 1, vcc_lo
	global_store_byte v[4:5], v2, off
.LBB9_342:
	s_mov_b32 s6, 0
.LBB9_343:
	s_and_b32 vcc_lo, exec_lo, s6
	s_cbranch_vccz .LBB9_382
; %bb.344:
	s_and_b32 s5, 0xffff, s5
	s_mov_b32 s6, -1
	s_cmp_lt_i32 s5, 5
	s_cbranch_scc1 .LBB9_365
; %bb.345:
	s_cmp_lt_i32 s5, 8
	s_cbranch_scc1 .LBB9_355
; %bb.346:
	;; [unrolled: 3-line block ×3, first 2 shown]
	s_cmp_gt_i32 s5, 9
	s_cbranch_scc0 .LBB9_349
; %bb.348:
	v_mov_b32_e32 v2, 0
	s_mov_b32 s6, 0
	v_mov_b32_e32 v3, v2
	global_store_dwordx4 v[4:5], v[0:3], off
.LBB9_349:
	s_andn2_b32 vcc_lo, exec_lo, s6
	s_cbranch_vccnz .LBB9_351
; %bb.350:
	v_cvt_f32_f64_e32 v2, v[0:1]
	v_mov_b32_e32 v3, 0
	global_store_dwordx2 v[4:5], v[2:3], off
.LBB9_351:
	s_mov_b32 s6, 0
.LBB9_352:
	s_andn2_b32 vcc_lo, exec_lo, s6
	s_cbranch_vccnz .LBB9_354
; %bb.353:
	v_and_or_b32 v2, 0x1ff, v1, v0
	v_lshrrev_b32_e32 v3, 8, v1
	v_bfe_u32 v6, v1, 20, 11
	v_cmp_ne_u32_e32 vcc_lo, 0, v2
	v_sub_nc_u32_e32 v7, 0x3f1, v6
	v_add_nc_u32_e32 v6, 0xfffffc10, v6
	v_cndmask_b32_e64 v2, 0, 1, vcc_lo
	v_and_or_b32 v2, 0xffe, v3, v2
	v_med3_i32 v3, v7, 0, 13
	v_or_b32_e32 v7, 0x1000, v2
	v_lshrrev_b32_e32 v8, v3, v7
	v_lshlrev_b32_e32 v3, v3, v8
	v_cmp_ne_u32_e32 vcc_lo, v3, v7
	v_lshl_or_b32 v7, v6, 12, v2
	v_cndmask_b32_e64 v3, 0, 1, vcc_lo
	v_cmp_gt_i32_e32 vcc_lo, 1, v6
	v_or_b32_e32 v3, v8, v3
	v_cndmask_b32_e32 v3, v7, v3, vcc_lo
	v_and_b32_e32 v7, 7, v3
	v_lshrrev_b32_e32 v3, 2, v3
	v_cmp_lt_i32_e32 vcc_lo, 5, v7
	v_cndmask_b32_e64 v8, 0, 1, vcc_lo
	v_cmp_eq_u32_e32 vcc_lo, 3, v7
	v_cndmask_b32_e64 v7, 0, 1, vcc_lo
	v_cmp_ne_u32_e32 vcc_lo, 0, v2
	v_or_b32_e32 v7, v7, v8
	v_mov_b32_e32 v8, 0x7e00
	v_add_nc_u32_e32 v3, v3, v7
	v_cndmask_b32_e32 v2, 0x7c00, v8, vcc_lo
	v_cmp_gt_i32_e32 vcc_lo, 31, v6
	v_cndmask_b32_e32 v3, 0x7c00, v3, vcc_lo
	v_cmp_eq_u32_e32 vcc_lo, 0x40f, v6
	v_cndmask_b32_e32 v2, v3, v2, vcc_lo
	v_lshrrev_b32_e32 v3, 16, v1
	v_and_or_b32 v2, 0x8000, v3, v2
	v_and_b32_e32 v2, 0xffff, v2
	global_store_dword v[4:5], v2, off
.LBB9_354:
	s_mov_b32 s6, 0
.LBB9_355:
	s_andn2_b32 vcc_lo, exec_lo, s6
	s_cbranch_vccnz .LBB9_364
; %bb.356:
	s_cmp_lt_i32 s5, 6
	s_mov_b32 s6, -1
	s_cbranch_scc1 .LBB9_362
; %bb.357:
	s_cmp_gt_i32 s5, 6
	s_cbranch_scc0 .LBB9_359
; %bb.358:
	s_mov_b32 s6, 0
	global_store_dwordx2 v[4:5], v[0:1], off
.LBB9_359:
	s_andn2_b32 vcc_lo, exec_lo, s6
	s_cbranch_vccnz .LBB9_361
; %bb.360:
	v_cvt_f32_f64_e32 v2, v[0:1]
	global_store_dword v[4:5], v2, off
.LBB9_361:
	s_mov_b32 s6, 0
.LBB9_362:
	s_andn2_b32 vcc_lo, exec_lo, s6
	s_cbranch_vccnz .LBB9_364
; %bb.363:
	v_and_or_b32 v2, 0x1ff, v1, v0
	v_lshrrev_b32_e32 v3, 8, v1
	v_bfe_u32 v6, v1, 20, 11
	v_cmp_ne_u32_e32 vcc_lo, 0, v2
	v_sub_nc_u32_e32 v7, 0x3f1, v6
	v_add_nc_u32_e32 v6, 0xfffffc10, v6
	v_cndmask_b32_e64 v2, 0, 1, vcc_lo
	v_and_or_b32 v2, 0xffe, v3, v2
	v_med3_i32 v3, v7, 0, 13
	v_or_b32_e32 v7, 0x1000, v2
	v_lshrrev_b32_e32 v8, v3, v7
	v_lshlrev_b32_e32 v3, v3, v8
	v_cmp_ne_u32_e32 vcc_lo, v3, v7
	v_lshl_or_b32 v7, v6, 12, v2
	v_cndmask_b32_e64 v3, 0, 1, vcc_lo
	v_cmp_gt_i32_e32 vcc_lo, 1, v6
	v_or_b32_e32 v3, v8, v3
	v_cndmask_b32_e32 v3, v7, v3, vcc_lo
	v_and_b32_e32 v7, 7, v3
	v_lshrrev_b32_e32 v3, 2, v3
	v_cmp_lt_i32_e32 vcc_lo, 5, v7
	v_cndmask_b32_e64 v8, 0, 1, vcc_lo
	v_cmp_eq_u32_e32 vcc_lo, 3, v7
	v_cndmask_b32_e64 v7, 0, 1, vcc_lo
	v_cmp_ne_u32_e32 vcc_lo, 0, v2
	v_or_b32_e32 v7, v7, v8
	v_mov_b32_e32 v8, 0x7e00
	v_add_nc_u32_e32 v3, v3, v7
	v_cndmask_b32_e32 v2, 0x7c00, v8, vcc_lo
	v_cmp_gt_i32_e32 vcc_lo, 31, v6
	v_cndmask_b32_e32 v3, 0x7c00, v3, vcc_lo
	v_cmp_eq_u32_e32 vcc_lo, 0x40f, v6
	v_cndmask_b32_e32 v2, v3, v2, vcc_lo
	v_lshrrev_b32_e32 v3, 16, v1
	v_and_or_b32 v2, 0x8000, v3, v2
	global_store_short v[4:5], v2, off
.LBB9_364:
	s_mov_b32 s6, 0
.LBB9_365:
	s_andn2_b32 vcc_lo, exec_lo, s6
	s_cbranch_vccnz .LBB9_381
; %bb.366:
	s_cmp_lt_i32 s5, 2
	s_mov_b32 s6, -1
	s_cbranch_scc1 .LBB9_376
; %bb.367:
	s_cmp_lt_i32 s5, 3
	s_cbranch_scc1 .LBB9_373
; %bb.368:
	s_cmp_gt_i32 s5, 3
	s_cbranch_scc0 .LBB9_370
; %bb.369:
	v_trunc_f64_e32 v[2:3], v[0:1]
	s_mov_b32 s6, 0
	v_ldexp_f64 v[6:7], v[2:3], 0xffffffe0
	v_floor_f64_e32 v[6:7], v[6:7]
	v_fma_f64 v[2:3], 0xc1f00000, v[6:7], v[2:3]
	v_cvt_i32_f64_e32 v7, v[6:7]
	v_cvt_u32_f64_e32 v6, v[2:3]
	global_store_dwordx2 v[4:5], v[6:7], off
.LBB9_370:
	s_andn2_b32 vcc_lo, exec_lo, s6
	s_cbranch_vccnz .LBB9_372
; %bb.371:
	v_cvt_i32_f64_e32 v2, v[0:1]
	global_store_dword v[4:5], v2, off
.LBB9_372:
	s_mov_b32 s6, 0
.LBB9_373:
	s_andn2_b32 vcc_lo, exec_lo, s6
	s_cbranch_vccnz .LBB9_375
; %bb.374:
	v_cvt_i32_f64_e32 v2, v[0:1]
	global_store_short v[4:5], v2, off
.LBB9_375:
	s_mov_b32 s6, 0
.LBB9_376:
	s_andn2_b32 vcc_lo, exec_lo, s6
	s_cbranch_vccnz .LBB9_381
; %bb.377:
	s_cmp_gt_i32 s5, 0
	s_mov_b32 s5, -1
	s_cbranch_scc0 .LBB9_379
; %bb.378:
	v_cvt_i32_f64_e32 v2, v[0:1]
	s_mov_b32 s5, 0
	global_store_byte v[4:5], v2, off
.LBB9_379:
	s_andn2_b32 vcc_lo, exec_lo, s5
	s_cbranch_vccnz .LBB9_381
; %bb.380:
	v_trunc_f64_e32 v[0:1], v[0:1]
	v_ldexp_f64 v[2:3], v[0:1], 0xffffffe0
	v_floor_f64_e32 v[2:3], v[2:3]
	v_fma_f64 v[0:1], 0xc1f00000, v[2:3], v[0:1]
	v_cvt_u32_f64_e32 v0, v[0:1]
	global_store_byte v[4:5], v0, off
.LBB9_381:
	s_mov_b32 s7, -1
.LBB9_382:
	s_andn2_b32 vcc_lo, exec_lo, s7
	s_cbranch_vccnz .LBB9_384
; %bb.383:
	v_add_nc_u32_e32 v46, 0x80, v46
	s_mov_b32 s5, -1
	s_branch .LBB9_385
.LBB9_384:
	s_mov_b32 s5, 0
                                        ; implicit-def: $vgpr46
.LBB9_385:
	s_andn2_b32 s6, s43, exec_lo
	s_and_b32 s4, s4, exec_lo
	s_orn2_b32 s7, s5, exec_lo
	s_or_b32 s46, s6, s4
.LBB9_386:
	s_or_b32 exec_lo, exec_lo, s45
	s_mov_b32 s4, 0
	s_mov_b32 s6, 0
                                        ; implicit-def: $sgpr5
                                        ; implicit-def: $vgpr4_vgpr5
                                        ; implicit-def: $vgpr0_vgpr1
	s_and_saveexec_b32 s45, s7
	s_cbranch_execz .LBB9_470
; %bb.387:
	v_cmp_gt_i32_e32 vcc_lo, s41, v46
	s_mov_b32 s7, s46
                                        ; implicit-def: $sgpr5
                                        ; implicit-def: $vgpr4_vgpr5
                                        ; implicit-def: $vgpr0_vgpr1
	s_and_saveexec_b32 s41, vcc_lo
	s_cbranch_execz .LBB9_469
; %bb.388:
	v_mov_b32_e32 v0, s38
	v_mov_b32_e32 v1, s39
	;; [unrolled: 1-line block ×5, first 2 shown]
	s_getpc_b64 s[4:5]
	s_add_u32 s4, s4, _ZN2at6native6invokeIZZZNS0_12_GLOBAL__N_119airy_ai_kernel_cudaERNS_18TensorIteratorBaseEENKUlvE_clEvENKUlvE_clEvEUldE_i15function_traitsIS7_EEENT1_11result_typeERKT_PrKPcPKT0_PKN3c1010ScalarTypeEi@rel32@lo+4
	s_addc_u32 s5, s5, _ZN2at6native6invokeIZZZNS0_12_GLOBAL__N_119airy_ai_kernel_cudaERNS_18TensorIteratorBaseEENKUlvE_clEvENKUlvE_clEvEUldE_i15function_traitsIS7_EEENT1_11result_typeERKT_PrKPcPKT0_PKN3c1010ScalarTypeEi@rel32@hi+12
	s_swappc_b64 s[30:31], s[4:5]
	v_mul_lo_u32 v2, v46, s28
	s_and_b32 s5, s33, 0xff
	s_cmp_lt_i32 s5, 11
	v_ashrrev_i32_e32 v3, 31, v2
	v_add_co_u32 v4, vcc_lo, s36, v2
	v_add_co_ci_u32_e64 v5, null, s37, v3, vcc_lo
	s_cbranch_scc1 .LBB9_395
; %bb.389:
	s_and_b32 s6, 0xffff, s5
	s_mov_b32 s7, -1
	s_cmp_gt_i32 s6, 25
	s_mov_b32 s4, s46
	s_cbranch_scc0 .LBB9_427
; %bb.390:
	s_cmp_gt_i32 s6, 28
	s_mov_b32 s4, s46
	s_cbranch_scc0 .LBB9_411
; %bb.391:
	;; [unrolled: 4-line block ×4, first 2 shown]
	s_cmp_eq_u32 s6, 46
	s_mov_b32 s4, -1
	s_cbranch_scc0 .LBB9_400
; %bb.394:
	v_cvt_f32_f64_e32 v2, v[0:1]
	s_mov_b32 s4, 0
	s_mov_b32 s7, 0
	v_bfe_u32 v3, v2, 16, 1
	v_cmp_o_f32_e32 vcc_lo, v2, v2
	v_add3_u32 v2, v2, v3, 0x7fff
	v_mov_b32_e32 v3, 0x7fc0
	v_cndmask_b32_sdwa v2, v3, v2, vcc_lo dst_sel:DWORD dst_unused:UNUSED_PAD src0_sel:DWORD src1_sel:WORD_1
	global_store_dword v[4:5], v2, off
	s_branch .LBB9_401
.LBB9_395:
	s_mov_b32 s8, 0
	s_mov_b32 s7, -1
	s_mov_b32 s4, s46
	s_branch .LBB9_468
.LBB9_396:
	s_andn2_saveexec_b32 s9, s9
	s_cbranch_execz .LBB9_295
.LBB9_397:
	v_add_f32_e64 v3, 0x46000000, |v2|
	s_andn2_b32 s8, s8, exec_lo
	v_and_b32_e32 v3, 0xff, v3
	v_cmp_ne_u32_e32 vcc_lo, 0, v3
	s_and_b32 s10, vcc_lo, exec_lo
	s_or_b32 s8, s8, s10
	s_or_b32 exec_lo, exec_lo, s9
	v_mov_b32_e32 v6, 0
	s_and_saveexec_b32 s9, s8
	s_cbranch_execnz .LBB9_296
	s_branch .LBB9_297
.LBB9_398:
	s_andn2_saveexec_b32 s9, s9
	s_cbranch_execz .LBB9_308
.LBB9_399:
	v_add_f32_e64 v3, 0x42800000, |v2|
	s_andn2_b32 s8, s8, exec_lo
	v_and_b32_e32 v3, 0xff, v3
	v_cmp_ne_u32_e32 vcc_lo, 0, v3
	s_and_b32 s10, vcc_lo, exec_lo
	s_or_b32 s8, s8, s10
	s_or_b32 exec_lo, exec_lo, s9
	v_mov_b32_e32 v6, 0
	s_and_saveexec_b32 s9, s8
	s_cbranch_execnz .LBB9_309
	s_branch .LBB9_310
.LBB9_400:
	s_mov_b32 s7, 0
.LBB9_401:
	s_and_b32 vcc_lo, exec_lo, s7
	s_cbranch_vccz .LBB9_406
; %bb.402:
	s_cmp_eq_u32 s6, 44
	s_mov_b32 s4, -1
	s_cbranch_scc0 .LBB9_406
; %bb.403:
	v_cvt_f32_f64_e32 v2, v[0:1]
	v_mov_b32_e32 v3, 0xff
	s_mov_b32 s7, exec_lo
	v_bfe_u32 v6, v2, 23, 8
	v_cmpx_ne_u32_e32 0xff, v6
	s_cbranch_execz .LBB9_405
; %bb.404:
	v_and_b32_e32 v3, 0x400000, v2
	v_and_or_b32 v6, 0x3fffff, v2, v6
	v_lshrrev_b32_e32 v2, 23, v2
	v_cmp_ne_u32_e32 vcc_lo, 0, v3
	v_cmp_ne_u32_e64 s4, 0, v6
	s_and_b32 s4, vcc_lo, s4
	v_cndmask_b32_e64 v3, 0, 1, s4
	v_add_nc_u32_e32 v3, v2, v3
.LBB9_405:
	s_or_b32 exec_lo, exec_lo, s7
	s_mov_b32 s4, 0
	global_store_byte v[4:5], v3, off
.LBB9_406:
	s_mov_b32 s7, 0
.LBB9_407:
	s_and_b32 vcc_lo, exec_lo, s7
	s_cbranch_vccz .LBB9_410
; %bb.408:
	s_cmp_eq_u32 s6, 29
	s_mov_b32 s4, -1
	s_cbranch_scc0 .LBB9_410
; %bb.409:
	v_trunc_f64_e32 v[2:3], v[0:1]
	s_mov_b32 s4, 0
	s_mov_b32 s7, 0
	v_ldexp_f64 v[6:7], v[2:3], 0xffffffe0
	v_floor_f64_e32 v[6:7], v[6:7]
	v_fma_f64 v[2:3], 0xc1f00000, v[6:7], v[2:3]
	v_cvt_u32_f64_e32 v7, v[6:7]
	v_cvt_u32_f64_e32 v6, v[2:3]
	global_store_dwordx2 v[4:5], v[6:7], off
	s_branch .LBB9_411
.LBB9_410:
	s_mov_b32 s7, 0
.LBB9_411:
	s_and_b32 vcc_lo, exec_lo, s7
	s_cbranch_vccz .LBB9_426
; %bb.412:
	s_cmp_lt_i32 s6, 27
	s_mov_b32 s7, -1
	s_cbranch_scc1 .LBB9_418
; %bb.413:
	v_cvt_u32_f64_e32 v2, v[0:1]
	s_cmp_gt_i32 s6, 27
	s_cbranch_scc0 .LBB9_415
; %bb.414:
	s_mov_b32 s7, 0
	global_store_dword v[4:5], v2, off
.LBB9_415:
	s_andn2_b32 vcc_lo, exec_lo, s7
	s_cbranch_vccnz .LBB9_417
; %bb.416:
	global_store_short v[4:5], v2, off
.LBB9_417:
	s_mov_b32 s7, 0
.LBB9_418:
	s_andn2_b32 vcc_lo, exec_lo, s7
	s_cbranch_vccnz .LBB9_426
; %bb.419:
	v_cvt_f32_f64_e32 v2, v[0:1]
	v_mov_b32_e32 v6, 0x80
	s_mov_b32 s7, exec_lo
	v_and_b32_e32 v3, 0x7fffffff, v2
	v_cmpx_gt_u32_e32 0x43800000, v3
	s_cbranch_execz .LBB9_425
; %bb.420:
	v_cmp_lt_u32_e32 vcc_lo, 0x3bffffff, v3
	s_mov_b32 s8, 0
                                        ; implicit-def: $vgpr3
	s_and_saveexec_b32 s9, vcc_lo
	s_xor_b32 s9, exec_lo, s9
	s_cbranch_execz .LBB9_1007
; %bb.421:
	v_bfe_u32 v3, v2, 20, 1
	s_mov_b32 s8, exec_lo
	v_add3_u32 v3, v2, v3, 0x487ffff
	v_lshrrev_b32_e32 v3, 20, v3
	s_andn2_saveexec_b32 s9, s9
	s_cbranch_execnz .LBB9_1008
.LBB9_422:
	s_or_b32 exec_lo, exec_lo, s9
	v_mov_b32_e32 v6, 0
	s_and_saveexec_b32 s9, s8
.LBB9_423:
	v_lshrrev_b32_e32 v2, 24, v2
	v_and_or_b32 v6, 0x80, v2, v3
.LBB9_424:
	s_or_b32 exec_lo, exec_lo, s9
.LBB9_425:
	s_or_b32 exec_lo, exec_lo, s7
	global_store_byte v[4:5], v6, off
.LBB9_426:
	s_mov_b32 s7, 0
.LBB9_427:
	s_and_b32 vcc_lo, exec_lo, s7
	s_mov_b32 s7, 0
	s_cbranch_vccz .LBB9_467
; %bb.428:
	s_cmp_gt_i32 s6, 22
	s_mov_b32 s8, -1
	s_cbranch_scc0 .LBB9_460
; %bb.429:
	s_cmp_lt_i32 s6, 24
	s_cbranch_scc1 .LBB9_449
; %bb.430:
	s_cmp_gt_i32 s6, 24
	s_cbranch_scc0 .LBB9_438
; %bb.431:
	v_cvt_f32_f64_e32 v2, v[0:1]
	v_mov_b32_e32 v6, 0x80
	s_mov_b32 s8, exec_lo
	v_and_b32_e32 v3, 0x7fffffff, v2
	v_cmpx_gt_u32_e32 0x47800000, v3
	s_cbranch_execz .LBB9_437
; %bb.432:
	v_cmp_lt_u32_e32 vcc_lo, 0x37ffffff, v3
	s_mov_b32 s9, 0
                                        ; implicit-def: $vgpr3
	s_and_saveexec_b32 s10, vcc_lo
	s_xor_b32 s10, exec_lo, s10
	s_cbranch_execz .LBB9_1011
; %bb.433:
	v_bfe_u32 v3, v2, 21, 1
	s_mov_b32 s9, exec_lo
	v_add3_u32 v3, v2, v3, 0x88fffff
	v_lshrrev_b32_e32 v3, 21, v3
	s_andn2_saveexec_b32 s10, s10
	s_cbranch_execnz .LBB9_1012
.LBB9_434:
	s_or_b32 exec_lo, exec_lo, s10
	v_mov_b32_e32 v6, 0
	s_and_saveexec_b32 s10, s9
.LBB9_435:
	v_lshrrev_b32_e32 v2, 24, v2
	v_and_or_b32 v6, 0x80, v2, v3
.LBB9_436:
	s_or_b32 exec_lo, exec_lo, s10
.LBB9_437:
	s_or_b32 exec_lo, exec_lo, s8
	s_mov_b32 s8, 0
	global_store_byte v[4:5], v6, off
.LBB9_438:
	s_and_b32 vcc_lo, exec_lo, s8
	s_cbranch_vccz .LBB9_448
; %bb.439:
	v_cvt_f32_f64_e32 v2, v[0:1]
	s_mov_b32 s8, exec_lo
                                        ; implicit-def: $vgpr3
	v_and_b32_e32 v6, 0x7fffffff, v2
	v_cmpx_gt_u32_e32 0x43f00000, v6
	s_xor_b32 s8, exec_lo, s8
	s_cbranch_execz .LBB9_445
; %bb.440:
	s_mov_b32 s9, exec_lo
                                        ; implicit-def: $vgpr3
	v_cmpx_lt_u32_e32 0x3c7fffff, v6
	s_xor_b32 s9, exec_lo, s9
; %bb.441:
	v_bfe_u32 v3, v2, 20, 1
	v_add3_u32 v3, v2, v3, 0x407ffff
	v_and_b32_e32 v6, 0xff00000, v3
	v_lshrrev_b32_e32 v3, 20, v3
	v_cmp_ne_u32_e32 vcc_lo, 0x7f00000, v6
	v_cndmask_b32_e32 v3, 0x7e, v3, vcc_lo
; %bb.442:
	s_andn2_saveexec_b32 s9, s9
; %bb.443:
	v_add_f32_e64 v3, 0x46800000, |v2|
; %bb.444:
	s_or_b32 exec_lo, exec_lo, s9
                                        ; implicit-def: $vgpr6
.LBB9_445:
	s_andn2_saveexec_b32 s8, s8
; %bb.446:
	v_mov_b32_e32 v3, 0x7f
	v_cmp_lt_u32_e32 vcc_lo, 0x7f800000, v6
	v_cndmask_b32_e32 v3, 0x7e, v3, vcc_lo
; %bb.447:
	s_or_b32 exec_lo, exec_lo, s8
	v_lshrrev_b32_e32 v2, 24, v2
	v_and_or_b32 v2, 0x80, v2, v3
	global_store_byte v[4:5], v2, off
.LBB9_448:
	s_mov_b32 s8, 0
.LBB9_449:
	s_andn2_b32 vcc_lo, exec_lo, s8
	s_cbranch_vccnz .LBB9_459
; %bb.450:
	v_cvt_f32_f64_e32 v2, v[0:1]
	s_mov_b32 s8, exec_lo
                                        ; implicit-def: $vgpr3
	v_and_b32_e32 v6, 0x7fffffff, v2
	v_cmpx_gt_u32_e32 0x47800000, v6
	s_xor_b32 s8, exec_lo, s8
	s_cbranch_execz .LBB9_456
; %bb.451:
	s_mov_b32 s9, exec_lo
                                        ; implicit-def: $vgpr3
	v_cmpx_lt_u32_e32 0x387fffff, v6
	s_xor_b32 s9, exec_lo, s9
; %bb.452:
	v_bfe_u32 v3, v2, 21, 1
	v_add3_u32 v3, v2, v3, 0x80fffff
	v_lshrrev_b32_e32 v3, 21, v3
; %bb.453:
	s_andn2_saveexec_b32 s9, s9
; %bb.454:
	v_add_f32_e64 v3, 0x43000000, |v2|
; %bb.455:
	s_or_b32 exec_lo, exec_lo, s9
                                        ; implicit-def: $vgpr6
.LBB9_456:
	s_andn2_saveexec_b32 s8, s8
; %bb.457:
	v_mov_b32_e32 v3, 0x7f
	v_cmp_lt_u32_e32 vcc_lo, 0x7f800000, v6
	v_cndmask_b32_e32 v3, 0x7c, v3, vcc_lo
; %bb.458:
	s_or_b32 exec_lo, exec_lo, s8
	v_lshrrev_b32_e32 v2, 24, v2
	v_and_or_b32 v2, 0x80, v2, v3
	global_store_byte v[4:5], v2, off
.LBB9_459:
	s_mov_b32 s8, 0
.LBB9_460:
	s_andn2_b32 vcc_lo, exec_lo, s8
	s_mov_b32 s8, 0
	s_cbranch_vccnz .LBB9_468
; %bb.461:
	s_cmp_gt_i32 s6, 14
	s_mov_b32 s8, -1
	s_cbranch_scc0 .LBB9_465
; %bb.462:
	s_cmp_eq_u32 s6, 15
	s_mov_b32 s4, -1
	s_cbranch_scc0 .LBB9_464
; %bb.463:
	v_cvt_f32_f64_e32 v2, v[0:1]
	s_mov_b32 s4, 0
	v_bfe_u32 v3, v2, 16, 1
	v_cmp_o_f32_e32 vcc_lo, v2, v2
	v_add3_u32 v2, v2, v3, 0x7fff
	v_mov_b32_e32 v3, 0x7fc0
	v_cndmask_b32_sdwa v2, v3, v2, vcc_lo dst_sel:DWORD dst_unused:UNUSED_PAD src0_sel:DWORD src1_sel:WORD_1
	global_store_short v[4:5], v2, off
.LBB9_464:
	s_mov_b32 s8, 0
.LBB9_465:
	s_and_b32 vcc_lo, exec_lo, s8
	s_mov_b32 s8, 0
	s_cbranch_vccz .LBB9_468
; %bb.466:
	s_cmp_lg_u32 s6, 11
	s_mov_b32 s8, -1
	s_cselect_b32 s6, -1, 0
	s_andn2_b32 s4, s4, exec_lo
	s_and_b32 s6, s6, exec_lo
	s_or_b32 s4, s4, s6
	s_branch .LBB9_468
.LBB9_467:
	s_mov_b32 s8, 0
.LBB9_468:
	s_and_b32 s6, s7, exec_lo
	s_andn2_b32 s7, s46, exec_lo
	s_and_b32 s9, s4, exec_lo
	s_and_b32 s4, s8, exec_lo
	s_or_b32 s7, s7, s9
.LBB9_469:
	s_or_b32 exec_lo, exec_lo, s41
	s_andn2_b32 s8, s46, exec_lo
	s_and_b32 s7, s7, exec_lo
	s_and_b32 s6, s6, exec_lo
	;; [unrolled: 1-line block ×3, first 2 shown]
	s_or_b32 s46, s8, s7
.LBB9_470:
	s_or_b32 exec_lo, exec_lo, s45
	s_andn2_b32 s7, s43, exec_lo
	s_and_b32 s8, s46, exec_lo
	s_and_b32 s6, s6, exec_lo
	;; [unrolled: 1-line block ×3, first 2 shown]
	s_or_b32 s43, s7, s8
.LBB9_471:
	s_or_b32 exec_lo, exec_lo, s44
	s_andn2_b32 s7, s40, exec_lo
	s_and_b32 s8, s43, exec_lo
	s_and_b32 s6, s6, exec_lo
	;; [unrolled: 1-line block ×3, first 2 shown]
	s_or_b32 s40, s7, s8
	s_or_b32 exec_lo, exec_lo, s42
	s_mov_b32 s4, 0
	s_and_saveexec_b32 s7, s40
	s_cbranch_execz .LBB9_134
.LBB9_472:
	s_mov_b32 s4, exec_lo
	s_andn2_b32 s43, s43, exec_lo
	s_trap 2
	s_or_b32 exec_lo, exec_lo, s7
	s_and_saveexec_b32 s7, s43
	s_xor_b32 s7, exec_lo, s7
	s_cbranch_execnz .LBB9_135
.LBB9_473:
	s_or_b32 exec_lo, exec_lo, s7
	s_and_saveexec_b32 s7, s6
	s_xor_b32 s6, exec_lo, s7
	s_cbranch_execz .LBB9_511
.LBB9_474:
	s_sext_i32_i16 s8, s5
	s_mov_b32 s7, -1
	s_cmp_lt_i32 s8, 5
	s_cbranch_scc1 .LBB9_495
; %bb.475:
	s_cmp_lt_i32 s8, 8
	s_cbranch_scc1 .LBB9_485
; %bb.476:
	;; [unrolled: 3-line block ×3, first 2 shown]
	s_cmp_gt_i32 s8, 9
	s_cbranch_scc0 .LBB9_479
; %bb.478:
	v_mov_b32_e32 v2, 0
	s_mov_b32 s7, 0
	v_mov_b32_e32 v3, v2
	global_store_dwordx4 v[4:5], v[0:3], off
.LBB9_479:
	s_andn2_b32 vcc_lo, exec_lo, s7
	s_cbranch_vccnz .LBB9_481
; %bb.480:
	v_cvt_f32_f64_e32 v2, v[0:1]
	v_mov_b32_e32 v3, 0
	global_store_dwordx2 v[4:5], v[2:3], off
.LBB9_481:
	s_mov_b32 s7, 0
.LBB9_482:
	s_andn2_b32 vcc_lo, exec_lo, s7
	s_cbranch_vccnz .LBB9_484
; %bb.483:
	v_and_or_b32 v2, 0x1ff, v1, v0
	v_lshrrev_b32_e32 v3, 8, v1
	v_bfe_u32 v6, v1, 20, 11
	v_cmp_ne_u32_e32 vcc_lo, 0, v2
	v_sub_nc_u32_e32 v7, 0x3f1, v6
	v_add_nc_u32_e32 v6, 0xfffffc10, v6
	v_cndmask_b32_e64 v2, 0, 1, vcc_lo
	v_and_or_b32 v2, 0xffe, v3, v2
	v_med3_i32 v3, v7, 0, 13
	v_or_b32_e32 v7, 0x1000, v2
	v_lshrrev_b32_e32 v8, v3, v7
	v_lshlrev_b32_e32 v3, v3, v8
	v_cmp_ne_u32_e32 vcc_lo, v3, v7
	v_lshl_or_b32 v7, v6, 12, v2
	v_cndmask_b32_e64 v3, 0, 1, vcc_lo
	v_cmp_gt_i32_e32 vcc_lo, 1, v6
	v_or_b32_e32 v3, v8, v3
	v_cndmask_b32_e32 v3, v7, v3, vcc_lo
	v_and_b32_e32 v7, 7, v3
	v_lshrrev_b32_e32 v3, 2, v3
	v_cmp_lt_i32_e32 vcc_lo, 5, v7
	v_cndmask_b32_e64 v8, 0, 1, vcc_lo
	v_cmp_eq_u32_e32 vcc_lo, 3, v7
	v_cndmask_b32_e64 v7, 0, 1, vcc_lo
	v_cmp_ne_u32_e32 vcc_lo, 0, v2
	v_or_b32_e32 v7, v7, v8
	v_mov_b32_e32 v8, 0x7e00
	v_add_nc_u32_e32 v3, v3, v7
	v_cndmask_b32_e32 v2, 0x7c00, v8, vcc_lo
	v_cmp_gt_i32_e32 vcc_lo, 31, v6
	v_cndmask_b32_e32 v3, 0x7c00, v3, vcc_lo
	v_cmp_eq_u32_e32 vcc_lo, 0x40f, v6
	v_cndmask_b32_e32 v2, v3, v2, vcc_lo
	v_lshrrev_b32_e32 v3, 16, v1
	v_and_or_b32 v2, 0x8000, v3, v2
	v_and_b32_e32 v2, 0xffff, v2
	global_store_dword v[4:5], v2, off
.LBB9_484:
	s_mov_b32 s7, 0
.LBB9_485:
	s_andn2_b32 vcc_lo, exec_lo, s7
	s_cbranch_vccnz .LBB9_494
; %bb.486:
	s_sext_i32_i16 s8, s5
	s_mov_b32 s7, -1
	s_cmp_lt_i32 s8, 6
	s_cbranch_scc1 .LBB9_492
; %bb.487:
	s_cmp_gt_i32 s8, 6
	s_cbranch_scc0 .LBB9_489
; %bb.488:
	s_mov_b32 s7, 0
	global_store_dwordx2 v[4:5], v[0:1], off
.LBB9_489:
	s_andn2_b32 vcc_lo, exec_lo, s7
	s_cbranch_vccnz .LBB9_491
; %bb.490:
	v_cvt_f32_f64_e32 v2, v[0:1]
	global_store_dword v[4:5], v2, off
.LBB9_491:
	s_mov_b32 s7, 0
.LBB9_492:
	s_andn2_b32 vcc_lo, exec_lo, s7
	s_cbranch_vccnz .LBB9_494
; %bb.493:
	v_and_or_b32 v2, 0x1ff, v1, v0
	v_lshrrev_b32_e32 v3, 8, v1
	v_bfe_u32 v6, v1, 20, 11
	v_cmp_ne_u32_e32 vcc_lo, 0, v2
	v_sub_nc_u32_e32 v7, 0x3f1, v6
	v_add_nc_u32_e32 v6, 0xfffffc10, v6
	v_cndmask_b32_e64 v2, 0, 1, vcc_lo
	v_and_or_b32 v2, 0xffe, v3, v2
	v_med3_i32 v3, v7, 0, 13
	v_or_b32_e32 v7, 0x1000, v2
	v_lshrrev_b32_e32 v8, v3, v7
	v_lshlrev_b32_e32 v3, v3, v8
	v_cmp_ne_u32_e32 vcc_lo, v3, v7
	v_lshl_or_b32 v7, v6, 12, v2
	v_cndmask_b32_e64 v3, 0, 1, vcc_lo
	v_cmp_gt_i32_e32 vcc_lo, 1, v6
	v_or_b32_e32 v3, v8, v3
	v_cndmask_b32_e32 v3, v7, v3, vcc_lo
	v_and_b32_e32 v7, 7, v3
	v_lshrrev_b32_e32 v3, 2, v3
	v_cmp_lt_i32_e32 vcc_lo, 5, v7
	v_cndmask_b32_e64 v8, 0, 1, vcc_lo
	v_cmp_eq_u32_e32 vcc_lo, 3, v7
	v_cndmask_b32_e64 v7, 0, 1, vcc_lo
	v_cmp_ne_u32_e32 vcc_lo, 0, v2
	v_or_b32_e32 v7, v7, v8
	v_mov_b32_e32 v8, 0x7e00
	v_add_nc_u32_e32 v3, v3, v7
	v_cndmask_b32_e32 v2, 0x7c00, v8, vcc_lo
	v_cmp_gt_i32_e32 vcc_lo, 31, v6
	v_cndmask_b32_e32 v3, 0x7c00, v3, vcc_lo
	v_cmp_eq_u32_e32 vcc_lo, 0x40f, v6
	v_cndmask_b32_e32 v2, v3, v2, vcc_lo
	v_lshrrev_b32_e32 v3, 16, v1
	v_and_or_b32 v2, 0x8000, v3, v2
	global_store_short v[4:5], v2, off
.LBB9_494:
	s_mov_b32 s7, 0
.LBB9_495:
	s_andn2_b32 vcc_lo, exec_lo, s7
	s_cbranch_vccnz .LBB9_511
; %bb.496:
	s_sext_i32_i16 s8, s5
	s_mov_b32 s7, -1
	s_cmp_lt_i32 s8, 2
	s_cbranch_scc1 .LBB9_506
; %bb.497:
	s_cmp_lt_i32 s8, 3
	s_cbranch_scc1 .LBB9_503
; %bb.498:
	s_cmp_gt_i32 s8, 3
	s_cbranch_scc0 .LBB9_500
; %bb.499:
	v_trunc_f64_e32 v[2:3], v[0:1]
	s_mov_b32 s7, 0
	v_ldexp_f64 v[6:7], v[2:3], 0xffffffe0
	v_floor_f64_e32 v[6:7], v[6:7]
	v_fma_f64 v[2:3], 0xc1f00000, v[6:7], v[2:3]
	v_cvt_i32_f64_e32 v7, v[6:7]
	v_cvt_u32_f64_e32 v6, v[2:3]
	global_store_dwordx2 v[4:5], v[6:7], off
.LBB9_500:
	s_andn2_b32 vcc_lo, exec_lo, s7
	s_cbranch_vccnz .LBB9_502
; %bb.501:
	v_cvt_i32_f64_e32 v2, v[0:1]
	global_store_dword v[4:5], v2, off
.LBB9_502:
	s_mov_b32 s7, 0
.LBB9_503:
	s_andn2_b32 vcc_lo, exec_lo, s7
	s_cbranch_vccnz .LBB9_505
; %bb.504:
	v_cvt_i32_f64_e32 v2, v[0:1]
	global_store_short v[4:5], v2, off
.LBB9_505:
	s_mov_b32 s7, 0
.LBB9_506:
	s_andn2_b32 vcc_lo, exec_lo, s7
	s_cbranch_vccnz .LBB9_511
; %bb.507:
	s_sext_i32_i16 s5, s5
	s_cmp_gt_i32 s5, 0
	s_mov_b32 s5, -1
	s_cbranch_scc0 .LBB9_509
; %bb.508:
	v_cvt_i32_f64_e32 v2, v[0:1]
	s_mov_b32 s5, 0
	global_store_byte v[4:5], v2, off
.LBB9_509:
	s_andn2_b32 vcc_lo, exec_lo, s5
	s_cbranch_vccnz .LBB9_511
; %bb.510:
	v_trunc_f64_e32 v[0:1], v[0:1]
	v_ldexp_f64 v[2:3], v[0:1], 0xffffffe0
	v_floor_f64_e32 v[2:3], v[2:3]
	v_fma_f64 v[0:1], 0xc1f00000, v[2:3], v[0:1]
	v_cvt_u32_f64_e32 v0, v[0:1]
	global_store_byte v[4:5], v0, off
.LBB9_511:
	s_or_b32 exec_lo, exec_lo, s6
	s_and_b32 s40, s4, exec_lo
                                        ; implicit-def: $vgpr46
                                        ; implicit-def: $vgpr47
                                        ; implicit-def: $vgpr56
.LBB9_512:
	s_or_saveexec_b32 s35, s35
	s_mov_b32 s4, 0
                                        ; implicit-def: $sgpr5
                                        ; implicit-def: $vgpr4_vgpr5
                                        ; implicit-def: $vgpr0_vgpr1
	s_xor_b32 exec_lo, exec_lo, s35
	s_cbranch_execz .LBB9_945
; %bb.513:
	v_mov_b32_e32 v0, s38
	v_mov_b32_e32 v1, s39
	;; [unrolled: 1-line block ×5, first 2 shown]
	s_getpc_b64 s[42:43]
	s_add_u32 s42, s42, _ZN2at6native6invokeIZZZNS0_12_GLOBAL__N_119airy_ai_kernel_cudaERNS_18TensorIteratorBaseEENKUlvE_clEvENKUlvE_clEvEUldE_i15function_traitsIS7_EEENT1_11result_typeERKT_PrKPcPKT0_PKN3c1010ScalarTypeEi@rel32@lo+4
	s_addc_u32 s43, s43, _ZN2at6native6invokeIZZZNS0_12_GLOBAL__N_119airy_ai_kernel_cudaERNS_18TensorIteratorBaseEENKUlvE_clEvENKUlvE_clEvEUldE_i15function_traitsIS7_EEENT1_11result_typeERKT_PrKPcPKT0_PKN3c1010ScalarTypeEi@rel32@hi+12
	v_add_nc_u32_e32 v40, 0x80, v46
	v_add_nc_u32_e32 v41, 0x100, v46
	s_swappc_b64 s[30:31], s[42:43]
	v_mov_b32_e32 v44, v0
	v_mov_b32_e32 v45, v1
	v_mov_b32_e32 v0, s38
	v_mov_b32_e32 v1, s39
	v_mov_b32_e32 v2, s29
	v_mov_b32_e32 v3, v47
	v_mov_b32_e32 v4, v40
	s_swappc_b64 s[30:31], s[42:43]
	v_mov_b32_e32 v42, v0
	v_mov_b32_e32 v43, v1
	v_mov_b32_e32 v0, s38
	v_mov_b32_e32 v1, s39
	v_mov_b32_e32 v2, s29
	v_mov_b32_e32 v3, v47
	v_mov_b32_e32 v4, v41
	;; [unrolled: 8-line block ×3, first 2 shown]
	s_swappc_b64 s[30:31], s[42:43]
	v_mul_lo_u32 v4, s28, v46
	s_and_b32 s5, s33, 0xff
	s_cmp_lt_i32 s5, 11
	v_ashrrev_i32_e32 v3, 31, v4
	v_add_co_u32 v2, vcc_lo, s36, v4
	v_add_co_ci_u32_e64 v3, null, s37, v3, vcc_lo
	s_cbranch_scc1 .LBB9_592
; %bb.514:
	s_and_b32 s6, 0xffff, s5
	s_mov_b32 s9, -1
	s_mov_b32 s7, 0
	s_cmp_gt_i32 s6, 25
	s_mov_b32 s8, 0
	s_mov_b32 s4, 0
	s_cbranch_scc0 .LBB9_547
; %bb.515:
	s_cmp_gt_i32 s6, 28
	s_cbranch_scc0 .LBB9_530
; %bb.516:
	s_cmp_gt_i32 s6, 43
	;; [unrolled: 3-line block ×3, first 2 shown]
	s_cbranch_scc0 .LBB9_520
; %bb.518:
	s_mov_b32 s4, -1
	s_mov_b32 s9, 0
	s_cmp_eq_u32 s6, 46
	s_cbranch_scc0 .LBB9_520
; %bb.519:
	v_cvt_f32_f64_e32 v5, v[44:45]
	s_mov_b32 s4, 0
	s_mov_b32 s8, -1
	v_bfe_u32 v6, v5, 16, 1
	v_cmp_o_f32_e32 vcc_lo, v5, v5
	v_add3_u32 v5, v5, v6, 0x7fff
	v_mov_b32_e32 v6, 0x7fc0
	v_cndmask_b32_sdwa v5, v6, v5, vcc_lo dst_sel:DWORD dst_unused:UNUSED_PAD src0_sel:DWORD src1_sel:WORD_1
	global_store_dword v[2:3], v5, off
.LBB9_520:
	s_and_b32 vcc_lo, exec_lo, s9
	s_cbranch_vccz .LBB9_525
; %bb.521:
	s_cmp_eq_u32 s6, 44
	s_mov_b32 s4, -1
	s_cbranch_scc0 .LBB9_525
; %bb.522:
	v_cvt_f32_f64_e32 v5, v[44:45]
	v_mov_b32_e32 v6, 0xff
	s_mov_b32 s8, exec_lo
	v_bfe_u32 v7, v5, 23, 8
	v_cmpx_ne_u32_e32 0xff, v7
	s_cbranch_execz .LBB9_524
; %bb.523:
	v_and_b32_e32 v6, 0x400000, v5
	v_and_or_b32 v7, 0x3fffff, v5, v7
	v_lshrrev_b32_e32 v5, 23, v5
	v_cmp_ne_u32_e32 vcc_lo, 0, v6
	v_cmp_ne_u32_e64 s4, 0, v7
	s_and_b32 s4, vcc_lo, s4
	v_cndmask_b32_e64 v6, 0, 1, s4
	v_add_nc_u32_e32 v6, v5, v6
.LBB9_524:
	s_or_b32 exec_lo, exec_lo, s8
	s_mov_b32 s4, 0
	s_mov_b32 s8, -1
	global_store_byte v[2:3], v6, off
.LBB9_525:
	s_mov_b32 s9, 0
.LBB9_526:
	s_and_b32 vcc_lo, exec_lo, s9
	s_cbranch_vccz .LBB9_529
; %bb.527:
	s_cmp_eq_u32 s6, 29
	s_mov_b32 s4, -1
	s_cbranch_scc0 .LBB9_529
; %bb.528:
	v_trunc_f64_e32 v[5:6], v[44:45]
	s_mov_b32 s4, 0
	s_mov_b32 s8, -1
	v_ldexp_f64 v[7:8], v[5:6], 0xffffffe0
	v_floor_f64_e32 v[7:8], v[7:8]
	v_fma_f64 v[5:6], 0xc1f00000, v[7:8], v[5:6]
	v_cvt_u32_f64_e32 v7, v[7:8]
	v_cvt_u32_f64_e32 v6, v[5:6]
	global_store_dwordx2 v[2:3], v[6:7], off
.LBB9_529:
	s_mov_b32 s9, 0
.LBB9_530:
	s_and_b32 vcc_lo, exec_lo, s9
	s_cbranch_vccz .LBB9_546
; %bb.531:
	s_cmp_lt_i32 s6, 27
	s_mov_b32 s8, -1
	s_cbranch_scc1 .LBB9_537
; %bb.532:
	v_cvt_u32_f64_e32 v5, v[44:45]
	s_cmp_gt_i32 s6, 27
	s_cbranch_scc0 .LBB9_534
; %bb.533:
	s_mov_b32 s8, 0
	global_store_dword v[2:3], v5, off
.LBB9_534:
	s_andn2_b32 vcc_lo, exec_lo, s8
	s_cbranch_vccnz .LBB9_536
; %bb.535:
	global_store_short v[2:3], v5, off
.LBB9_536:
	s_mov_b32 s8, 0
.LBB9_537:
	s_andn2_b32 vcc_lo, exec_lo, s8
	s_cbranch_vccnz .LBB9_545
; %bb.538:
	v_cvt_f32_f64_e32 v5, v[44:45]
	v_mov_b32_e32 v7, 0x80
	s_mov_b32 s8, exec_lo
	v_and_b32_e32 v6, 0x7fffffff, v5
	v_cmpx_gt_u32_e32 0x43800000, v6
	s_cbranch_execz .LBB9_544
; %bb.539:
	v_cmp_lt_u32_e32 vcc_lo, 0x3bffffff, v6
	s_mov_b32 s9, 0
                                        ; implicit-def: $vgpr6
	s_and_saveexec_b32 s10, vcc_lo
	s_xor_b32 s10, exec_lo, s10
	s_cbranch_execz .LBB9_989
; %bb.540:
	v_bfe_u32 v6, v5, 20, 1
	s_mov_b32 s9, exec_lo
	v_add3_u32 v6, v5, v6, 0x487ffff
	v_lshrrev_b32_e32 v6, 20, v6
	s_andn2_saveexec_b32 s10, s10
	s_cbranch_execnz .LBB9_990
.LBB9_541:
	s_or_b32 exec_lo, exec_lo, s10
	v_mov_b32_e32 v7, 0
	s_and_saveexec_b32 s10, s9
.LBB9_542:
	v_lshrrev_b32_e32 v5, 24, v5
	v_and_or_b32 v7, 0x80, v5, v6
.LBB9_543:
	s_or_b32 exec_lo, exec_lo, s10
.LBB9_544:
	s_or_b32 exec_lo, exec_lo, s8
	global_store_byte v[2:3], v7, off
.LBB9_545:
	s_mov_b32 s8, -1
.LBB9_546:
	s_mov_b32 s9, 0
.LBB9_547:
	s_and_b32 vcc_lo, exec_lo, s9
	s_cbranch_vccz .LBB9_587
; %bb.548:
	s_cmp_gt_i32 s6, 22
	s_mov_b32 s7, -1
	s_cbranch_scc0 .LBB9_580
; %bb.549:
	s_cmp_lt_i32 s6, 24
	s_cbranch_scc1 .LBB9_569
; %bb.550:
	s_cmp_gt_i32 s6, 24
	s_cbranch_scc0 .LBB9_558
; %bb.551:
	v_cvt_f32_f64_e32 v5, v[44:45]
	v_mov_b32_e32 v7, 0x80
	s_mov_b32 s7, exec_lo
	v_and_b32_e32 v6, 0x7fffffff, v5
	v_cmpx_gt_u32_e32 0x47800000, v6
	s_cbranch_execz .LBB9_557
; %bb.552:
	v_cmp_lt_u32_e32 vcc_lo, 0x37ffffff, v6
	s_mov_b32 s8, 0
                                        ; implicit-def: $vgpr6
	s_and_saveexec_b32 s9, vcc_lo
	s_xor_b32 s9, exec_lo, s9
	s_cbranch_execz .LBB9_992
; %bb.553:
	v_bfe_u32 v6, v5, 21, 1
	s_mov_b32 s8, exec_lo
	v_add3_u32 v6, v5, v6, 0x88fffff
	v_lshrrev_b32_e32 v6, 21, v6
	s_andn2_saveexec_b32 s9, s9
	s_cbranch_execnz .LBB9_993
.LBB9_554:
	s_or_b32 exec_lo, exec_lo, s9
	v_mov_b32_e32 v7, 0
	s_and_saveexec_b32 s9, s8
.LBB9_555:
	v_lshrrev_b32_e32 v5, 24, v5
	v_and_or_b32 v7, 0x80, v5, v6
.LBB9_556:
	s_or_b32 exec_lo, exec_lo, s9
.LBB9_557:
	s_or_b32 exec_lo, exec_lo, s7
	s_mov_b32 s7, 0
	global_store_byte v[2:3], v7, off
.LBB9_558:
	s_and_b32 vcc_lo, exec_lo, s7
	s_cbranch_vccz .LBB9_568
; %bb.559:
	v_cvt_f32_f64_e32 v5, v[44:45]
	s_mov_b32 s7, exec_lo
                                        ; implicit-def: $vgpr6
	v_and_b32_e32 v7, 0x7fffffff, v5
	v_cmpx_gt_u32_e32 0x43f00000, v7
	s_xor_b32 s7, exec_lo, s7
	s_cbranch_execz .LBB9_565
; %bb.560:
	s_mov_b32 s8, exec_lo
                                        ; implicit-def: $vgpr6
	v_cmpx_lt_u32_e32 0x3c7fffff, v7
	s_xor_b32 s8, exec_lo, s8
; %bb.561:
	v_bfe_u32 v6, v5, 20, 1
	v_add3_u32 v6, v5, v6, 0x407ffff
	v_and_b32_e32 v7, 0xff00000, v6
	v_lshrrev_b32_e32 v6, 20, v6
	v_cmp_ne_u32_e32 vcc_lo, 0x7f00000, v7
	v_cndmask_b32_e32 v6, 0x7e, v6, vcc_lo
; %bb.562:
	s_andn2_saveexec_b32 s8, s8
; %bb.563:
	v_add_f32_e64 v6, 0x46800000, |v5|
; %bb.564:
	s_or_b32 exec_lo, exec_lo, s8
                                        ; implicit-def: $vgpr7
.LBB9_565:
	s_andn2_saveexec_b32 s7, s7
; %bb.566:
	v_mov_b32_e32 v6, 0x7f
	v_cmp_lt_u32_e32 vcc_lo, 0x7f800000, v7
	v_cndmask_b32_e32 v6, 0x7e, v6, vcc_lo
; %bb.567:
	s_or_b32 exec_lo, exec_lo, s7
	v_lshrrev_b32_e32 v5, 24, v5
	v_and_or_b32 v5, 0x80, v5, v6
	global_store_byte v[2:3], v5, off
.LBB9_568:
	s_mov_b32 s7, 0
.LBB9_569:
	s_andn2_b32 vcc_lo, exec_lo, s7
	s_cbranch_vccnz .LBB9_579
; %bb.570:
	v_cvt_f32_f64_e32 v5, v[44:45]
	s_mov_b32 s7, exec_lo
                                        ; implicit-def: $vgpr6
	v_and_b32_e32 v7, 0x7fffffff, v5
	v_cmpx_gt_u32_e32 0x47800000, v7
	s_xor_b32 s7, exec_lo, s7
	s_cbranch_execz .LBB9_576
; %bb.571:
	s_mov_b32 s8, exec_lo
                                        ; implicit-def: $vgpr6
	v_cmpx_lt_u32_e32 0x387fffff, v7
	s_xor_b32 s8, exec_lo, s8
; %bb.572:
	v_bfe_u32 v6, v5, 21, 1
	v_add3_u32 v6, v5, v6, 0x80fffff
	v_lshrrev_b32_e32 v6, 21, v6
; %bb.573:
	s_andn2_saveexec_b32 s8, s8
; %bb.574:
	v_add_f32_e64 v6, 0x43000000, |v5|
; %bb.575:
	s_or_b32 exec_lo, exec_lo, s8
                                        ; implicit-def: $vgpr7
.LBB9_576:
	s_andn2_saveexec_b32 s7, s7
; %bb.577:
	v_mov_b32_e32 v6, 0x7f
	v_cmp_lt_u32_e32 vcc_lo, 0x7f800000, v7
	v_cndmask_b32_e32 v6, 0x7c, v6, vcc_lo
; %bb.578:
	s_or_b32 exec_lo, exec_lo, s7
	v_lshrrev_b32_e32 v5, 24, v5
	v_and_or_b32 v5, 0x80, v5, v6
	global_store_byte v[2:3], v5, off
.LBB9_579:
	s_mov_b32 s7, 0
	s_mov_b32 s8, -1
.LBB9_580:
	s_andn2_b32 vcc_lo, exec_lo, s7
	s_mov_b32 s7, 0
	s_cbranch_vccnz .LBB9_587
; %bb.581:
	s_cmp_gt_i32 s6, 14
	s_mov_b32 s7, -1
	s_cbranch_scc0 .LBB9_585
; %bb.582:
	s_cmp_eq_u32 s6, 15
	s_mov_b32 s4, -1
	s_cbranch_scc0 .LBB9_584
; %bb.583:
	v_cvt_f32_f64_e32 v5, v[44:45]
	s_mov_b32 s4, 0
	s_mov_b32 s8, -1
	v_bfe_u32 v6, v5, 16, 1
	v_cmp_o_f32_e32 vcc_lo, v5, v5
	v_add3_u32 v5, v5, v6, 0x7fff
	v_mov_b32_e32 v6, 0x7fc0
	v_cndmask_b32_sdwa v5, v6, v5, vcc_lo dst_sel:DWORD dst_unused:UNUSED_PAD src0_sel:DWORD src1_sel:WORD_1
	global_store_short v[2:3], v5, off
.LBB9_584:
	s_mov_b32 s7, 0
.LBB9_585:
	s_and_b32 vcc_lo, exec_lo, s7
	s_mov_b32 s7, 0
	s_cbranch_vccz .LBB9_587
; %bb.586:
	s_cmp_lg_u32 s6, 11
	s_mov_b32 s7, -1
	s_cselect_b32 s4, -1, 0
.LBB9_587:
	s_and_b32 vcc_lo, exec_lo, s4
	s_mov_b32 s6, s40
	s_cbranch_vccnz .LBB9_991
; %bb.588:
	s_andn2_b32 vcc_lo, exec_lo, s7
	s_cbranch_vccnz .LBB9_590
.LBB9_589:
	v_cmp_neq_f64_e32 vcc_lo, 0, v[44:45]
	s_mov_b32 s8, -1
	v_cndmask_b32_e64 v5, 0, 1, vcc_lo
	global_store_byte v[2:3], v5, off
.LBB9_590:
.LBB9_591:
	s_andn2_b32 vcc_lo, exec_lo, s8
	s_cbranch_vccz .LBB9_631
	s_branch .LBB9_943
.LBB9_592:
	s_mov_b32 s8, 0
	s_mov_b32 s6, s40
	s_cbranch_execz .LBB9_591
; %bb.593:
	s_and_b32 s4, 0xffff, s5
	s_mov_b32 s7, -1
	s_cmp_lt_i32 s4, 5
	s_cbranch_scc1 .LBB9_614
; %bb.594:
	s_cmp_lt_i32 s4, 8
	s_cbranch_scc1 .LBB9_604
; %bb.595:
	;; [unrolled: 3-line block ×3, first 2 shown]
	s_cmp_gt_i32 s4, 9
	s_cbranch_scc0 .LBB9_598
; %bb.597:
	v_mov_b32_e32 v46, 0
	s_mov_b32 s7, 0
	v_mov_b32_e32 v47, v46
	global_store_dwordx4 v[2:3], v[44:47], off
.LBB9_598:
	s_andn2_b32 vcc_lo, exec_lo, s7
	s_cbranch_vccnz .LBB9_600
; %bb.599:
	v_cvt_f32_f64_e32 v5, v[44:45]
	v_mov_b32_e32 v6, 0
	global_store_dwordx2 v[2:3], v[5:6], off
.LBB9_600:
	s_mov_b32 s7, 0
.LBB9_601:
	s_andn2_b32 vcc_lo, exec_lo, s7
	s_cbranch_vccnz .LBB9_603
; %bb.602:
	v_and_or_b32 v5, 0x1ff, v45, v44
	v_lshrrev_b32_e32 v6, 8, v45
	v_bfe_u32 v7, v45, 20, 11
	v_cmp_ne_u32_e32 vcc_lo, 0, v5
	v_sub_nc_u32_e32 v8, 0x3f1, v7
	v_add_nc_u32_e32 v7, 0xfffffc10, v7
	v_cndmask_b32_e64 v5, 0, 1, vcc_lo
	v_and_or_b32 v5, 0xffe, v6, v5
	v_med3_i32 v6, v8, 0, 13
	v_or_b32_e32 v8, 0x1000, v5
	v_lshrrev_b32_e32 v9, v6, v8
	v_lshlrev_b32_e32 v6, v6, v9
	v_cmp_ne_u32_e32 vcc_lo, v6, v8
	v_lshl_or_b32 v8, v7, 12, v5
	v_cndmask_b32_e64 v6, 0, 1, vcc_lo
	v_cmp_gt_i32_e32 vcc_lo, 1, v7
	v_or_b32_e32 v6, v9, v6
	v_cndmask_b32_e32 v6, v8, v6, vcc_lo
	v_and_b32_e32 v8, 7, v6
	v_lshrrev_b32_e32 v6, 2, v6
	v_cmp_lt_i32_e32 vcc_lo, 5, v8
	v_cndmask_b32_e64 v9, 0, 1, vcc_lo
	v_cmp_eq_u32_e32 vcc_lo, 3, v8
	v_cndmask_b32_e64 v8, 0, 1, vcc_lo
	v_cmp_ne_u32_e32 vcc_lo, 0, v5
	v_or_b32_e32 v8, v8, v9
	v_mov_b32_e32 v9, 0x7e00
	v_add_nc_u32_e32 v6, v6, v8
	v_cndmask_b32_e32 v5, 0x7c00, v9, vcc_lo
	v_cmp_gt_i32_e32 vcc_lo, 31, v7
	v_cndmask_b32_e32 v6, 0x7c00, v6, vcc_lo
	v_cmp_eq_u32_e32 vcc_lo, 0x40f, v7
	v_cndmask_b32_e32 v5, v6, v5, vcc_lo
	v_lshrrev_b32_e32 v6, 16, v45
	v_and_or_b32 v5, 0x8000, v6, v5
	v_and_b32_e32 v5, 0xffff, v5
	global_store_dword v[2:3], v5, off
.LBB9_603:
	s_mov_b32 s7, 0
.LBB9_604:
	s_andn2_b32 vcc_lo, exec_lo, s7
	s_cbranch_vccnz .LBB9_613
; %bb.605:
	s_cmp_lt_i32 s4, 6
	s_mov_b32 s7, -1
	s_cbranch_scc1 .LBB9_611
; %bb.606:
	s_cmp_gt_i32 s4, 6
	s_cbranch_scc0 .LBB9_608
; %bb.607:
	s_mov_b32 s7, 0
	global_store_dwordx2 v[2:3], v[44:45], off
.LBB9_608:
	s_andn2_b32 vcc_lo, exec_lo, s7
	s_cbranch_vccnz .LBB9_610
; %bb.609:
	v_cvt_f32_f64_e32 v5, v[44:45]
	global_store_dword v[2:3], v5, off
.LBB9_610:
	s_mov_b32 s7, 0
.LBB9_611:
	s_andn2_b32 vcc_lo, exec_lo, s7
	s_cbranch_vccnz .LBB9_613
; %bb.612:
	v_and_or_b32 v5, 0x1ff, v45, v44
	v_lshrrev_b32_e32 v6, 8, v45
	v_bfe_u32 v7, v45, 20, 11
	v_cmp_ne_u32_e32 vcc_lo, 0, v5
	v_sub_nc_u32_e32 v8, 0x3f1, v7
	v_add_nc_u32_e32 v7, 0xfffffc10, v7
	v_cndmask_b32_e64 v5, 0, 1, vcc_lo
	v_and_or_b32 v5, 0xffe, v6, v5
	v_med3_i32 v6, v8, 0, 13
	v_or_b32_e32 v8, 0x1000, v5
	v_lshrrev_b32_e32 v9, v6, v8
	v_lshlrev_b32_e32 v6, v6, v9
	v_cmp_ne_u32_e32 vcc_lo, v6, v8
	v_lshl_or_b32 v8, v7, 12, v5
	v_cndmask_b32_e64 v6, 0, 1, vcc_lo
	v_cmp_gt_i32_e32 vcc_lo, 1, v7
	v_or_b32_e32 v6, v9, v6
	v_cndmask_b32_e32 v6, v8, v6, vcc_lo
	v_and_b32_e32 v8, 7, v6
	v_lshrrev_b32_e32 v6, 2, v6
	v_cmp_lt_i32_e32 vcc_lo, 5, v8
	v_cndmask_b32_e64 v9, 0, 1, vcc_lo
	v_cmp_eq_u32_e32 vcc_lo, 3, v8
	v_cndmask_b32_e64 v8, 0, 1, vcc_lo
	v_cmp_ne_u32_e32 vcc_lo, 0, v5
	v_or_b32_e32 v8, v8, v9
	v_mov_b32_e32 v9, 0x7e00
	v_add_nc_u32_e32 v6, v6, v8
	v_cndmask_b32_e32 v5, 0x7c00, v9, vcc_lo
	v_cmp_gt_i32_e32 vcc_lo, 31, v7
	v_cndmask_b32_e32 v6, 0x7c00, v6, vcc_lo
	v_cmp_eq_u32_e32 vcc_lo, 0x40f, v7
	v_cndmask_b32_e32 v5, v6, v5, vcc_lo
	v_lshrrev_b32_e32 v6, 16, v45
	v_and_or_b32 v5, 0x8000, v6, v5
	global_store_short v[2:3], v5, off
.LBB9_613:
	s_mov_b32 s7, 0
.LBB9_614:
	s_andn2_b32 vcc_lo, exec_lo, s7
	s_cbranch_vccnz .LBB9_630
; %bb.615:
	s_cmp_lt_i32 s4, 2
	s_mov_b32 s7, -1
	s_cbranch_scc1 .LBB9_625
; %bb.616:
	s_cmp_lt_i32 s4, 3
	s_cbranch_scc1 .LBB9_622
; %bb.617:
	s_cmp_gt_i32 s4, 3
	s_cbranch_scc0 .LBB9_619
; %bb.618:
	v_trunc_f64_e32 v[5:6], v[44:45]
	s_mov_b32 s7, 0
	v_ldexp_f64 v[7:8], v[5:6], 0xffffffe0
	v_floor_f64_e32 v[7:8], v[7:8]
	v_fma_f64 v[5:6], 0xc1f00000, v[7:8], v[5:6]
	v_cvt_i32_f64_e32 v7, v[7:8]
	v_cvt_u32_f64_e32 v6, v[5:6]
	global_store_dwordx2 v[2:3], v[6:7], off
.LBB9_619:
	s_andn2_b32 vcc_lo, exec_lo, s7
	s_cbranch_vccnz .LBB9_621
; %bb.620:
	v_cvt_i32_f64_e32 v5, v[44:45]
	global_store_dword v[2:3], v5, off
.LBB9_621:
	s_mov_b32 s7, 0
.LBB9_622:
	s_andn2_b32 vcc_lo, exec_lo, s7
	s_cbranch_vccnz .LBB9_624
; %bb.623:
	v_cvt_i32_f64_e32 v5, v[44:45]
	global_store_short v[2:3], v5, off
.LBB9_624:
	s_mov_b32 s7, 0
.LBB9_625:
	s_andn2_b32 vcc_lo, exec_lo, s7
	s_cbranch_vccnz .LBB9_630
; %bb.626:
	s_cmp_gt_i32 s4, 0
	s_mov_b32 s4, -1
	s_cbranch_scc0 .LBB9_628
; %bb.627:
	v_cvt_i32_f64_e32 v5, v[44:45]
	s_mov_b32 s4, 0
	global_store_byte v[2:3], v5, off
.LBB9_628:
	s_andn2_b32 vcc_lo, exec_lo, s4
	s_cbranch_vccnz .LBB9_630
; %bb.629:
	v_trunc_f64_e32 v[5:6], v[44:45]
	v_ldexp_f64 v[7:8], v[5:6], 0xffffffe0
	v_floor_f64_e32 v[7:8], v[7:8]
	v_fma_f64 v[5:6], 0xc1f00000, v[7:8], v[5:6]
	v_cvt_u32_f64_e32 v5, v[5:6]
	global_store_byte v[2:3], v5, off
.LBB9_630:
.LBB9_631:
	s_lshl_b32 s7, s28, 7
	s_cmp_lt_i32 s5, 11
	v_add_nc_u32_e32 v4, s7, v4
	v_ashrrev_i32_e32 v3, 31, v4
	v_add_co_u32 v2, vcc_lo, s36, v4
	v_add_co_ci_u32_e64 v3, null, s37, v3, vcc_lo
	s_cbranch_scc1 .LBB9_710
; %bb.632:
	s_and_b32 s8, 0xffff, s5
	s_mov_b32 s11, -1
	s_mov_b32 s9, 0
	s_cmp_gt_i32 s8, 25
	s_mov_b32 s10, 0
	s_mov_b32 s4, 0
	s_cbranch_scc0 .LBB9_665
; %bb.633:
	s_cmp_gt_i32 s8, 28
	s_cbranch_scc0 .LBB9_648
; %bb.634:
	s_cmp_gt_i32 s8, 43
	;; [unrolled: 3-line block ×3, first 2 shown]
	s_cbranch_scc0 .LBB9_638
; %bb.636:
	s_mov_b32 s4, -1
	s_mov_b32 s11, 0
	s_cmp_eq_u32 s8, 46
	s_cbranch_scc0 .LBB9_638
; %bb.637:
	v_cvt_f32_f64_e32 v5, v[42:43]
	s_mov_b32 s4, 0
	s_mov_b32 s10, -1
	v_bfe_u32 v6, v5, 16, 1
	v_cmp_o_f32_e32 vcc_lo, v5, v5
	v_add3_u32 v5, v5, v6, 0x7fff
	v_mov_b32_e32 v6, 0x7fc0
	v_cndmask_b32_sdwa v5, v6, v5, vcc_lo dst_sel:DWORD dst_unused:UNUSED_PAD src0_sel:DWORD src1_sel:WORD_1
	global_store_dword v[2:3], v5, off
.LBB9_638:
	s_and_b32 vcc_lo, exec_lo, s11
	s_cbranch_vccz .LBB9_643
; %bb.639:
	s_cmp_eq_u32 s8, 44
	s_mov_b32 s4, -1
	s_cbranch_scc0 .LBB9_643
; %bb.640:
	v_cvt_f32_f64_e32 v5, v[42:43]
	v_mov_b32_e32 v6, 0xff
	s_mov_b32 s10, exec_lo
	v_bfe_u32 v7, v5, 23, 8
	v_cmpx_ne_u32_e32 0xff, v7
	s_cbranch_execz .LBB9_642
; %bb.641:
	v_and_b32_e32 v6, 0x400000, v5
	v_and_or_b32 v7, 0x3fffff, v5, v7
	v_lshrrev_b32_e32 v5, 23, v5
	v_cmp_ne_u32_e32 vcc_lo, 0, v6
	v_cmp_ne_u32_e64 s4, 0, v7
	s_and_b32 s4, vcc_lo, s4
	v_cndmask_b32_e64 v6, 0, 1, s4
	v_add_nc_u32_e32 v6, v5, v6
.LBB9_642:
	s_or_b32 exec_lo, exec_lo, s10
	s_mov_b32 s4, 0
	s_mov_b32 s10, -1
	global_store_byte v[2:3], v6, off
.LBB9_643:
	s_mov_b32 s11, 0
.LBB9_644:
	s_and_b32 vcc_lo, exec_lo, s11
	s_cbranch_vccz .LBB9_647
; %bb.645:
	s_cmp_eq_u32 s8, 29
	s_mov_b32 s4, -1
	s_cbranch_scc0 .LBB9_647
; %bb.646:
	v_trunc_f64_e32 v[5:6], v[42:43]
	s_mov_b32 s4, 0
	s_mov_b32 s10, -1
	v_ldexp_f64 v[7:8], v[5:6], 0xffffffe0
	v_floor_f64_e32 v[7:8], v[7:8]
	v_fma_f64 v[5:6], 0xc1f00000, v[7:8], v[5:6]
	v_cvt_u32_f64_e32 v7, v[7:8]
	v_cvt_u32_f64_e32 v6, v[5:6]
	global_store_dwordx2 v[2:3], v[6:7], off
.LBB9_647:
	s_mov_b32 s11, 0
.LBB9_648:
	s_and_b32 vcc_lo, exec_lo, s11
	s_cbranch_vccz .LBB9_664
; %bb.649:
	s_cmp_lt_i32 s8, 27
	s_mov_b32 s10, -1
	s_cbranch_scc1 .LBB9_655
; %bb.650:
	v_cvt_u32_f64_e32 v5, v[42:43]
	s_cmp_gt_i32 s8, 27
	s_cbranch_scc0 .LBB9_652
; %bb.651:
	s_mov_b32 s10, 0
	global_store_dword v[2:3], v5, off
.LBB9_652:
	s_andn2_b32 vcc_lo, exec_lo, s10
	s_cbranch_vccnz .LBB9_654
; %bb.653:
	global_store_short v[2:3], v5, off
.LBB9_654:
	s_mov_b32 s10, 0
.LBB9_655:
	s_andn2_b32 vcc_lo, exec_lo, s10
	s_cbranch_vccnz .LBB9_663
; %bb.656:
	v_cvt_f32_f64_e32 v5, v[42:43]
	v_mov_b32_e32 v7, 0x80
	s_mov_b32 s10, exec_lo
	v_and_b32_e32 v6, 0x7fffffff, v5
	v_cmpx_gt_u32_e32 0x43800000, v6
	s_cbranch_execz .LBB9_662
; %bb.657:
	v_cmp_lt_u32_e32 vcc_lo, 0x3bffffff, v6
	s_mov_b32 s11, 0
                                        ; implicit-def: $vgpr6
	s_and_saveexec_b32 s12, vcc_lo
	s_xor_b32 s12, exec_lo, s12
	s_cbranch_execz .LBB9_994
; %bb.658:
	v_bfe_u32 v6, v5, 20, 1
	s_mov_b32 s11, exec_lo
	v_add3_u32 v6, v5, v6, 0x487ffff
	v_lshrrev_b32_e32 v6, 20, v6
	s_andn2_saveexec_b32 s12, s12
	s_cbranch_execnz .LBB9_995
.LBB9_659:
	s_or_b32 exec_lo, exec_lo, s12
	v_mov_b32_e32 v7, 0
	s_and_saveexec_b32 s12, s11
.LBB9_660:
	v_lshrrev_b32_e32 v5, 24, v5
	v_and_or_b32 v7, 0x80, v5, v6
.LBB9_661:
	s_or_b32 exec_lo, exec_lo, s12
.LBB9_662:
	s_or_b32 exec_lo, exec_lo, s10
	global_store_byte v[2:3], v7, off
.LBB9_663:
	s_mov_b32 s10, -1
.LBB9_664:
	s_mov_b32 s11, 0
.LBB9_665:
	s_and_b32 vcc_lo, exec_lo, s11
	s_cbranch_vccz .LBB9_705
; %bb.666:
	s_cmp_gt_i32 s8, 22
	s_mov_b32 s9, -1
	s_cbranch_scc0 .LBB9_698
; %bb.667:
	s_cmp_lt_i32 s8, 24
	s_cbranch_scc1 .LBB9_687
; %bb.668:
	s_cmp_gt_i32 s8, 24
	s_cbranch_scc0 .LBB9_676
; %bb.669:
	v_cvt_f32_f64_e32 v5, v[42:43]
	v_mov_b32_e32 v7, 0x80
	s_mov_b32 s9, exec_lo
	v_and_b32_e32 v6, 0x7fffffff, v5
	v_cmpx_gt_u32_e32 0x47800000, v6
	s_cbranch_execz .LBB9_675
; %bb.670:
	v_cmp_lt_u32_e32 vcc_lo, 0x37ffffff, v6
	s_mov_b32 s10, 0
                                        ; implicit-def: $vgpr6
	s_and_saveexec_b32 s11, vcc_lo
	s_xor_b32 s11, exec_lo, s11
	s_cbranch_execz .LBB9_997
; %bb.671:
	v_bfe_u32 v6, v5, 21, 1
	s_mov_b32 s10, exec_lo
	v_add3_u32 v6, v5, v6, 0x88fffff
	v_lshrrev_b32_e32 v6, 21, v6
	s_andn2_saveexec_b32 s11, s11
	s_cbranch_execnz .LBB9_998
.LBB9_672:
	s_or_b32 exec_lo, exec_lo, s11
	v_mov_b32_e32 v7, 0
	s_and_saveexec_b32 s11, s10
.LBB9_673:
	v_lshrrev_b32_e32 v5, 24, v5
	v_and_or_b32 v7, 0x80, v5, v6
.LBB9_674:
	s_or_b32 exec_lo, exec_lo, s11
.LBB9_675:
	s_or_b32 exec_lo, exec_lo, s9
	s_mov_b32 s9, 0
	global_store_byte v[2:3], v7, off
.LBB9_676:
	s_and_b32 vcc_lo, exec_lo, s9
	s_cbranch_vccz .LBB9_686
; %bb.677:
	v_cvt_f32_f64_e32 v5, v[42:43]
	s_mov_b32 s9, exec_lo
                                        ; implicit-def: $vgpr6
	v_and_b32_e32 v7, 0x7fffffff, v5
	v_cmpx_gt_u32_e32 0x43f00000, v7
	s_xor_b32 s9, exec_lo, s9
	s_cbranch_execz .LBB9_683
; %bb.678:
	s_mov_b32 s10, exec_lo
                                        ; implicit-def: $vgpr6
	v_cmpx_lt_u32_e32 0x3c7fffff, v7
	s_xor_b32 s10, exec_lo, s10
; %bb.679:
	v_bfe_u32 v6, v5, 20, 1
	v_add3_u32 v6, v5, v6, 0x407ffff
	v_and_b32_e32 v7, 0xff00000, v6
	v_lshrrev_b32_e32 v6, 20, v6
	v_cmp_ne_u32_e32 vcc_lo, 0x7f00000, v7
	v_cndmask_b32_e32 v6, 0x7e, v6, vcc_lo
; %bb.680:
	s_andn2_saveexec_b32 s10, s10
; %bb.681:
	v_add_f32_e64 v6, 0x46800000, |v5|
; %bb.682:
	s_or_b32 exec_lo, exec_lo, s10
                                        ; implicit-def: $vgpr7
.LBB9_683:
	s_andn2_saveexec_b32 s9, s9
; %bb.684:
	v_mov_b32_e32 v6, 0x7f
	v_cmp_lt_u32_e32 vcc_lo, 0x7f800000, v7
	v_cndmask_b32_e32 v6, 0x7e, v6, vcc_lo
; %bb.685:
	s_or_b32 exec_lo, exec_lo, s9
	v_lshrrev_b32_e32 v5, 24, v5
	v_and_or_b32 v5, 0x80, v5, v6
	global_store_byte v[2:3], v5, off
.LBB9_686:
	s_mov_b32 s9, 0
.LBB9_687:
	s_andn2_b32 vcc_lo, exec_lo, s9
	s_cbranch_vccnz .LBB9_697
; %bb.688:
	v_cvt_f32_f64_e32 v5, v[42:43]
	s_mov_b32 s9, exec_lo
                                        ; implicit-def: $vgpr6
	v_and_b32_e32 v7, 0x7fffffff, v5
	v_cmpx_gt_u32_e32 0x47800000, v7
	s_xor_b32 s9, exec_lo, s9
	s_cbranch_execz .LBB9_694
; %bb.689:
	s_mov_b32 s10, exec_lo
                                        ; implicit-def: $vgpr6
	v_cmpx_lt_u32_e32 0x387fffff, v7
	s_xor_b32 s10, exec_lo, s10
; %bb.690:
	v_bfe_u32 v6, v5, 21, 1
	v_add3_u32 v6, v5, v6, 0x80fffff
	v_lshrrev_b32_e32 v6, 21, v6
; %bb.691:
	s_andn2_saveexec_b32 s10, s10
; %bb.692:
	v_add_f32_e64 v6, 0x43000000, |v5|
; %bb.693:
	s_or_b32 exec_lo, exec_lo, s10
                                        ; implicit-def: $vgpr7
.LBB9_694:
	s_andn2_saveexec_b32 s9, s9
; %bb.695:
	v_mov_b32_e32 v6, 0x7f
	v_cmp_lt_u32_e32 vcc_lo, 0x7f800000, v7
	v_cndmask_b32_e32 v6, 0x7c, v6, vcc_lo
; %bb.696:
	s_or_b32 exec_lo, exec_lo, s9
	v_lshrrev_b32_e32 v5, 24, v5
	v_and_or_b32 v5, 0x80, v5, v6
	global_store_byte v[2:3], v5, off
.LBB9_697:
	s_mov_b32 s9, 0
	s_mov_b32 s10, -1
.LBB9_698:
	s_andn2_b32 vcc_lo, exec_lo, s9
	s_mov_b32 s9, 0
	s_cbranch_vccnz .LBB9_705
; %bb.699:
	s_cmp_gt_i32 s8, 14
	s_mov_b32 s9, -1
	s_cbranch_scc0 .LBB9_703
; %bb.700:
	s_cmp_eq_u32 s8, 15
	s_mov_b32 s4, -1
	s_cbranch_scc0 .LBB9_702
; %bb.701:
	v_cvt_f32_f64_e32 v5, v[42:43]
	s_mov_b32 s4, 0
	s_mov_b32 s10, -1
	v_bfe_u32 v6, v5, 16, 1
	v_cmp_o_f32_e32 vcc_lo, v5, v5
	v_add3_u32 v5, v5, v6, 0x7fff
	v_mov_b32_e32 v6, 0x7fc0
	v_cndmask_b32_sdwa v5, v6, v5, vcc_lo dst_sel:DWORD dst_unused:UNUSED_PAD src0_sel:DWORD src1_sel:WORD_1
	global_store_short v[2:3], v5, off
.LBB9_702:
	s_mov_b32 s9, 0
.LBB9_703:
	s_and_b32 vcc_lo, exec_lo, s9
	s_mov_b32 s9, 0
	s_cbranch_vccz .LBB9_705
; %bb.704:
	s_cmp_lg_u32 s8, 11
	s_mov_b32 s9, -1
	s_cselect_b32 s4, -1, 0
.LBB9_705:
	s_and_b32 vcc_lo, exec_lo, s4
	s_cbranch_vccnz .LBB9_996
; %bb.706:
	s_andn2_b32 vcc_lo, exec_lo, s9
	s_cbranch_vccnz .LBB9_708
.LBB9_707:
	v_cmp_neq_f64_e32 vcc_lo, 0, v[42:43]
	s_mov_b32 s10, -1
	v_cndmask_b32_e64 v5, 0, 1, vcc_lo
	global_store_byte v[2:3], v5, off
.LBB9_708:
.LBB9_709:
	s_andn2_b32 vcc_lo, exec_lo, s10
	s_cbranch_vccz .LBB9_749
	s_branch .LBB9_943
.LBB9_710:
	s_mov_b32 s10, 0
	s_cbranch_execz .LBB9_709
; %bb.711:
	s_and_b32 s4, 0xffff, s5
	s_mov_b32 s8, -1
	s_cmp_lt_i32 s4, 5
	s_cbranch_scc1 .LBB9_732
; %bb.712:
	s_cmp_lt_i32 s4, 8
	s_cbranch_scc1 .LBB9_722
; %bb.713:
	s_cmp_lt_i32 s4, 9
	s_cbranch_scc1 .LBB9_719
; %bb.714:
	s_cmp_gt_i32 s4, 9
	s_cbranch_scc0 .LBB9_716
; %bb.715:
	v_mov_b32_e32 v44, 0
	s_mov_b32 s8, 0
	v_mov_b32_e32 v45, v44
	global_store_dwordx4 v[2:3], v[42:45], off
.LBB9_716:
	s_andn2_b32 vcc_lo, exec_lo, s8
	s_cbranch_vccnz .LBB9_718
; %bb.717:
	v_cvt_f32_f64_e32 v5, v[42:43]
	v_mov_b32_e32 v6, 0
	global_store_dwordx2 v[2:3], v[5:6], off
.LBB9_718:
	s_mov_b32 s8, 0
.LBB9_719:
	s_andn2_b32 vcc_lo, exec_lo, s8
	s_cbranch_vccnz .LBB9_721
; %bb.720:
	v_and_or_b32 v5, 0x1ff, v43, v42
	v_lshrrev_b32_e32 v6, 8, v43
	v_bfe_u32 v7, v43, 20, 11
	v_cmp_ne_u32_e32 vcc_lo, 0, v5
	v_sub_nc_u32_e32 v8, 0x3f1, v7
	v_add_nc_u32_e32 v7, 0xfffffc10, v7
	v_cndmask_b32_e64 v5, 0, 1, vcc_lo
	v_and_or_b32 v5, 0xffe, v6, v5
	v_med3_i32 v6, v8, 0, 13
	v_or_b32_e32 v8, 0x1000, v5
	v_lshrrev_b32_e32 v9, v6, v8
	v_lshlrev_b32_e32 v6, v6, v9
	v_cmp_ne_u32_e32 vcc_lo, v6, v8
	v_lshl_or_b32 v8, v7, 12, v5
	v_cndmask_b32_e64 v6, 0, 1, vcc_lo
	v_cmp_gt_i32_e32 vcc_lo, 1, v7
	v_or_b32_e32 v6, v9, v6
	v_cndmask_b32_e32 v6, v8, v6, vcc_lo
	v_and_b32_e32 v8, 7, v6
	v_lshrrev_b32_e32 v6, 2, v6
	v_cmp_lt_i32_e32 vcc_lo, 5, v8
	v_cndmask_b32_e64 v9, 0, 1, vcc_lo
	v_cmp_eq_u32_e32 vcc_lo, 3, v8
	v_cndmask_b32_e64 v8, 0, 1, vcc_lo
	v_cmp_ne_u32_e32 vcc_lo, 0, v5
	v_or_b32_e32 v8, v8, v9
	v_mov_b32_e32 v9, 0x7e00
	v_add_nc_u32_e32 v6, v6, v8
	v_cndmask_b32_e32 v5, 0x7c00, v9, vcc_lo
	v_cmp_gt_i32_e32 vcc_lo, 31, v7
	v_cndmask_b32_e32 v6, 0x7c00, v6, vcc_lo
	v_cmp_eq_u32_e32 vcc_lo, 0x40f, v7
	v_cndmask_b32_e32 v5, v6, v5, vcc_lo
	v_lshrrev_b32_e32 v6, 16, v43
	v_and_or_b32 v5, 0x8000, v6, v5
	v_and_b32_e32 v5, 0xffff, v5
	global_store_dword v[2:3], v5, off
.LBB9_721:
	s_mov_b32 s8, 0
.LBB9_722:
	s_andn2_b32 vcc_lo, exec_lo, s8
	s_cbranch_vccnz .LBB9_731
; %bb.723:
	s_cmp_lt_i32 s4, 6
	s_mov_b32 s8, -1
	s_cbranch_scc1 .LBB9_729
; %bb.724:
	s_cmp_gt_i32 s4, 6
	s_cbranch_scc0 .LBB9_726
; %bb.725:
	s_mov_b32 s8, 0
	global_store_dwordx2 v[2:3], v[42:43], off
.LBB9_726:
	s_andn2_b32 vcc_lo, exec_lo, s8
	s_cbranch_vccnz .LBB9_728
; %bb.727:
	v_cvt_f32_f64_e32 v5, v[42:43]
	global_store_dword v[2:3], v5, off
.LBB9_728:
	s_mov_b32 s8, 0
.LBB9_729:
	s_andn2_b32 vcc_lo, exec_lo, s8
	s_cbranch_vccnz .LBB9_731
; %bb.730:
	v_and_or_b32 v5, 0x1ff, v43, v42
	v_lshrrev_b32_e32 v6, 8, v43
	v_bfe_u32 v7, v43, 20, 11
	v_cmp_ne_u32_e32 vcc_lo, 0, v5
	v_sub_nc_u32_e32 v8, 0x3f1, v7
	v_add_nc_u32_e32 v7, 0xfffffc10, v7
	v_cndmask_b32_e64 v5, 0, 1, vcc_lo
	v_and_or_b32 v5, 0xffe, v6, v5
	v_med3_i32 v6, v8, 0, 13
	v_or_b32_e32 v8, 0x1000, v5
	v_lshrrev_b32_e32 v9, v6, v8
	v_lshlrev_b32_e32 v6, v6, v9
	v_cmp_ne_u32_e32 vcc_lo, v6, v8
	v_lshl_or_b32 v8, v7, 12, v5
	v_cndmask_b32_e64 v6, 0, 1, vcc_lo
	v_cmp_gt_i32_e32 vcc_lo, 1, v7
	v_or_b32_e32 v6, v9, v6
	v_cndmask_b32_e32 v6, v8, v6, vcc_lo
	v_and_b32_e32 v8, 7, v6
	v_lshrrev_b32_e32 v6, 2, v6
	v_cmp_lt_i32_e32 vcc_lo, 5, v8
	v_cndmask_b32_e64 v9, 0, 1, vcc_lo
	v_cmp_eq_u32_e32 vcc_lo, 3, v8
	v_cndmask_b32_e64 v8, 0, 1, vcc_lo
	v_cmp_ne_u32_e32 vcc_lo, 0, v5
	v_or_b32_e32 v8, v8, v9
	v_mov_b32_e32 v9, 0x7e00
	v_add_nc_u32_e32 v6, v6, v8
	v_cndmask_b32_e32 v5, 0x7c00, v9, vcc_lo
	v_cmp_gt_i32_e32 vcc_lo, 31, v7
	v_cndmask_b32_e32 v6, 0x7c00, v6, vcc_lo
	v_cmp_eq_u32_e32 vcc_lo, 0x40f, v7
	v_cndmask_b32_e32 v5, v6, v5, vcc_lo
	v_lshrrev_b32_e32 v6, 16, v43
	v_and_or_b32 v5, 0x8000, v6, v5
	global_store_short v[2:3], v5, off
.LBB9_731:
	s_mov_b32 s8, 0
.LBB9_732:
	s_andn2_b32 vcc_lo, exec_lo, s8
	s_cbranch_vccnz .LBB9_748
; %bb.733:
	s_cmp_lt_i32 s4, 2
	s_mov_b32 s8, -1
	s_cbranch_scc1 .LBB9_743
; %bb.734:
	s_cmp_lt_i32 s4, 3
	s_cbranch_scc1 .LBB9_740
; %bb.735:
	s_cmp_gt_i32 s4, 3
	s_cbranch_scc0 .LBB9_737
; %bb.736:
	v_trunc_f64_e32 v[5:6], v[42:43]
	s_mov_b32 s8, 0
	v_ldexp_f64 v[7:8], v[5:6], 0xffffffe0
	v_floor_f64_e32 v[7:8], v[7:8]
	v_fma_f64 v[5:6], 0xc1f00000, v[7:8], v[5:6]
	v_cvt_i32_f64_e32 v7, v[7:8]
	v_cvt_u32_f64_e32 v6, v[5:6]
	global_store_dwordx2 v[2:3], v[6:7], off
.LBB9_737:
	s_andn2_b32 vcc_lo, exec_lo, s8
	s_cbranch_vccnz .LBB9_739
; %bb.738:
	v_cvt_i32_f64_e32 v5, v[42:43]
	global_store_dword v[2:3], v5, off
.LBB9_739:
	s_mov_b32 s8, 0
.LBB9_740:
	s_andn2_b32 vcc_lo, exec_lo, s8
	s_cbranch_vccnz .LBB9_742
; %bb.741:
	v_cvt_i32_f64_e32 v5, v[42:43]
	global_store_short v[2:3], v5, off
.LBB9_742:
	s_mov_b32 s8, 0
.LBB9_743:
	s_andn2_b32 vcc_lo, exec_lo, s8
	s_cbranch_vccnz .LBB9_748
; %bb.744:
	s_cmp_gt_i32 s4, 0
	s_mov_b32 s4, -1
	s_cbranch_scc0 .LBB9_746
; %bb.745:
	v_cvt_i32_f64_e32 v5, v[42:43]
	s_mov_b32 s4, 0
	global_store_byte v[2:3], v5, off
.LBB9_746:
	s_andn2_b32 vcc_lo, exec_lo, s4
	s_cbranch_vccnz .LBB9_748
; %bb.747:
	v_trunc_f64_e32 v[5:6], v[42:43]
	v_ldexp_f64 v[7:8], v[5:6], 0xffffffe0
	v_floor_f64_e32 v[7:8], v[7:8]
	v_fma_f64 v[5:6], 0xc1f00000, v[7:8], v[5:6]
	v_cvt_u32_f64_e32 v5, v[5:6]
	global_store_byte v[2:3], v5, off
.LBB9_748:
.LBB9_749:
	v_add_nc_u32_e32 v4, s7, v4
	s_cmp_lt_i32 s5, 11
	v_ashrrev_i32_e32 v3, 31, v4
	v_add_co_u32 v2, vcc_lo, s36, v4
	v_add_co_ci_u32_e64 v3, null, s37, v3, vcc_lo
	s_cbranch_scc1 .LBB9_904
; %bb.750:
	s_and_b32 s8, 0xffff, s5
	s_mov_b32 s11, -1
	s_mov_b32 s9, 0
	s_cmp_gt_i32 s8, 25
	s_mov_b32 s10, 0
	s_mov_b32 s4, 0
	s_cbranch_scc0 .LBB9_783
; %bb.751:
	s_cmp_gt_i32 s8, 28
	s_cbranch_scc0 .LBB9_766
; %bb.752:
	s_cmp_gt_i32 s8, 43
	s_cbranch_scc0 .LBB9_762
; %bb.753:
	s_cmp_gt_i32 s8, 45
	s_cbranch_scc0 .LBB9_756
; %bb.754:
	s_mov_b32 s4, -1
	s_mov_b32 s11, 0
	s_cmp_eq_u32 s8, 46
	s_cbranch_scc0 .LBB9_756
; %bb.755:
	v_cvt_f32_f64_e32 v5, v[40:41]
	s_mov_b32 s4, 0
	s_mov_b32 s10, -1
	v_bfe_u32 v6, v5, 16, 1
	v_cmp_o_f32_e32 vcc_lo, v5, v5
	v_add3_u32 v5, v5, v6, 0x7fff
	v_mov_b32_e32 v6, 0x7fc0
	v_cndmask_b32_sdwa v5, v6, v5, vcc_lo dst_sel:DWORD dst_unused:UNUSED_PAD src0_sel:DWORD src1_sel:WORD_1
	global_store_dword v[2:3], v5, off
.LBB9_756:
	s_and_b32 vcc_lo, exec_lo, s11
	s_cbranch_vccz .LBB9_761
; %bb.757:
	s_cmp_eq_u32 s8, 44
	s_mov_b32 s4, -1
	s_cbranch_scc0 .LBB9_761
; %bb.758:
	v_cvt_f32_f64_e32 v5, v[40:41]
	v_mov_b32_e32 v6, 0xff
	s_mov_b32 s10, exec_lo
	v_bfe_u32 v7, v5, 23, 8
	v_cmpx_ne_u32_e32 0xff, v7
	s_cbranch_execz .LBB9_760
; %bb.759:
	v_and_b32_e32 v6, 0x400000, v5
	v_and_or_b32 v7, 0x3fffff, v5, v7
	v_lshrrev_b32_e32 v5, 23, v5
	v_cmp_ne_u32_e32 vcc_lo, 0, v6
	v_cmp_ne_u32_e64 s4, 0, v7
	s_and_b32 s4, vcc_lo, s4
	v_cndmask_b32_e64 v6, 0, 1, s4
	v_add_nc_u32_e32 v6, v5, v6
.LBB9_760:
	s_or_b32 exec_lo, exec_lo, s10
	s_mov_b32 s4, 0
	s_mov_b32 s10, -1
	global_store_byte v[2:3], v6, off
.LBB9_761:
	s_mov_b32 s11, 0
.LBB9_762:
	s_and_b32 vcc_lo, exec_lo, s11
	s_cbranch_vccz .LBB9_765
; %bb.763:
	s_cmp_eq_u32 s8, 29
	s_mov_b32 s4, -1
	s_cbranch_scc0 .LBB9_765
; %bb.764:
	v_trunc_f64_e32 v[5:6], v[40:41]
	s_mov_b32 s4, 0
	s_mov_b32 s10, -1
	v_ldexp_f64 v[7:8], v[5:6], 0xffffffe0
	v_floor_f64_e32 v[7:8], v[7:8]
	v_fma_f64 v[5:6], 0xc1f00000, v[7:8], v[5:6]
	v_cvt_u32_f64_e32 v7, v[7:8]
	v_cvt_u32_f64_e32 v6, v[5:6]
	global_store_dwordx2 v[2:3], v[6:7], off
.LBB9_765:
	s_mov_b32 s11, 0
.LBB9_766:
	s_and_b32 vcc_lo, exec_lo, s11
	s_cbranch_vccz .LBB9_782
; %bb.767:
	s_cmp_lt_i32 s8, 27
	s_mov_b32 s10, -1
	s_cbranch_scc1 .LBB9_773
; %bb.768:
	v_cvt_u32_f64_e32 v5, v[40:41]
	s_cmp_gt_i32 s8, 27
	s_cbranch_scc0 .LBB9_770
; %bb.769:
	s_mov_b32 s10, 0
	global_store_dword v[2:3], v5, off
.LBB9_770:
	s_andn2_b32 vcc_lo, exec_lo, s10
	s_cbranch_vccnz .LBB9_772
; %bb.771:
	global_store_short v[2:3], v5, off
.LBB9_772:
	s_mov_b32 s10, 0
.LBB9_773:
	s_andn2_b32 vcc_lo, exec_lo, s10
	s_cbranch_vccnz .LBB9_781
; %bb.774:
	v_cvt_f32_f64_e32 v5, v[40:41]
	v_mov_b32_e32 v7, 0x80
	s_mov_b32 s10, exec_lo
	v_and_b32_e32 v6, 0x7fffffff, v5
	v_cmpx_gt_u32_e32 0x43800000, v6
	s_cbranch_execz .LBB9_780
; %bb.775:
	v_cmp_lt_u32_e32 vcc_lo, 0x3bffffff, v6
	s_mov_b32 s11, 0
                                        ; implicit-def: $vgpr6
	s_and_saveexec_b32 s12, vcc_lo
	s_xor_b32 s12, exec_lo, s12
	s_cbranch_execz .LBB9_999
; %bb.776:
	v_bfe_u32 v6, v5, 20, 1
	s_mov_b32 s11, exec_lo
	v_add3_u32 v6, v5, v6, 0x487ffff
	v_lshrrev_b32_e32 v6, 20, v6
	s_andn2_saveexec_b32 s12, s12
	s_cbranch_execnz .LBB9_1000
.LBB9_777:
	s_or_b32 exec_lo, exec_lo, s12
	v_mov_b32_e32 v7, 0
	s_and_saveexec_b32 s12, s11
.LBB9_778:
	v_lshrrev_b32_e32 v5, 24, v5
	v_and_or_b32 v7, 0x80, v5, v6
.LBB9_779:
	s_or_b32 exec_lo, exec_lo, s12
.LBB9_780:
	s_or_b32 exec_lo, exec_lo, s10
	global_store_byte v[2:3], v7, off
.LBB9_781:
	s_mov_b32 s10, -1
.LBB9_782:
	s_mov_b32 s11, 0
.LBB9_783:
	s_and_b32 vcc_lo, exec_lo, s11
	s_cbranch_vccz .LBB9_823
; %bb.784:
	s_cmp_gt_i32 s8, 22
	s_mov_b32 s9, -1
	s_cbranch_scc0 .LBB9_816
; %bb.785:
	s_cmp_lt_i32 s8, 24
	s_cbranch_scc1 .LBB9_805
; %bb.786:
	s_cmp_gt_i32 s8, 24
	s_cbranch_scc0 .LBB9_794
; %bb.787:
	v_cvt_f32_f64_e32 v5, v[40:41]
	v_mov_b32_e32 v7, 0x80
	s_mov_b32 s9, exec_lo
	v_and_b32_e32 v6, 0x7fffffff, v5
	v_cmpx_gt_u32_e32 0x47800000, v6
	s_cbranch_execz .LBB9_793
; %bb.788:
	v_cmp_lt_u32_e32 vcc_lo, 0x37ffffff, v6
	s_mov_b32 s10, 0
                                        ; implicit-def: $vgpr6
	s_and_saveexec_b32 s11, vcc_lo
	s_xor_b32 s11, exec_lo, s11
	s_cbranch_execz .LBB9_1002
; %bb.789:
	v_bfe_u32 v6, v5, 21, 1
	s_mov_b32 s10, exec_lo
	v_add3_u32 v6, v5, v6, 0x88fffff
	v_lshrrev_b32_e32 v6, 21, v6
	s_andn2_saveexec_b32 s11, s11
	s_cbranch_execnz .LBB9_1003
.LBB9_790:
	s_or_b32 exec_lo, exec_lo, s11
	v_mov_b32_e32 v7, 0
	s_and_saveexec_b32 s11, s10
.LBB9_791:
	v_lshrrev_b32_e32 v5, 24, v5
	v_and_or_b32 v7, 0x80, v5, v6
.LBB9_792:
	s_or_b32 exec_lo, exec_lo, s11
.LBB9_793:
	s_or_b32 exec_lo, exec_lo, s9
	s_mov_b32 s9, 0
	global_store_byte v[2:3], v7, off
.LBB9_794:
	s_and_b32 vcc_lo, exec_lo, s9
	s_cbranch_vccz .LBB9_804
; %bb.795:
	v_cvt_f32_f64_e32 v5, v[40:41]
	s_mov_b32 s9, exec_lo
                                        ; implicit-def: $vgpr6
	v_and_b32_e32 v7, 0x7fffffff, v5
	v_cmpx_gt_u32_e32 0x43f00000, v7
	s_xor_b32 s9, exec_lo, s9
	s_cbranch_execz .LBB9_801
; %bb.796:
	s_mov_b32 s10, exec_lo
                                        ; implicit-def: $vgpr6
	v_cmpx_lt_u32_e32 0x3c7fffff, v7
	s_xor_b32 s10, exec_lo, s10
; %bb.797:
	v_bfe_u32 v6, v5, 20, 1
	v_add3_u32 v6, v5, v6, 0x407ffff
	v_and_b32_e32 v7, 0xff00000, v6
	v_lshrrev_b32_e32 v6, 20, v6
	v_cmp_ne_u32_e32 vcc_lo, 0x7f00000, v7
	v_cndmask_b32_e32 v6, 0x7e, v6, vcc_lo
; %bb.798:
	s_andn2_saveexec_b32 s10, s10
; %bb.799:
	v_add_f32_e64 v6, 0x46800000, |v5|
; %bb.800:
	s_or_b32 exec_lo, exec_lo, s10
                                        ; implicit-def: $vgpr7
.LBB9_801:
	s_andn2_saveexec_b32 s9, s9
; %bb.802:
	v_mov_b32_e32 v6, 0x7f
	v_cmp_lt_u32_e32 vcc_lo, 0x7f800000, v7
	v_cndmask_b32_e32 v6, 0x7e, v6, vcc_lo
; %bb.803:
	s_or_b32 exec_lo, exec_lo, s9
	v_lshrrev_b32_e32 v5, 24, v5
	v_and_or_b32 v5, 0x80, v5, v6
	global_store_byte v[2:3], v5, off
.LBB9_804:
	s_mov_b32 s9, 0
.LBB9_805:
	s_andn2_b32 vcc_lo, exec_lo, s9
	s_cbranch_vccnz .LBB9_815
; %bb.806:
	v_cvt_f32_f64_e32 v5, v[40:41]
	s_mov_b32 s9, exec_lo
                                        ; implicit-def: $vgpr6
	v_and_b32_e32 v7, 0x7fffffff, v5
	v_cmpx_gt_u32_e32 0x47800000, v7
	s_xor_b32 s9, exec_lo, s9
	s_cbranch_execz .LBB9_812
; %bb.807:
	s_mov_b32 s10, exec_lo
                                        ; implicit-def: $vgpr6
	v_cmpx_lt_u32_e32 0x387fffff, v7
	s_xor_b32 s10, exec_lo, s10
; %bb.808:
	v_bfe_u32 v6, v5, 21, 1
	v_add3_u32 v6, v5, v6, 0x80fffff
	v_lshrrev_b32_e32 v6, 21, v6
; %bb.809:
	s_andn2_saveexec_b32 s10, s10
; %bb.810:
	v_add_f32_e64 v6, 0x43000000, |v5|
; %bb.811:
	s_or_b32 exec_lo, exec_lo, s10
                                        ; implicit-def: $vgpr7
.LBB9_812:
	s_andn2_saveexec_b32 s9, s9
; %bb.813:
	v_mov_b32_e32 v6, 0x7f
	v_cmp_lt_u32_e32 vcc_lo, 0x7f800000, v7
	v_cndmask_b32_e32 v6, 0x7c, v6, vcc_lo
; %bb.814:
	s_or_b32 exec_lo, exec_lo, s9
	v_lshrrev_b32_e32 v5, 24, v5
	v_and_or_b32 v5, 0x80, v5, v6
	global_store_byte v[2:3], v5, off
.LBB9_815:
	s_mov_b32 s9, 0
	s_mov_b32 s10, -1
.LBB9_816:
	s_andn2_b32 vcc_lo, exec_lo, s9
	s_mov_b32 s9, 0
	s_cbranch_vccnz .LBB9_823
; %bb.817:
	s_cmp_gt_i32 s8, 14
	s_mov_b32 s9, -1
	s_cbranch_scc0 .LBB9_821
; %bb.818:
	s_cmp_eq_u32 s8, 15
	s_mov_b32 s4, -1
	s_cbranch_scc0 .LBB9_820
; %bb.819:
	v_cvt_f32_f64_e32 v5, v[40:41]
	s_mov_b32 s4, 0
	s_mov_b32 s10, -1
	v_bfe_u32 v6, v5, 16, 1
	v_cmp_o_f32_e32 vcc_lo, v5, v5
	v_add3_u32 v5, v5, v6, 0x7fff
	v_mov_b32_e32 v6, 0x7fc0
	v_cndmask_b32_sdwa v5, v6, v5, vcc_lo dst_sel:DWORD dst_unused:UNUSED_PAD src0_sel:DWORD src1_sel:WORD_1
	global_store_short v[2:3], v5, off
.LBB9_820:
	s_mov_b32 s9, 0
.LBB9_821:
	s_and_b32 vcc_lo, exec_lo, s9
	s_mov_b32 s9, 0
	s_cbranch_vccz .LBB9_823
; %bb.822:
	s_cmp_lg_u32 s8, 11
	s_mov_b32 s9, -1
	s_cselect_b32 s4, -1, 0
.LBB9_823:
	s_and_b32 vcc_lo, exec_lo, s4
	s_cbranch_vccnz .LBB9_1001
; %bb.824:
	s_andn2_b32 vcc_lo, exec_lo, s9
	s_cbranch_vccnz .LBB9_826
.LBB9_825:
	v_cmp_neq_f64_e32 vcc_lo, 0, v[40:41]
	s_mov_b32 s10, -1
	v_cndmask_b32_e64 v5, 0, 1, vcc_lo
	global_store_byte v[2:3], v5, off
.LBB9_826:
.LBB9_827:
	s_andn2_b32 vcc_lo, exec_lo, s10
	s_cbranch_vccnz .LBB9_943
.LBB9_828:
	v_add_nc_u32_e32 v2, s7, v4
	s_cmp_lt_i32 s5, 11
	v_ashrrev_i32_e32 v3, 31, v2
	v_add_co_u32 v4, vcc_lo, s36, v2
	v_add_co_ci_u32_e64 v5, null, s37, v3, vcc_lo
	s_cbranch_scc1 .LBB9_988
; %bb.829:
	s_and_b32 s7, 0xffff, s5
	s_mov_b32 s9, -1
	s_mov_b32 s8, 0
	s_cmp_gt_i32 s7, 25
	s_mov_b32 s4, 0
	s_cbranch_scc0 .LBB9_862
; %bb.830:
	s_cmp_gt_i32 s7, 28
	s_cbranch_scc0 .LBB9_846
; %bb.831:
	s_cmp_gt_i32 s7, 43
	s_cbranch_scc0 .LBB9_842
; %bb.832:
	s_cmp_gt_i32 s7, 45
	s_cbranch_scc0 .LBB9_836
; %bb.833:
	s_cmp_eq_u32 s7, 46
	s_mov_b32 s4, -1
	s_cbranch_scc0 .LBB9_835
; %bb.834:
	v_cvt_f32_f64_e32 v2, v[0:1]
	s_mov_b32 s4, 0
	v_bfe_u32 v3, v2, 16, 1
	v_cmp_o_f32_e32 vcc_lo, v2, v2
	v_add3_u32 v2, v2, v3, 0x7fff
	v_mov_b32_e32 v3, 0x7fc0
	v_cndmask_b32_sdwa v2, v3, v2, vcc_lo dst_sel:DWORD dst_unused:UNUSED_PAD src0_sel:DWORD src1_sel:WORD_1
	global_store_dword v[4:5], v2, off
.LBB9_835:
	s_mov_b32 s9, 0
.LBB9_836:
	s_and_b32 vcc_lo, exec_lo, s9
	s_cbranch_vccz .LBB9_841
; %bb.837:
	s_cmp_eq_u32 s7, 44
	s_mov_b32 s4, -1
	s_cbranch_scc0 .LBB9_841
; %bb.838:
	v_cvt_f32_f64_e32 v2, v[0:1]
	v_mov_b32_e32 v3, 0xff
	s_mov_b32 s9, exec_lo
	v_bfe_u32 v6, v2, 23, 8
	v_cmpx_ne_u32_e32 0xff, v6
	s_cbranch_execz .LBB9_840
; %bb.839:
	v_and_b32_e32 v3, 0x400000, v2
	v_and_or_b32 v6, 0x3fffff, v2, v6
	v_lshrrev_b32_e32 v2, 23, v2
	v_cmp_ne_u32_e32 vcc_lo, 0, v3
	v_cmp_ne_u32_e64 s4, 0, v6
	s_and_b32 s4, vcc_lo, s4
	v_cndmask_b32_e64 v3, 0, 1, s4
	v_add_nc_u32_e32 v3, v2, v3
.LBB9_840:
	s_or_b32 exec_lo, exec_lo, s9
	s_mov_b32 s4, 0
	global_store_byte v[4:5], v3, off
.LBB9_841:
	s_mov_b32 s9, 0
.LBB9_842:
	s_and_b32 vcc_lo, exec_lo, s9
	s_cbranch_vccz .LBB9_845
; %bb.843:
	s_cmp_eq_u32 s7, 29
	s_mov_b32 s4, -1
	s_cbranch_scc0 .LBB9_845
; %bb.844:
	v_trunc_f64_e32 v[2:3], v[0:1]
	s_mov_b32 s4, 0
	v_ldexp_f64 v[6:7], v[2:3], 0xffffffe0
	v_floor_f64_e32 v[6:7], v[6:7]
	v_fma_f64 v[2:3], 0xc1f00000, v[6:7], v[2:3]
	v_cvt_u32_f64_e32 v7, v[6:7]
	v_cvt_u32_f64_e32 v6, v[2:3]
	global_store_dwordx2 v[4:5], v[6:7], off
.LBB9_845:
	s_mov_b32 s9, 0
.LBB9_846:
	s_and_b32 vcc_lo, exec_lo, s9
	s_cbranch_vccz .LBB9_861
; %bb.847:
	s_cmp_lt_i32 s7, 27
	s_mov_b32 s9, -1
	s_cbranch_scc1 .LBB9_853
; %bb.848:
	v_cvt_u32_f64_e32 v2, v[0:1]
	s_cmp_gt_i32 s7, 27
	s_cbranch_scc0 .LBB9_850
; %bb.849:
	s_mov_b32 s9, 0
	global_store_dword v[4:5], v2, off
.LBB9_850:
	s_andn2_b32 vcc_lo, exec_lo, s9
	s_cbranch_vccnz .LBB9_852
; %bb.851:
	global_store_short v[4:5], v2, off
.LBB9_852:
	s_mov_b32 s9, 0
.LBB9_853:
	s_andn2_b32 vcc_lo, exec_lo, s9
	s_cbranch_vccnz .LBB9_861
; %bb.854:
	v_cvt_f32_f64_e32 v2, v[0:1]
	v_mov_b32_e32 v6, 0x80
	s_mov_b32 s9, exec_lo
	v_and_b32_e32 v3, 0x7fffffff, v2
	v_cmpx_gt_u32_e32 0x43800000, v3
	s_cbranch_execz .LBB9_860
; %bb.855:
	v_cmp_lt_u32_e32 vcc_lo, 0x3bffffff, v3
	s_mov_b32 s10, 0
                                        ; implicit-def: $vgpr3
	s_and_saveexec_b32 s11, vcc_lo
	s_xor_b32 s11, exec_lo, s11
	s_cbranch_execz .LBB9_1004
; %bb.856:
	v_bfe_u32 v3, v2, 20, 1
	s_mov_b32 s10, exec_lo
	v_add3_u32 v3, v2, v3, 0x487ffff
	v_lshrrev_b32_e32 v3, 20, v3
	s_andn2_saveexec_b32 s11, s11
	s_cbranch_execnz .LBB9_1005
.LBB9_857:
	s_or_b32 exec_lo, exec_lo, s11
	v_mov_b32_e32 v6, 0
	s_and_saveexec_b32 s11, s10
.LBB9_858:
	v_lshrrev_b32_e32 v2, 24, v2
	v_and_or_b32 v6, 0x80, v2, v3
.LBB9_859:
	s_or_b32 exec_lo, exec_lo, s11
.LBB9_860:
	s_or_b32 exec_lo, exec_lo, s9
	global_store_byte v[4:5], v6, off
.LBB9_861:
	s_mov_b32 s9, 0
.LBB9_862:
	s_and_b32 vcc_lo, exec_lo, s9
	s_cbranch_vccz .LBB9_902
; %bb.863:
	s_cmp_gt_i32 s7, 22
	s_mov_b32 s8, -1
	s_cbranch_scc0 .LBB9_895
; %bb.864:
	s_cmp_lt_i32 s7, 24
	s_cbranch_scc1 .LBB9_884
; %bb.865:
	s_cmp_gt_i32 s7, 24
	s_cbranch_scc0 .LBB9_873
; %bb.866:
	v_cvt_f32_f64_e32 v2, v[0:1]
	v_mov_b32_e32 v6, 0x80
	s_mov_b32 s8, exec_lo
	v_and_b32_e32 v3, 0x7fffffff, v2
	v_cmpx_gt_u32_e32 0x47800000, v3
	s_cbranch_execz .LBB9_872
; %bb.867:
	v_cmp_lt_u32_e32 vcc_lo, 0x37ffffff, v3
	s_mov_b32 s9, 0
                                        ; implicit-def: $vgpr3
	s_and_saveexec_b32 s10, vcc_lo
	s_xor_b32 s10, exec_lo, s10
	s_cbranch_execz .LBB9_1009
; %bb.868:
	v_bfe_u32 v3, v2, 21, 1
	s_mov_b32 s9, exec_lo
	v_add3_u32 v3, v2, v3, 0x88fffff
	v_lshrrev_b32_e32 v3, 21, v3
	s_andn2_saveexec_b32 s10, s10
	s_cbranch_execnz .LBB9_1010
.LBB9_869:
	s_or_b32 exec_lo, exec_lo, s10
	v_mov_b32_e32 v6, 0
	s_and_saveexec_b32 s10, s9
.LBB9_870:
	v_lshrrev_b32_e32 v2, 24, v2
	v_and_or_b32 v6, 0x80, v2, v3
.LBB9_871:
	s_or_b32 exec_lo, exec_lo, s10
.LBB9_872:
	s_or_b32 exec_lo, exec_lo, s8
	s_mov_b32 s8, 0
	global_store_byte v[4:5], v6, off
.LBB9_873:
	s_and_b32 vcc_lo, exec_lo, s8
	s_cbranch_vccz .LBB9_883
; %bb.874:
	v_cvt_f32_f64_e32 v2, v[0:1]
	s_mov_b32 s8, exec_lo
                                        ; implicit-def: $vgpr3
	v_and_b32_e32 v6, 0x7fffffff, v2
	v_cmpx_gt_u32_e32 0x43f00000, v6
	s_xor_b32 s8, exec_lo, s8
	s_cbranch_execz .LBB9_880
; %bb.875:
	s_mov_b32 s9, exec_lo
                                        ; implicit-def: $vgpr3
	v_cmpx_lt_u32_e32 0x3c7fffff, v6
	s_xor_b32 s9, exec_lo, s9
; %bb.876:
	v_bfe_u32 v3, v2, 20, 1
	v_add3_u32 v3, v2, v3, 0x407ffff
	v_and_b32_e32 v6, 0xff00000, v3
	v_lshrrev_b32_e32 v3, 20, v3
	v_cmp_ne_u32_e32 vcc_lo, 0x7f00000, v6
	v_cndmask_b32_e32 v3, 0x7e, v3, vcc_lo
; %bb.877:
	s_andn2_saveexec_b32 s9, s9
; %bb.878:
	v_add_f32_e64 v3, 0x46800000, |v2|
; %bb.879:
	s_or_b32 exec_lo, exec_lo, s9
                                        ; implicit-def: $vgpr6
.LBB9_880:
	s_andn2_saveexec_b32 s8, s8
; %bb.881:
	v_mov_b32_e32 v3, 0x7f
	v_cmp_lt_u32_e32 vcc_lo, 0x7f800000, v6
	v_cndmask_b32_e32 v3, 0x7e, v3, vcc_lo
; %bb.882:
	s_or_b32 exec_lo, exec_lo, s8
	v_lshrrev_b32_e32 v2, 24, v2
	v_and_or_b32 v2, 0x80, v2, v3
	global_store_byte v[4:5], v2, off
.LBB9_883:
	s_mov_b32 s8, 0
.LBB9_884:
	s_andn2_b32 vcc_lo, exec_lo, s8
	s_cbranch_vccnz .LBB9_894
; %bb.885:
	v_cvt_f32_f64_e32 v2, v[0:1]
	s_mov_b32 s8, exec_lo
                                        ; implicit-def: $vgpr3
	v_and_b32_e32 v6, 0x7fffffff, v2
	v_cmpx_gt_u32_e32 0x47800000, v6
	s_xor_b32 s8, exec_lo, s8
	s_cbranch_execz .LBB9_891
; %bb.886:
	s_mov_b32 s9, exec_lo
                                        ; implicit-def: $vgpr3
	v_cmpx_lt_u32_e32 0x387fffff, v6
	s_xor_b32 s9, exec_lo, s9
; %bb.887:
	v_bfe_u32 v3, v2, 21, 1
	v_add3_u32 v3, v2, v3, 0x80fffff
	v_lshrrev_b32_e32 v3, 21, v3
; %bb.888:
	s_andn2_saveexec_b32 s9, s9
; %bb.889:
	v_add_f32_e64 v3, 0x43000000, |v2|
; %bb.890:
	s_or_b32 exec_lo, exec_lo, s9
                                        ; implicit-def: $vgpr6
.LBB9_891:
	s_andn2_saveexec_b32 s8, s8
; %bb.892:
	v_mov_b32_e32 v3, 0x7f
	v_cmp_lt_u32_e32 vcc_lo, 0x7f800000, v6
	v_cndmask_b32_e32 v3, 0x7c, v3, vcc_lo
; %bb.893:
	s_or_b32 exec_lo, exec_lo, s8
	v_lshrrev_b32_e32 v2, 24, v2
	v_and_or_b32 v2, 0x80, v2, v3
	global_store_byte v[4:5], v2, off
.LBB9_894:
	s_mov_b32 s8, 0
.LBB9_895:
	s_andn2_b32 vcc_lo, exec_lo, s8
	s_mov_b32 s8, 0
	s_cbranch_vccnz .LBB9_902
; %bb.896:
	s_cmp_gt_i32 s7, 14
	s_mov_b32 s8, -1
	s_cbranch_scc0 .LBB9_900
; %bb.897:
	s_cmp_eq_u32 s7, 15
	s_mov_b32 s4, -1
	s_cbranch_scc0 .LBB9_899
; %bb.898:
	v_cvt_f32_f64_e32 v2, v[0:1]
	s_mov_b32 s4, 0
	v_bfe_u32 v3, v2, 16, 1
	v_cmp_o_f32_e32 vcc_lo, v2, v2
	v_add3_u32 v2, v2, v3, 0x7fff
	v_mov_b32_e32 v3, 0x7fc0
	v_cndmask_b32_sdwa v2, v3, v2, vcc_lo dst_sel:DWORD dst_unused:UNUSED_PAD src0_sel:DWORD src1_sel:WORD_1
	global_store_short v[4:5], v2, off
.LBB9_899:
	s_mov_b32 s8, 0
.LBB9_900:
	s_and_b32 vcc_lo, exec_lo, s8
	s_mov_b32 s8, 0
	s_cbranch_vccz .LBB9_902
; %bb.901:
	s_cmp_lg_u32 s7, 11
	s_mov_b32 s8, -1
	s_cselect_b32 s4, -1, 0
.LBB9_902:
	s_and_b32 vcc_lo, exec_lo, s4
	s_cbranch_vccnz .LBB9_1006
.LBB9_903:
	s_mov_b32 s4, 0
	s_branch .LBB9_944
.LBB9_904:
	s_mov_b32 s10, 0
	s_cbranch_execz .LBB9_827
; %bb.905:
	s_and_b32 s4, 0xffff, s5
	s_mov_b32 s8, -1
	s_cmp_lt_i32 s4, 5
	s_cbranch_scc1 .LBB9_926
; %bb.906:
	s_cmp_lt_i32 s4, 8
	s_cbranch_scc1 .LBB9_916
; %bb.907:
	;; [unrolled: 3-line block ×3, first 2 shown]
	s_cmp_gt_i32 s4, 9
	s_cbranch_scc0 .LBB9_910
; %bb.909:
	v_mov_b32_e32 v42, 0
	s_mov_b32 s8, 0
	v_mov_b32_e32 v43, v42
	global_store_dwordx4 v[2:3], v[40:43], off
.LBB9_910:
	s_andn2_b32 vcc_lo, exec_lo, s8
	s_cbranch_vccnz .LBB9_912
; %bb.911:
	v_cvt_f32_f64_e32 v5, v[40:41]
	v_mov_b32_e32 v6, 0
	global_store_dwordx2 v[2:3], v[5:6], off
.LBB9_912:
	s_mov_b32 s8, 0
.LBB9_913:
	s_andn2_b32 vcc_lo, exec_lo, s8
	s_cbranch_vccnz .LBB9_915
; %bb.914:
	v_and_or_b32 v5, 0x1ff, v41, v40
	v_lshrrev_b32_e32 v6, 8, v41
	v_bfe_u32 v7, v41, 20, 11
	v_cmp_ne_u32_e32 vcc_lo, 0, v5
	v_sub_nc_u32_e32 v8, 0x3f1, v7
	v_add_nc_u32_e32 v7, 0xfffffc10, v7
	v_cndmask_b32_e64 v5, 0, 1, vcc_lo
	v_and_or_b32 v5, 0xffe, v6, v5
	v_med3_i32 v6, v8, 0, 13
	v_or_b32_e32 v8, 0x1000, v5
	v_lshrrev_b32_e32 v9, v6, v8
	v_lshlrev_b32_e32 v6, v6, v9
	v_cmp_ne_u32_e32 vcc_lo, v6, v8
	v_lshl_or_b32 v8, v7, 12, v5
	v_cndmask_b32_e64 v6, 0, 1, vcc_lo
	v_cmp_gt_i32_e32 vcc_lo, 1, v7
	v_or_b32_e32 v6, v9, v6
	v_cndmask_b32_e32 v6, v8, v6, vcc_lo
	v_and_b32_e32 v8, 7, v6
	v_lshrrev_b32_e32 v6, 2, v6
	v_cmp_lt_i32_e32 vcc_lo, 5, v8
	v_cndmask_b32_e64 v9, 0, 1, vcc_lo
	v_cmp_eq_u32_e32 vcc_lo, 3, v8
	v_cndmask_b32_e64 v8, 0, 1, vcc_lo
	v_cmp_ne_u32_e32 vcc_lo, 0, v5
	v_or_b32_e32 v8, v8, v9
	v_mov_b32_e32 v9, 0x7e00
	v_add_nc_u32_e32 v6, v6, v8
	v_cndmask_b32_e32 v5, 0x7c00, v9, vcc_lo
	v_cmp_gt_i32_e32 vcc_lo, 31, v7
	v_cndmask_b32_e32 v6, 0x7c00, v6, vcc_lo
	v_cmp_eq_u32_e32 vcc_lo, 0x40f, v7
	v_cndmask_b32_e32 v5, v6, v5, vcc_lo
	v_lshrrev_b32_e32 v6, 16, v41
	v_and_or_b32 v5, 0x8000, v6, v5
	v_and_b32_e32 v5, 0xffff, v5
	global_store_dword v[2:3], v5, off
.LBB9_915:
	s_mov_b32 s8, 0
.LBB9_916:
	s_andn2_b32 vcc_lo, exec_lo, s8
	s_cbranch_vccnz .LBB9_925
; %bb.917:
	s_cmp_lt_i32 s4, 6
	s_mov_b32 s8, -1
	s_cbranch_scc1 .LBB9_923
; %bb.918:
	s_cmp_gt_i32 s4, 6
	s_cbranch_scc0 .LBB9_920
; %bb.919:
	s_mov_b32 s8, 0
	global_store_dwordx2 v[2:3], v[40:41], off
.LBB9_920:
	s_andn2_b32 vcc_lo, exec_lo, s8
	s_cbranch_vccnz .LBB9_922
; %bb.921:
	v_cvt_f32_f64_e32 v5, v[40:41]
	global_store_dword v[2:3], v5, off
.LBB9_922:
	s_mov_b32 s8, 0
.LBB9_923:
	s_andn2_b32 vcc_lo, exec_lo, s8
	s_cbranch_vccnz .LBB9_925
; %bb.924:
	v_and_or_b32 v5, 0x1ff, v41, v40
	v_lshrrev_b32_e32 v6, 8, v41
	v_bfe_u32 v7, v41, 20, 11
	v_cmp_ne_u32_e32 vcc_lo, 0, v5
	v_sub_nc_u32_e32 v8, 0x3f1, v7
	v_add_nc_u32_e32 v7, 0xfffffc10, v7
	v_cndmask_b32_e64 v5, 0, 1, vcc_lo
	v_and_or_b32 v5, 0xffe, v6, v5
	v_med3_i32 v6, v8, 0, 13
	v_or_b32_e32 v8, 0x1000, v5
	v_lshrrev_b32_e32 v9, v6, v8
	v_lshlrev_b32_e32 v6, v6, v9
	v_cmp_ne_u32_e32 vcc_lo, v6, v8
	v_lshl_or_b32 v8, v7, 12, v5
	v_cndmask_b32_e64 v6, 0, 1, vcc_lo
	v_cmp_gt_i32_e32 vcc_lo, 1, v7
	v_or_b32_e32 v6, v9, v6
	v_cndmask_b32_e32 v6, v8, v6, vcc_lo
	v_and_b32_e32 v8, 7, v6
	v_lshrrev_b32_e32 v6, 2, v6
	v_cmp_lt_i32_e32 vcc_lo, 5, v8
	v_cndmask_b32_e64 v9, 0, 1, vcc_lo
	v_cmp_eq_u32_e32 vcc_lo, 3, v8
	v_cndmask_b32_e64 v8, 0, 1, vcc_lo
	v_cmp_ne_u32_e32 vcc_lo, 0, v5
	v_or_b32_e32 v8, v8, v9
	v_mov_b32_e32 v9, 0x7e00
	v_add_nc_u32_e32 v6, v6, v8
	v_cndmask_b32_e32 v5, 0x7c00, v9, vcc_lo
	v_cmp_gt_i32_e32 vcc_lo, 31, v7
	v_cndmask_b32_e32 v6, 0x7c00, v6, vcc_lo
	v_cmp_eq_u32_e32 vcc_lo, 0x40f, v7
	v_cndmask_b32_e32 v5, v6, v5, vcc_lo
	v_lshrrev_b32_e32 v6, 16, v41
	v_and_or_b32 v5, 0x8000, v6, v5
	global_store_short v[2:3], v5, off
.LBB9_925:
	s_mov_b32 s8, 0
.LBB9_926:
	s_andn2_b32 vcc_lo, exec_lo, s8
	s_cbranch_vccnz .LBB9_942
; %bb.927:
	s_cmp_lt_i32 s4, 2
	s_mov_b32 s8, -1
	s_cbranch_scc1 .LBB9_937
; %bb.928:
	s_cmp_lt_i32 s4, 3
	s_cbranch_scc1 .LBB9_934
; %bb.929:
	s_cmp_gt_i32 s4, 3
	s_cbranch_scc0 .LBB9_931
; %bb.930:
	v_trunc_f64_e32 v[5:6], v[40:41]
	s_mov_b32 s8, 0
	v_ldexp_f64 v[7:8], v[5:6], 0xffffffe0
	v_floor_f64_e32 v[7:8], v[7:8]
	v_fma_f64 v[5:6], 0xc1f00000, v[7:8], v[5:6]
	v_cvt_i32_f64_e32 v7, v[7:8]
	v_cvt_u32_f64_e32 v6, v[5:6]
	global_store_dwordx2 v[2:3], v[6:7], off
.LBB9_931:
	s_andn2_b32 vcc_lo, exec_lo, s8
	s_cbranch_vccnz .LBB9_933
; %bb.932:
	v_cvt_i32_f64_e32 v5, v[40:41]
	global_store_dword v[2:3], v5, off
.LBB9_933:
	s_mov_b32 s8, 0
.LBB9_934:
	s_andn2_b32 vcc_lo, exec_lo, s8
	s_cbranch_vccnz .LBB9_936
; %bb.935:
	v_cvt_i32_f64_e32 v5, v[40:41]
	global_store_short v[2:3], v5, off
.LBB9_936:
	s_mov_b32 s8, 0
.LBB9_937:
	s_andn2_b32 vcc_lo, exec_lo, s8
	s_cbranch_vccnz .LBB9_942
; %bb.938:
	s_cmp_gt_i32 s4, 0
	s_mov_b32 s4, -1
	s_cbranch_scc0 .LBB9_940
; %bb.939:
	v_cvt_i32_f64_e32 v5, v[40:41]
	s_mov_b32 s4, 0
	global_store_byte v[2:3], v5, off
.LBB9_940:
	s_andn2_b32 vcc_lo, exec_lo, s4
	s_cbranch_vccnz .LBB9_942
; %bb.941:
	v_trunc_f64_e32 v[5:6], v[40:41]
	v_ldexp_f64 v[7:8], v[5:6], 0xffffffe0
	v_floor_f64_e32 v[7:8], v[7:8]
	v_fma_f64 v[5:6], 0xc1f00000, v[7:8], v[5:6]
	v_cvt_u32_f64_e32 v5, v[5:6]
	global_store_byte v[2:3], v5, off
.LBB9_942:
	s_branch .LBB9_828
.LBB9_943:
	s_mov_b32 s4, 0
	s_mov_b32 s8, 0
                                        ; implicit-def: $sgpr5
                                        ; implicit-def: $vgpr4_vgpr5
.LBB9_944:
	s_andn2_b32 s7, s40, exec_lo
	s_and_b32 s6, s6, exec_lo
	s_and_b32 s4, s4, exec_lo
	;; [unrolled: 1-line block ×3, first 2 shown]
	s_or_b32 s40, s7, s6
.LBB9_945:
	s_or_b32 exec_lo, exec_lo, s35
	s_and_saveexec_b32 s6, s40
	s_cbranch_execz .LBB9_948
; %bb.946:
	; divergent unreachable
	s_or_b32 exec_lo, exec_lo, s6
	s_and_saveexec_b32 s6, s34
	s_xor_b32 s6, exec_lo, s6
	s_cbranch_execnz .LBB9_949
.LBB9_947:
	s_or_b32 exec_lo, exec_lo, s6
	s_and_saveexec_b32 s6, s4
	s_cbranch_execnz .LBB9_950
	s_branch .LBB9_987
.LBB9_948:
	s_or_b32 exec_lo, exec_lo, s6
	s_and_saveexec_b32 s6, s34
	s_xor_b32 s6, exec_lo, s6
	s_cbranch_execz .LBB9_947
.LBB9_949:
	v_cmp_neq_f64_e32 vcc_lo, 0, v[0:1]
	v_cndmask_b32_e64 v2, 0, 1, vcc_lo
	global_store_byte v[4:5], v2, off
	s_or_b32 exec_lo, exec_lo, s6
	s_and_saveexec_b32 s6, s4
	s_cbranch_execz .LBB9_987
.LBB9_950:
	s_sext_i32_i16 s6, s5
	s_mov_b32 s4, -1
	s_cmp_lt_i32 s6, 5
	s_cbranch_scc1 .LBB9_971
; %bb.951:
	s_cmp_lt_i32 s6, 8
	s_cbranch_scc1 .LBB9_961
; %bb.952:
	;; [unrolled: 3-line block ×3, first 2 shown]
	s_cmp_gt_i32 s6, 9
	s_cbranch_scc0 .LBB9_955
; %bb.954:
	v_mov_b32_e32 v2, 0
	s_mov_b32 s4, 0
	v_mov_b32_e32 v3, v2
	global_store_dwordx4 v[4:5], v[0:3], off
.LBB9_955:
	s_andn2_b32 vcc_lo, exec_lo, s4
	s_cbranch_vccnz .LBB9_957
; %bb.956:
	v_cvt_f32_f64_e32 v2, v[0:1]
	v_mov_b32_e32 v3, 0
	global_store_dwordx2 v[4:5], v[2:3], off
.LBB9_957:
	s_mov_b32 s4, 0
.LBB9_958:
	s_andn2_b32 vcc_lo, exec_lo, s4
	s_cbranch_vccnz .LBB9_960
; %bb.959:
	v_and_or_b32 v2, 0x1ff, v1, v0
	v_lshrrev_b32_e32 v3, 8, v1
	v_bfe_u32 v6, v1, 20, 11
	v_cmp_ne_u32_e32 vcc_lo, 0, v2
	v_sub_nc_u32_e32 v7, 0x3f1, v6
	v_add_nc_u32_e32 v6, 0xfffffc10, v6
	v_cndmask_b32_e64 v2, 0, 1, vcc_lo
	v_and_or_b32 v2, 0xffe, v3, v2
	v_med3_i32 v3, v7, 0, 13
	v_or_b32_e32 v7, 0x1000, v2
	v_lshrrev_b32_e32 v8, v3, v7
	v_lshlrev_b32_e32 v3, v3, v8
	v_cmp_ne_u32_e32 vcc_lo, v3, v7
	v_lshl_or_b32 v7, v6, 12, v2
	v_cndmask_b32_e64 v3, 0, 1, vcc_lo
	v_cmp_gt_i32_e32 vcc_lo, 1, v6
	v_or_b32_e32 v3, v8, v3
	v_cndmask_b32_e32 v3, v7, v3, vcc_lo
	v_and_b32_e32 v7, 7, v3
	v_lshrrev_b32_e32 v3, 2, v3
	v_cmp_lt_i32_e32 vcc_lo, 5, v7
	v_cndmask_b32_e64 v8, 0, 1, vcc_lo
	v_cmp_eq_u32_e32 vcc_lo, 3, v7
	v_cndmask_b32_e64 v7, 0, 1, vcc_lo
	v_cmp_ne_u32_e32 vcc_lo, 0, v2
	v_or_b32_e32 v7, v7, v8
	v_mov_b32_e32 v8, 0x7e00
	v_add_nc_u32_e32 v3, v3, v7
	v_cndmask_b32_e32 v2, 0x7c00, v8, vcc_lo
	v_cmp_gt_i32_e32 vcc_lo, 31, v6
	v_cndmask_b32_e32 v3, 0x7c00, v3, vcc_lo
	v_cmp_eq_u32_e32 vcc_lo, 0x40f, v6
	v_cndmask_b32_e32 v2, v3, v2, vcc_lo
	v_lshrrev_b32_e32 v3, 16, v1
	v_and_or_b32 v2, 0x8000, v3, v2
	v_and_b32_e32 v2, 0xffff, v2
	global_store_dword v[4:5], v2, off
.LBB9_960:
	s_mov_b32 s4, 0
.LBB9_961:
	s_andn2_b32 vcc_lo, exec_lo, s4
	s_cbranch_vccnz .LBB9_970
; %bb.962:
	s_sext_i32_i16 s6, s5
	s_mov_b32 s4, -1
	s_cmp_lt_i32 s6, 6
	s_cbranch_scc1 .LBB9_968
; %bb.963:
	s_cmp_gt_i32 s6, 6
	s_cbranch_scc0 .LBB9_965
; %bb.964:
	s_mov_b32 s4, 0
	global_store_dwordx2 v[4:5], v[0:1], off
.LBB9_965:
	s_andn2_b32 vcc_lo, exec_lo, s4
	s_cbranch_vccnz .LBB9_967
; %bb.966:
	v_cvt_f32_f64_e32 v2, v[0:1]
	global_store_dword v[4:5], v2, off
.LBB9_967:
	s_mov_b32 s4, 0
.LBB9_968:
	s_andn2_b32 vcc_lo, exec_lo, s4
	s_cbranch_vccnz .LBB9_970
; %bb.969:
	v_and_or_b32 v2, 0x1ff, v1, v0
	v_lshrrev_b32_e32 v3, 8, v1
	v_bfe_u32 v6, v1, 20, 11
	v_cmp_ne_u32_e32 vcc_lo, 0, v2
	v_sub_nc_u32_e32 v7, 0x3f1, v6
	v_add_nc_u32_e32 v6, 0xfffffc10, v6
	v_cndmask_b32_e64 v2, 0, 1, vcc_lo
	v_and_or_b32 v2, 0xffe, v3, v2
	v_med3_i32 v3, v7, 0, 13
	v_or_b32_e32 v7, 0x1000, v2
	v_lshrrev_b32_e32 v8, v3, v7
	v_lshlrev_b32_e32 v3, v3, v8
	v_cmp_ne_u32_e32 vcc_lo, v3, v7
	v_lshl_or_b32 v7, v6, 12, v2
	v_cndmask_b32_e64 v3, 0, 1, vcc_lo
	v_cmp_gt_i32_e32 vcc_lo, 1, v6
	v_or_b32_e32 v3, v8, v3
	v_cndmask_b32_e32 v3, v7, v3, vcc_lo
	v_and_b32_e32 v7, 7, v3
	v_lshrrev_b32_e32 v3, 2, v3
	v_cmp_lt_i32_e32 vcc_lo, 5, v7
	v_cndmask_b32_e64 v8, 0, 1, vcc_lo
	v_cmp_eq_u32_e32 vcc_lo, 3, v7
	v_cndmask_b32_e64 v7, 0, 1, vcc_lo
	v_cmp_ne_u32_e32 vcc_lo, 0, v2
	v_or_b32_e32 v7, v7, v8
	v_mov_b32_e32 v8, 0x7e00
	v_add_nc_u32_e32 v3, v3, v7
	v_cndmask_b32_e32 v2, 0x7c00, v8, vcc_lo
	v_cmp_gt_i32_e32 vcc_lo, 31, v6
	v_cndmask_b32_e32 v3, 0x7c00, v3, vcc_lo
	v_cmp_eq_u32_e32 vcc_lo, 0x40f, v6
	v_cndmask_b32_e32 v2, v3, v2, vcc_lo
	v_lshrrev_b32_e32 v3, 16, v1
	v_and_or_b32 v2, 0x8000, v3, v2
	global_store_short v[4:5], v2, off
.LBB9_970:
	s_mov_b32 s4, 0
.LBB9_971:
	s_andn2_b32 vcc_lo, exec_lo, s4
	s_cbranch_vccnz .LBB9_987
; %bb.972:
	s_sext_i32_i16 s6, s5
	s_mov_b32 s4, -1
	s_cmp_lt_i32 s6, 2
	s_cbranch_scc1 .LBB9_982
; %bb.973:
	s_cmp_lt_i32 s6, 3
	s_cbranch_scc1 .LBB9_979
; %bb.974:
	s_cmp_gt_i32 s6, 3
	s_cbranch_scc0 .LBB9_976
; %bb.975:
	v_trunc_f64_e32 v[2:3], v[0:1]
	s_mov_b32 s4, 0
	v_ldexp_f64 v[6:7], v[2:3], 0xffffffe0
	v_floor_f64_e32 v[6:7], v[6:7]
	v_fma_f64 v[2:3], 0xc1f00000, v[6:7], v[2:3]
	v_cvt_i32_f64_e32 v7, v[6:7]
	v_cvt_u32_f64_e32 v6, v[2:3]
	global_store_dwordx2 v[4:5], v[6:7], off
.LBB9_976:
	s_andn2_b32 vcc_lo, exec_lo, s4
	s_cbranch_vccnz .LBB9_978
; %bb.977:
	v_cvt_i32_f64_e32 v2, v[0:1]
	global_store_dword v[4:5], v2, off
.LBB9_978:
	s_mov_b32 s4, 0
.LBB9_979:
	s_andn2_b32 vcc_lo, exec_lo, s4
	s_cbranch_vccnz .LBB9_981
; %bb.980:
	v_cvt_i32_f64_e32 v2, v[0:1]
	global_store_short v[4:5], v2, off
.LBB9_981:
	s_mov_b32 s4, 0
.LBB9_982:
	s_andn2_b32 vcc_lo, exec_lo, s4
	s_cbranch_vccnz .LBB9_987
; %bb.983:
	s_sext_i32_i16 s4, s5
	s_cmp_gt_i32 s4, 0
	s_mov_b32 s4, -1
	s_cbranch_scc0 .LBB9_985
; %bb.984:
	v_cvt_i32_f64_e32 v2, v[0:1]
	s_mov_b32 s4, 0
	global_store_byte v[4:5], v2, off
.LBB9_985:
	s_andn2_b32 vcc_lo, exec_lo, s4
	s_cbranch_vccnz .LBB9_987
; %bb.986:
	v_trunc_f64_e32 v[0:1], v[0:1]
	v_ldexp_f64 v[2:3], v[0:1], 0xffffffe0
	v_floor_f64_e32 v[2:3], v[2:3]
	v_fma_f64 v[0:1], 0xc1f00000, v[2:3], v[0:1]
	v_cvt_u32_f64_e32 v0, v[0:1]
	global_store_byte v[4:5], v0, off
	s_endpgm
.LBB9_987:
	s_endpgm
.LBB9_988:
	s_mov_b32 s8, 0
	s_mov_b32 s4, -1
	s_branch .LBB9_944
.LBB9_989:
	s_andn2_saveexec_b32 s10, s10
	s_cbranch_execz .LBB9_541
.LBB9_990:
	v_add_f32_e64 v6, 0x46000000, |v5|
	s_andn2_b32 s9, s9, exec_lo
	v_and_b32_e32 v6, 0xff, v6
	v_cmp_ne_u32_e32 vcc_lo, 0, v6
	s_and_b32 s11, vcc_lo, exec_lo
	s_or_b32 s9, s9, s11
	s_or_b32 exec_lo, exec_lo, s10
	v_mov_b32_e32 v7, 0
	s_and_saveexec_b32 s10, s9
	s_cbranch_execnz .LBB9_542
	s_branch .LBB9_543
.LBB9_991:
	s_or_b32 s6, s40, exec_lo
	s_trap 2
	s_cbranch_execz .LBB9_589
	s_branch .LBB9_590
.LBB9_992:
	s_andn2_saveexec_b32 s9, s9
	s_cbranch_execz .LBB9_554
.LBB9_993:
	v_add_f32_e64 v6, 0x42800000, |v5|
	s_andn2_b32 s8, s8, exec_lo
	v_and_b32_e32 v6, 0xff, v6
	v_cmp_ne_u32_e32 vcc_lo, 0, v6
	s_and_b32 s10, vcc_lo, exec_lo
	s_or_b32 s8, s8, s10
	s_or_b32 exec_lo, exec_lo, s9
	v_mov_b32_e32 v7, 0
	s_and_saveexec_b32 s9, s8
	s_cbranch_execnz .LBB9_555
	s_branch .LBB9_556
.LBB9_994:
	s_andn2_saveexec_b32 s12, s12
	s_cbranch_execz .LBB9_659
.LBB9_995:
	v_add_f32_e64 v6, 0x46000000, |v5|
	s_andn2_b32 s11, s11, exec_lo
	v_and_b32_e32 v6, 0xff, v6
	v_cmp_ne_u32_e32 vcc_lo, 0, v6
	s_and_b32 s13, vcc_lo, exec_lo
	s_or_b32 s11, s11, s13
	s_or_b32 exec_lo, exec_lo, s12
	v_mov_b32_e32 v7, 0
	s_and_saveexec_b32 s12, s11
	s_cbranch_execnz .LBB9_660
	s_branch .LBB9_661
.LBB9_996:
	s_or_b32 s6, s6, exec_lo
	s_trap 2
	s_cbranch_execz .LBB9_707
	s_branch .LBB9_708
.LBB9_997:
	s_andn2_saveexec_b32 s11, s11
	s_cbranch_execz .LBB9_672
.LBB9_998:
	v_add_f32_e64 v6, 0x42800000, |v5|
	s_andn2_b32 s10, s10, exec_lo
	v_and_b32_e32 v6, 0xff, v6
	v_cmp_ne_u32_e32 vcc_lo, 0, v6
	s_and_b32 s12, vcc_lo, exec_lo
	s_or_b32 s10, s10, s12
	s_or_b32 exec_lo, exec_lo, s11
	v_mov_b32_e32 v7, 0
	s_and_saveexec_b32 s11, s10
	s_cbranch_execnz .LBB9_673
	s_branch .LBB9_674
.LBB9_999:
	s_andn2_saveexec_b32 s12, s12
	s_cbranch_execz .LBB9_777
.LBB9_1000:
	v_add_f32_e64 v6, 0x46000000, |v5|
	s_andn2_b32 s11, s11, exec_lo
	v_and_b32_e32 v6, 0xff, v6
	v_cmp_ne_u32_e32 vcc_lo, 0, v6
	s_and_b32 s13, vcc_lo, exec_lo
	s_or_b32 s11, s11, s13
	s_or_b32 exec_lo, exec_lo, s12
	v_mov_b32_e32 v7, 0
	s_and_saveexec_b32 s12, s11
	s_cbranch_execnz .LBB9_778
	s_branch .LBB9_779
.LBB9_1001:
	s_or_b32 s6, s6, exec_lo
	s_trap 2
	s_cbranch_execz .LBB9_825
	s_branch .LBB9_826
.LBB9_1002:
	s_andn2_saveexec_b32 s11, s11
	s_cbranch_execz .LBB9_790
.LBB9_1003:
	v_add_f32_e64 v6, 0x42800000, |v5|
	s_andn2_b32 s10, s10, exec_lo
	v_and_b32_e32 v6, 0xff, v6
	v_cmp_ne_u32_e32 vcc_lo, 0, v6
	s_and_b32 s12, vcc_lo, exec_lo
	s_or_b32 s10, s10, s12
	s_or_b32 exec_lo, exec_lo, s11
	v_mov_b32_e32 v7, 0
	s_and_saveexec_b32 s11, s10
	s_cbranch_execnz .LBB9_791
	s_branch .LBB9_792
.LBB9_1004:
	s_andn2_saveexec_b32 s11, s11
	s_cbranch_execz .LBB9_857
.LBB9_1005:
	v_add_f32_e64 v3, 0x46000000, |v2|
	s_andn2_b32 s10, s10, exec_lo
	v_and_b32_e32 v3, 0xff, v3
	v_cmp_ne_u32_e32 vcc_lo, 0, v3
	s_and_b32 s12, vcc_lo, exec_lo
	s_or_b32 s10, s10, s12
	s_or_b32 exec_lo, exec_lo, s11
	v_mov_b32_e32 v6, 0
	s_and_saveexec_b32 s11, s10
	s_cbranch_execnz .LBB9_858
	s_branch .LBB9_859
.LBB9_1006:
	s_mov_b32 s8, 0
	s_or_b32 s6, s6, exec_lo
	s_trap 2
	s_branch .LBB9_903
.LBB9_1007:
	s_andn2_saveexec_b32 s9, s9
	s_cbranch_execz .LBB9_422
.LBB9_1008:
	v_add_f32_e64 v3, 0x46000000, |v2|
	s_andn2_b32 s8, s8, exec_lo
	v_and_b32_e32 v3, 0xff, v3
	v_cmp_ne_u32_e32 vcc_lo, 0, v3
	s_and_b32 s10, vcc_lo, exec_lo
	s_or_b32 s8, s8, s10
	s_or_b32 exec_lo, exec_lo, s9
	v_mov_b32_e32 v6, 0
	s_and_saveexec_b32 s9, s8
	s_cbranch_execnz .LBB9_423
	s_branch .LBB9_424
.LBB9_1009:
	s_andn2_saveexec_b32 s10, s10
	s_cbranch_execz .LBB9_869
.LBB9_1010:
	v_add_f32_e64 v3, 0x42800000, |v2|
	s_andn2_b32 s9, s9, exec_lo
	v_and_b32_e32 v3, 0xff, v3
	v_cmp_ne_u32_e32 vcc_lo, 0, v3
	s_and_b32 s11, vcc_lo, exec_lo
	s_or_b32 s9, s9, s11
	s_or_b32 exec_lo, exec_lo, s10
	v_mov_b32_e32 v6, 0
	s_and_saveexec_b32 s10, s9
	s_cbranch_execnz .LBB9_870
	s_branch .LBB9_871
.LBB9_1011:
	s_andn2_saveexec_b32 s10, s10
	s_cbranch_execz .LBB9_434
.LBB9_1012:
	v_add_f32_e64 v3, 0x42800000, |v2|
	s_andn2_b32 s9, s9, exec_lo
	v_and_b32_e32 v3, 0xff, v3
	v_cmp_ne_u32_e32 vcc_lo, 0, v3
	s_and_b32 s11, vcc_lo, exec_lo
	s_or_b32 s9, s9, s11
	s_or_b32 exec_lo, exec_lo, s10
	v_mov_b32_e32 v6, 0
	s_and_saveexec_b32 s10, s9
	s_cbranch_execnz .LBB9_435
	s_branch .LBB9_436
	.section	.rodata,"a",@progbits
	.p2align	6, 0x0
	.amdhsa_kernel _ZN2at6native32elementwise_kernel_manual_unrollILi128ELi4EZNS0_15gpu_kernel_implIZZZNS0_12_GLOBAL__N_119airy_ai_kernel_cudaERNS_18TensorIteratorBaseEENKUlvE_clEvENKUlvE_clEvEUldE_EEvS5_RKT_EUlibE_EEviT1_
		.amdhsa_group_segment_fixed_size 0
		.amdhsa_private_segment_fixed_size 0
		.amdhsa_kernarg_size 40
		.amdhsa_user_sgpr_count 6
		.amdhsa_user_sgpr_private_segment_buffer 1
		.amdhsa_user_sgpr_dispatch_ptr 0
		.amdhsa_user_sgpr_queue_ptr 0
		.amdhsa_user_sgpr_kernarg_segment_ptr 1
		.amdhsa_user_sgpr_dispatch_id 0
		.amdhsa_user_sgpr_flat_scratch_init 0
		.amdhsa_user_sgpr_private_segment_size 0
		.amdhsa_wavefront_size32 1
		.amdhsa_uses_dynamic_stack 0
		.amdhsa_system_sgpr_private_segment_wavefront_offset 0
		.amdhsa_system_sgpr_workgroup_id_x 1
		.amdhsa_system_sgpr_workgroup_id_y 0
		.amdhsa_system_sgpr_workgroup_id_z 0
		.amdhsa_system_sgpr_workgroup_info 0
		.amdhsa_system_vgpr_workitem_id 0
		.amdhsa_next_free_vgpr 84
		.amdhsa_next_free_sgpr 47
		.amdhsa_reserve_vcc 1
		.amdhsa_reserve_flat_scratch 0
		.amdhsa_float_round_mode_32 0
		.amdhsa_float_round_mode_16_64 0
		.amdhsa_float_denorm_mode_32 3
		.amdhsa_float_denorm_mode_16_64 3
		.amdhsa_dx10_clamp 1
		.amdhsa_ieee_mode 1
		.amdhsa_fp16_overflow 0
		.amdhsa_workgroup_processor_mode 1
		.amdhsa_memory_ordered 1
		.amdhsa_forward_progress 1
		.amdhsa_shared_vgpr_count 0
		.amdhsa_exception_fp_ieee_invalid_op 0
		.amdhsa_exception_fp_denorm_src 0
		.amdhsa_exception_fp_ieee_div_zero 0
		.amdhsa_exception_fp_ieee_overflow 0
		.amdhsa_exception_fp_ieee_underflow 0
		.amdhsa_exception_fp_ieee_inexact 0
		.amdhsa_exception_int_div_zero 0
	.end_amdhsa_kernel
	.section	.text._ZN2at6native32elementwise_kernel_manual_unrollILi128ELi4EZNS0_15gpu_kernel_implIZZZNS0_12_GLOBAL__N_119airy_ai_kernel_cudaERNS_18TensorIteratorBaseEENKUlvE_clEvENKUlvE_clEvEUldE_EEvS5_RKT_EUlibE_EEviT1_,"axG",@progbits,_ZN2at6native32elementwise_kernel_manual_unrollILi128ELi4EZNS0_15gpu_kernel_implIZZZNS0_12_GLOBAL__N_119airy_ai_kernel_cudaERNS_18TensorIteratorBaseEENKUlvE_clEvENKUlvE_clEvEUldE_EEvS5_RKT_EUlibE_EEviT1_,comdat
.Lfunc_end9:
	.size	_ZN2at6native32elementwise_kernel_manual_unrollILi128ELi4EZNS0_15gpu_kernel_implIZZZNS0_12_GLOBAL__N_119airy_ai_kernel_cudaERNS_18TensorIteratorBaseEENKUlvE_clEvENKUlvE_clEvEUldE_EEvS5_RKT_EUlibE_EEviT1_, .Lfunc_end9-_ZN2at6native32elementwise_kernel_manual_unrollILi128ELi4EZNS0_15gpu_kernel_implIZZZNS0_12_GLOBAL__N_119airy_ai_kernel_cudaERNS_18TensorIteratorBaseEENKUlvE_clEvENKUlvE_clEvEUldE_EEvS5_RKT_EUlibE_EEviT1_
                                        ; -- End function
	.set _ZN2at6native32elementwise_kernel_manual_unrollILi128ELi4EZNS0_15gpu_kernel_implIZZZNS0_12_GLOBAL__N_119airy_ai_kernel_cudaERNS_18TensorIteratorBaseEENKUlvE_clEvENKUlvE_clEvEUldE_EEvS5_RKT_EUlibE_EEviT1_.num_vgpr, max(57, .L_ZN2at6native6invokeIZZZNS0_12_GLOBAL__N_119airy_ai_kernel_cudaERNS_18TensorIteratorBaseEENKUlvE_clEvENKUlvE_clEvEUldE_i15function_traitsIS7_EEENT1_11result_typeERKT_PrKPcPKT0_PKN3c1010ScalarTypeEi.num_vgpr)
	.set _ZN2at6native32elementwise_kernel_manual_unrollILi128ELi4EZNS0_15gpu_kernel_implIZZZNS0_12_GLOBAL__N_119airy_ai_kernel_cudaERNS_18TensorIteratorBaseEENKUlvE_clEvENKUlvE_clEvEUldE_EEvS5_RKT_EUlibE_EEviT1_.num_agpr, max(0, .L_ZN2at6native6invokeIZZZNS0_12_GLOBAL__N_119airy_ai_kernel_cudaERNS_18TensorIteratorBaseEENKUlvE_clEvENKUlvE_clEvEUldE_i15function_traitsIS7_EEENT1_11result_typeERKT_PrKPcPKT0_PKN3c1010ScalarTypeEi.num_agpr)
	.set _ZN2at6native32elementwise_kernel_manual_unrollILi128ELi4EZNS0_15gpu_kernel_implIZZZNS0_12_GLOBAL__N_119airy_ai_kernel_cudaERNS_18TensorIteratorBaseEENKUlvE_clEvENKUlvE_clEvEUldE_EEvS5_RKT_EUlibE_EEviT1_.numbered_sgpr, max(47, .L_ZN2at6native6invokeIZZZNS0_12_GLOBAL__N_119airy_ai_kernel_cudaERNS_18TensorIteratorBaseEENKUlvE_clEvENKUlvE_clEvEUldE_i15function_traitsIS7_EEENT1_11result_typeERKT_PrKPcPKT0_PKN3c1010ScalarTypeEi.numbered_sgpr)
	.set _ZN2at6native32elementwise_kernel_manual_unrollILi128ELi4EZNS0_15gpu_kernel_implIZZZNS0_12_GLOBAL__N_119airy_ai_kernel_cudaERNS_18TensorIteratorBaseEENKUlvE_clEvENKUlvE_clEvEUldE_EEvS5_RKT_EUlibE_EEviT1_.num_named_barrier, max(0, .L_ZN2at6native6invokeIZZZNS0_12_GLOBAL__N_119airy_ai_kernel_cudaERNS_18TensorIteratorBaseEENKUlvE_clEvENKUlvE_clEvEUldE_i15function_traitsIS7_EEENT1_11result_typeERKT_PrKPcPKT0_PKN3c1010ScalarTypeEi.num_named_barrier)
	.set _ZN2at6native32elementwise_kernel_manual_unrollILi128ELi4EZNS0_15gpu_kernel_implIZZZNS0_12_GLOBAL__N_119airy_ai_kernel_cudaERNS_18TensorIteratorBaseEENKUlvE_clEvENKUlvE_clEvEUldE_EEvS5_RKT_EUlibE_EEviT1_.private_seg_size, 0+max(.L_ZN2at6native6invokeIZZZNS0_12_GLOBAL__N_119airy_ai_kernel_cudaERNS_18TensorIteratorBaseEENKUlvE_clEvENKUlvE_clEvEUldE_i15function_traitsIS7_EEENT1_11result_typeERKT_PrKPcPKT0_PKN3c1010ScalarTypeEi.private_seg_size)
	.set _ZN2at6native32elementwise_kernel_manual_unrollILi128ELi4EZNS0_15gpu_kernel_implIZZZNS0_12_GLOBAL__N_119airy_ai_kernel_cudaERNS_18TensorIteratorBaseEENKUlvE_clEvENKUlvE_clEvEUldE_EEvS5_RKT_EUlibE_EEviT1_.uses_vcc, or(1, .L_ZN2at6native6invokeIZZZNS0_12_GLOBAL__N_119airy_ai_kernel_cudaERNS_18TensorIteratorBaseEENKUlvE_clEvENKUlvE_clEvEUldE_i15function_traitsIS7_EEENT1_11result_typeERKT_PrKPcPKT0_PKN3c1010ScalarTypeEi.uses_vcc)
	.set _ZN2at6native32elementwise_kernel_manual_unrollILi128ELi4EZNS0_15gpu_kernel_implIZZZNS0_12_GLOBAL__N_119airy_ai_kernel_cudaERNS_18TensorIteratorBaseEENKUlvE_clEvENKUlvE_clEvEUldE_EEvS5_RKT_EUlibE_EEviT1_.uses_flat_scratch, or(0, .L_ZN2at6native6invokeIZZZNS0_12_GLOBAL__N_119airy_ai_kernel_cudaERNS_18TensorIteratorBaseEENKUlvE_clEvENKUlvE_clEvEUldE_i15function_traitsIS7_EEENT1_11result_typeERKT_PrKPcPKT0_PKN3c1010ScalarTypeEi.uses_flat_scratch)
	.set _ZN2at6native32elementwise_kernel_manual_unrollILi128ELi4EZNS0_15gpu_kernel_implIZZZNS0_12_GLOBAL__N_119airy_ai_kernel_cudaERNS_18TensorIteratorBaseEENKUlvE_clEvENKUlvE_clEvEUldE_EEvS5_RKT_EUlibE_EEviT1_.has_dyn_sized_stack, or(0, .L_ZN2at6native6invokeIZZZNS0_12_GLOBAL__N_119airy_ai_kernel_cudaERNS_18TensorIteratorBaseEENKUlvE_clEvENKUlvE_clEvEUldE_i15function_traitsIS7_EEENT1_11result_typeERKT_PrKPcPKT0_PKN3c1010ScalarTypeEi.has_dyn_sized_stack)
	.set _ZN2at6native32elementwise_kernel_manual_unrollILi128ELi4EZNS0_15gpu_kernel_implIZZZNS0_12_GLOBAL__N_119airy_ai_kernel_cudaERNS_18TensorIteratorBaseEENKUlvE_clEvENKUlvE_clEvEUldE_EEvS5_RKT_EUlibE_EEviT1_.has_recursion, or(0, .L_ZN2at6native6invokeIZZZNS0_12_GLOBAL__N_119airy_ai_kernel_cudaERNS_18TensorIteratorBaseEENKUlvE_clEvENKUlvE_clEvEUldE_i15function_traitsIS7_EEENT1_11result_typeERKT_PrKPcPKT0_PKN3c1010ScalarTypeEi.has_recursion)
	.set _ZN2at6native32elementwise_kernel_manual_unrollILi128ELi4EZNS0_15gpu_kernel_implIZZZNS0_12_GLOBAL__N_119airy_ai_kernel_cudaERNS_18TensorIteratorBaseEENKUlvE_clEvENKUlvE_clEvEUldE_EEvS5_RKT_EUlibE_EEviT1_.has_indirect_call, or(0, .L_ZN2at6native6invokeIZZZNS0_12_GLOBAL__N_119airy_ai_kernel_cudaERNS_18TensorIteratorBaseEENKUlvE_clEvENKUlvE_clEvEUldE_i15function_traitsIS7_EEENT1_11result_typeERKT_PrKPcPKT0_PKN3c1010ScalarTypeEi.has_indirect_call)
	.section	.AMDGPU.csdata,"",@progbits
; Kernel info:
; codeLenInByte = 19732
; TotalNumSgprs: 49
; NumVgprs: 84
; ScratchSize: 0
; MemoryBound: 0
; FloatMode: 240
; IeeeMode: 1
; LDSByteSize: 0 bytes/workgroup (compile time only)
; SGPRBlocks: 0
; VGPRBlocks: 10
; NumSGPRsForWavesPerEU: 49
; NumVGPRsForWavesPerEU: 84
; Occupancy: 10
; WaveLimiterHint : 0
; COMPUTE_PGM_RSRC2:SCRATCH_EN: 0
; COMPUTE_PGM_RSRC2:USER_SGPR: 6
; COMPUTE_PGM_RSRC2:TRAP_HANDLER: 0
; COMPUTE_PGM_RSRC2:TGID_X_EN: 1
; COMPUTE_PGM_RSRC2:TGID_Y_EN: 0
; COMPUTE_PGM_RSRC2:TGID_Z_EN: 0
; COMPUTE_PGM_RSRC2:TIDIG_COMP_CNT: 0
	.text
	.p2align	2                               ; -- Begin function _ZN2at6native6invokeIZZZNS0_12_GLOBAL__N_119airy_ai_kernel_cudaERNS_18TensorIteratorBaseEENKUlvE_clEvENKUlvE_clEvEUldE_j15function_traitsIS7_EEENT1_11result_typeERKT_PrKPcPKT0_PKN3c1010ScalarTypeEi
	.type	_ZN2at6native6invokeIZZZNS0_12_GLOBAL__N_119airy_ai_kernel_cudaERNS_18TensorIteratorBaseEENKUlvE_clEvENKUlvE_clEvEUldE_j15function_traitsIS7_EEENT1_11result_typeERKT_PrKPcPKT0_PKN3c1010ScalarTypeEi,@function
_ZN2at6native6invokeIZZZNS0_12_GLOBAL__N_119airy_ai_kernel_cudaERNS_18TensorIteratorBaseEENKUlvE_clEvENKUlvE_clEvEUldE_j15function_traitsIS7_EEENT1_11result_typeERKT_PrKPcPKT0_PKN3c1010ScalarTypeEi: ; @_ZN2at6native6invokeIZZZNS0_12_GLOBAL__N_119airy_ai_kernel_cudaERNS_18TensorIteratorBaseEENKUlvE_clEvENKUlvE_clEvEUldE_j15function_traitsIS7_EEENT1_11result_typeERKT_PrKPcPKT0_PKN3c1010ScalarTypeEi
; %bb.0:
	s_waitcnt vmcnt(0) expcnt(0) lgkmcnt(0)
	v_mov_b32_e32 v4, 10
	v_add_co_u32 v0, vcc_lo, v0, v2
	v_add_co_ci_u32_e64 v1, null, 0, v1, vcc_lo
	v_cmp_gt_i16_sdwa s4, v3, v4 src0_sel:BYTE_0 src1_sel:DWORD
	s_mov_b32 s5, 0
                                        ; implicit-def: $vgpr4_vgpr5
	s_and_saveexec_b32 s6, s4
	s_xor_b32 s4, exec_lo, s6
	s_cbranch_execz .LBB10_55
; %bb.1:
	v_mov_b32_e32 v2, 25
	s_mov_b32 s8, 0
	s_mov_b32 s7, 0
                                        ; implicit-def: $vgpr4_vgpr5
	v_cmp_gt_i16_sdwa s6, v3, v2 src0_sel:BYTE_0 src1_sel:DWORD
	s_and_saveexec_b32 s9, s6
	s_xor_b32 s6, exec_lo, s9
	s_cbranch_execz .LBB10_98
; %bb.2:
	v_mov_b32_e32 v2, 28
	s_mov_b32 s9, 0
                                        ; implicit-def: $vgpr4_vgpr5
	v_cmp_gt_i16_sdwa s7, v3, v2 src0_sel:BYTE_0 src1_sel:DWORD
	s_and_saveexec_b32 s10, s7
	s_xor_b32 s7, exec_lo, s10
	s_cbranch_execz .LBB10_18
; %bb.3:
	v_mov_b32_e32 v2, 43
	s_mov_b32 s10, 0
	s_mov_b32 s11, 0
                                        ; implicit-def: $vgpr4_vgpr5
	v_cmp_gt_i16_sdwa s8, v3, v2 src0_sel:BYTE_0 src1_sel:DWORD
	s_and_saveexec_b32 s9, s8
	s_xor_b32 s8, exec_lo, s9
	s_cbranch_execz .LBB10_13
; %bb.4:
	v_mov_b32_e32 v2, 45
	s_mov_b32 s9, 0
                                        ; implicit-def: $vgpr4_vgpr5
	v_cmp_gt_i16_sdwa s11, v3, v2 src0_sel:BYTE_0 src1_sel:DWORD
	s_and_saveexec_b32 s12, s11
	s_xor_b32 s11, exec_lo, s12
	s_cbranch_execz .LBB10_8
; %bb.5:
	v_mov_b32_e32 v2, 46
	s_mov_b32 s12, -1
                                        ; implicit-def: $vgpr4_vgpr5
	v_cmp_eq_u16_sdwa s13, v3, v2 src0_sel:BYTE_0 src1_sel:DWORD
	s_and_saveexec_b32 s10, s13
	s_cbranch_execz .LBB10_7
; %bb.6:
	flat_load_dword v2, v[0:1]
	s_mov_b32 s9, exec_lo
	s_xor_b32 s12, exec_lo, -1
	s_waitcnt vmcnt(0) lgkmcnt(0)
	v_lshlrev_b32_e32 v2, 16, v2
	v_cvt_f64_f32_e32 v[4:5], v2
.LBB10_7:
	s_or_b32 exec_lo, exec_lo, s10
	s_and_b32 s10, s9, exec_lo
	s_and_b32 s9, s12, exec_lo
                                        ; implicit-def: $vgpr3
.LBB10_8:
	s_andn2_saveexec_b32 s11, s11
	s_cbranch_execz .LBB10_12
; %bb.9:
	v_mov_b32_e32 v2, 44
	s_mov_b32 s13, -1
	s_mov_b32 s14, s10
                                        ; implicit-def: $vgpr4_vgpr5
	v_cmp_eq_u16_sdwa s15, v3, v2 src0_sel:BYTE_0 src1_sel:DWORD
	s_and_saveexec_b32 s12, s15
	s_cbranch_execz .LBB10_11
; %bb.10:
	flat_load_ubyte v4, v[0:1]
	s_or_b32 s14, s10, exec_lo
	s_xor_b32 s13, exec_lo, -1
	s_waitcnt vmcnt(0) lgkmcnt(0)
	v_lshlrev_b32_e32 v2, 23, v4
	v_cmp_ne_u32_e32 vcc_lo, 0xff, v4
	v_cvt_f64_f32_e32 v[2:3], v2
	v_cndmask_b32_e32 v2, 0x20000000, v2, vcc_lo
	v_cndmask_b32_e32 v3, 0x7ff80000, v3, vcc_lo
	v_cmp_ne_u32_e32 vcc_lo, 0, v4
	v_cndmask_b32_e32 v5, 0x38000000, v3, vcc_lo
	v_cndmask_b32_e32 v4, 0, v2, vcc_lo
.LBB10_11:
	s_or_b32 exec_lo, exec_lo, s12
	s_andn2_b32 s10, s10, exec_lo
	s_and_b32 s12, s14, exec_lo
	s_andn2_b32 s9, s9, exec_lo
	s_and_b32 s13, s13, exec_lo
	s_or_b32 s10, s10, s12
	s_or_b32 s9, s9, s13
.LBB10_12:
	s_or_b32 exec_lo, exec_lo, s11
	s_and_b32 s11, s10, exec_lo
	s_and_b32 s10, s9, exec_lo
                                        ; implicit-def: $vgpr3
.LBB10_13:
	s_andn2_saveexec_b32 s8, s8
	s_cbranch_execz .LBB10_17
; %bb.14:
	v_mov_b32_e32 v2, 29
	s_mov_b32 s9, -1
	s_mov_b32 s12, s11
                                        ; implicit-def: $vgpr4_vgpr5
	v_cmp_eq_u16_sdwa s14, v3, v2 src0_sel:BYTE_0 src1_sel:DWORD
	s_and_saveexec_b32 s13, s14
	s_cbranch_execz .LBB10_16
; %bb.15:
	flat_load_dwordx2 v[2:3], v[0:1]
	s_or_b32 s12, s11, exec_lo
	s_xor_b32 s9, exec_lo, -1
	s_waitcnt vmcnt(0) lgkmcnt(0)
	v_cvt_f64_u32_e32 v[3:4], v3
	v_cvt_f64_u32_e32 v[5:6], v2
	v_ldexp_f64 v[3:4], v[3:4], 32
	v_add_f64 v[4:5], v[3:4], v[5:6]
.LBB10_16:
	s_or_b32 exec_lo, exec_lo, s13
	s_andn2_b32 s11, s11, exec_lo
	s_and_b32 s12, s12, exec_lo
	s_andn2_b32 s10, s10, exec_lo
	s_and_b32 s9, s9, exec_lo
	s_or_b32 s11, s11, s12
	s_or_b32 s10, s10, s9
.LBB10_17:
	s_or_b32 exec_lo, exec_lo, s8
	s_and_b32 s9, s11, exec_lo
	s_and_b32 s8, s10, exec_lo
                                        ; implicit-def: $vgpr3
.LBB10_18:
	s_andn2_saveexec_b32 s7, s7
	s_cbranch_execz .LBB10_36
; %bb.19:
	v_mov_b32_e32 v2, 26
                                        ; implicit-def: $vgpr4_vgpr5
	v_cmp_gt_i16_sdwa s10, v3, v2 src0_sel:BYTE_0 src1_sel:DWORD
	s_and_saveexec_b32 s11, s10
	s_xor_b32 s10, exec_lo, s11
	s_cbranch_execz .LBB10_25
; %bb.20:
	v_mov_b32_e32 v2, 27
                                        ; implicit-def: $vgpr4_vgpr5
	v_cmp_gt_i16_sdwa s11, v3, v2 src0_sel:BYTE_0 src1_sel:DWORD
	s_and_saveexec_b32 s12, s11
	s_xor_b32 s11, exec_lo, s12
	s_cbranch_execz .LBB10_22
; %bb.21:
	flat_load_dword v2, v[0:1]
	s_waitcnt vmcnt(0) lgkmcnt(0)
	v_cvt_f64_u32_e32 v[4:5], v2
.LBB10_22:
	s_andn2_saveexec_b32 s11, s11
	s_cbranch_execz .LBB10_24
; %bb.23:
	flat_load_ushort v2, v[0:1]
	s_waitcnt vmcnt(0) lgkmcnt(0)
	v_cvt_f64_u32_e32 v[4:5], v2
.LBB10_24:
	s_or_b32 exec_lo, exec_lo, s11
.LBB10_25:
	s_andn2_saveexec_b32 s10, s10
	s_cbranch_execz .LBB10_35
; %bb.26:
	flat_load_ubyte v2, v[0:1]
	s_mov_b32 s11, 0
	s_mov_b32 s12, exec_lo
	s_waitcnt vmcnt(0) lgkmcnt(0)
	v_cmpx_lt_i16_e32 0x7f, v2
	s_xor_b32 s12, exec_lo, s12
	s_cbranch_execz .LBB10_30
; %bb.27:
	s_mov_b32 s11, -1
	s_mov_b32 s13, exec_lo
	v_cmpx_eq_u16_e32 0x80, v2
; %bb.28:
	s_xor_b32 s11, exec_lo, -1
; %bb.29:
	s_or_b32 exec_lo, exec_lo, s13
	s_and_b32 s11, s11, exec_lo
.LBB10_30:
	s_or_saveexec_b32 s12, s12
	v_bfrev_b32_e32 v4, 4
	v_mov_b32_e32 v5, 0x7ff80000
	s_xor_b32 exec_lo, exec_lo, s12
; %bb.31:
	v_cmp_ne_u16_e32 vcc_lo, 0, v2
	v_mov_b32_e32 v4, 0
	v_mov_b32_e32 v5, 0
	s_andn2_b32 s11, s11, exec_lo
	s_and_b32 s13, vcc_lo, exec_lo
	s_or_b32 s11, s11, s13
; %bb.32:
	s_or_b32 exec_lo, exec_lo, s12
	s_and_saveexec_b32 s12, s11
	s_cbranch_execz .LBB10_34
; %bb.33:
	v_and_b32_e32 v3, 0xffff, v2
	v_lshlrev_b32_e32 v2, 24, v2
	v_and_b32_e32 v4, 7, v3
	v_bfe_u32 v7, v3, 3, 4
	v_and_b32_e32 v2, 0x80000000, v2
	v_ffbh_u32_e32 v5, v4
	v_cmp_eq_u32_e32 vcc_lo, 0, v7
	v_min_u32_e32 v5, 32, v5
	v_subrev_nc_u32_e32 v6, 28, v5
	v_sub_nc_u32_e32 v5, 29, v5
	v_lshlrev_b32_e32 v3, v6, v3
	v_cndmask_b32_e32 v5, v7, v5, vcc_lo
	v_and_b32_e32 v3, 7, v3
	v_cndmask_b32_e32 v3, v4, v3, vcc_lo
	v_lshl_add_u32 v4, v5, 23, 0x3b800000
	v_lshlrev_b32_e32 v3, 20, v3
	v_or3_b32 v2, v2, v4, v3
	v_cvt_f64_f32_e32 v[4:5], v2
.LBB10_34:
	s_or_b32 exec_lo, exec_lo, s12
.LBB10_35:
	s_or_b32 exec_lo, exec_lo, s10
	s_or_b32 s9, s9, exec_lo
.LBB10_36:
	s_or_b32 exec_lo, exec_lo, s7
	s_and_b32 s7, s9, exec_lo
	s_and_b32 s8, s8, exec_lo
                                        ; implicit-def: $vgpr3
	s_andn2_saveexec_b32 s6, s6
	s_cbranch_execnz .LBB10_99
.LBB10_37:
	s_or_b32 exec_lo, exec_lo, s6
	s_and_saveexec_b32 s6, s8
	s_cbranch_execnz .LBB10_126
.LBB10_38:
	s_or_b32 exec_lo, exec_lo, s6
	s_and_saveexec_b32 s6, s5
	s_xor_b32 s5, exec_lo, s6
	s_cbranch_execz .LBB10_40
.LBB10_39:
	flat_load_ubyte v0, v[0:1]
	v_mov_b32_e32 v4, 0
	s_or_b32 s7, s7, exec_lo
	s_waitcnt vmcnt(0) lgkmcnt(0)
	v_cmp_ne_u16_e32 vcc_lo, 0, v0
	v_cndmask_b32_e64 v5, 0, 0x3ff00000, vcc_lo
.LBB10_40:
	s_or_b32 exec_lo, exec_lo, s5
	s_and_b32 s5, s7, exec_lo
                                        ; implicit-def: $vgpr3
                                        ; implicit-def: $vgpr0_vgpr1
	s_andn2_saveexec_b32 s4, s4
	s_cbranch_execnz .LBB10_56
.LBB10_41:
	s_or_b32 exec_lo, exec_lo, s4
                                        ; implicit-def: $vgpr0_vgpr1
	s_and_saveexec_b32 s16, s5
	s_cbranch_execz .LBB10_97
.LBB10_42:
	v_mov_b32_e32 v0, 0
	v_mov_b32_e32 v1, 0x7ff80000
	s_mov_b32 s17, exec_lo
	s_waitcnt vmcnt(0) lgkmcnt(0)
	v_cmpx_neq_f64_e64 0x7ff00000, |v[4:5]|
	s_cbranch_execz .LBB10_136
; %bb.43:
	v_mov_b32_e32 v0, 0
	v_mov_b32_e32 v1, 0
	s_mov_b32 s4, 0x872b020c
	s_mov_b32 s5, 0x4059f916
	s_mov_b32 s18, exec_lo
	v_cmpx_nlt_f64_e32 s[4:5], v[4:5]
	s_cbranch_execz .LBB10_135
; %bb.44:
	s_mov_b32 s5, 0xc000b851
	s_mov_b32 s4, 0xeb851eb8
                                        ; implicit-def: $vgpr0_vgpr1
	v_cmp_ngt_f64_e32 vcc_lo, s[4:5], v[4:5]
	s_and_saveexec_b32 s5, vcc_lo
	s_xor_b32 s6, exec_lo, s5
	s_cbranch_execz .LBB10_52
; %bb.45:
	s_mov_b32 s5, 0x4000b851
	v_mov_b32_e32 v0, 0
	v_cmp_nle_f64_e64 s7, s[4:5], v[4:5]
	v_cmp_le_f64_e32 vcc_lo, s[4:5], v[4:5]
	v_mov_b32_e32 v1, 0
	s_mov_b32 s4, s7
	s_and_saveexec_b32 s8, vcc_lo
	s_cbranch_execz .LBB10_47
; %bb.46:
	v_cmp_gt_f64_e32 vcc_lo, 0x10000000, v[4:5]
	s_mov_b32 s4, 0x2537b658
	s_mov_b32 s10, 0x2624d31
	;; [unrolled: 1-line block ×4, first 2 shown]
	v_cndmask_b32_e64 v0, 0, 0x100, vcc_lo
	v_ldexp_f64 v[0:1], v[4:5], v0
	v_rsq_f64_e32 v[2:3], v[0:1]
	v_mul_f64 v[6:7], v[0:1], v[2:3]
	v_mul_f64 v[2:3], v[2:3], 0.5
	v_fma_f64 v[8:9], -v[2:3], v[6:7], 0.5
	v_fma_f64 v[6:7], v[6:7], v[8:9], v[6:7]
	v_fma_f64 v[2:3], v[2:3], v[8:9], v[2:3]
	v_fma_f64 v[8:9], -v[6:7], v[6:7], v[0:1]
	v_fma_f64 v[6:7], v[8:9], v[2:3], v[6:7]
	v_fma_f64 v[8:9], -v[6:7], v[6:7], v[0:1]
	v_fma_f64 v[2:3], v[8:9], v[2:3], v[6:7]
	v_cndmask_b32_e64 v6, 0, 0xffffff80, vcc_lo
	v_cmp_class_f64_e64 vcc_lo, v[0:1], 0x260
	v_ldexp_f64 v[2:3], v[2:3], v6
	v_add_f64 v[6:7], v[4:5], v[4:5]
	v_cndmask_b32_e32 v1, v3, v1, vcc_lo
	v_cndmask_b32_e32 v0, v2, v0, vcc_lo
	v_mul_f64 v[2:3], v[6:7], v[0:1]
	v_div_scale_f64 v[6:7], null, 0x40080000, 0x40080000, v[2:3]
	v_div_scale_f64 v[12:13], vcc_lo, v[2:3], 0x40080000, v[2:3]
	v_rcp_f64_e32 v[8:9], v[6:7]
	v_fma_f64 v[10:11], -v[6:7], v[8:9], 1.0
	v_fma_f64 v[8:9], v[8:9], v[10:11], v[8:9]
	v_fma_f64 v[10:11], -v[6:7], v[8:9], 1.0
	v_fma_f64 v[8:9], v[8:9], v[10:11], v[8:9]
	v_mul_f64 v[10:11], v[12:13], v[8:9]
	v_fma_f64 v[6:7], -v[6:7], v[10:11], v[12:13]
	v_div_fmas_f64 v[6:7], v[6:7], v[8:9], v[10:11]
	v_div_fixup_f64 v[2:3], v[6:7], 0x40080000, v[2:3]
	v_div_scale_f64 v[6:7], null, v[2:3], v[2:3], 1.0
	v_div_scale_f64 v[12:13], vcc_lo, 1.0, v[2:3], 1.0
	v_rcp_f64_e32 v[8:9], v[6:7]
	v_fma_f64 v[10:11], -v[6:7], v[8:9], 1.0
	v_fma_f64 v[8:9], v[8:9], v[10:11], v[8:9]
	v_fma_f64 v[10:11], -v[6:7], v[8:9], 1.0
	v_fma_f64 v[8:9], v[8:9], v[10:11], v[8:9]
	v_mul_f64 v[10:11], v[12:13], v[8:9]
	v_fma_f64 v[6:7], -v[6:7], v[10:11], v[12:13]
	v_div_fmas_f64 v[6:7], v[6:7], v[8:9], v[10:11]
	v_cmp_gt_f64_e32 vcc_lo, 0x10000000, v[0:1]
	v_div_fixup_f64 v[6:7], v[6:7], v[2:3], 1.0
	v_cndmask_b32_e64 v18, 0, 0x100, vcc_lo
	v_ldexp_f64 v[0:1], v[0:1], v18
	v_fma_f64 v[8:9], v[6:7], 0, s[10:11]
	v_fma_f64 v[10:11], v[6:7], 0, s[4:5]
	s_mov_b32 s4, 0x652b82fe
	s_mov_b32 s5, 0x3ff71547
	;; [unrolled: 1-line block ×3, first 2 shown]
	v_mul_f64 v[12:13], v[2:3], s[4:5]
	s_mov_b32 s4, 0x871a9067
	s_mov_b32 s5, 0x402803e3
	;; [unrolled: 1-line block ×3, first 2 shown]
	v_fma_f64 v[8:9], v[6:7], v[8:9], s[10:11]
	v_fma_f64 v[10:11], v[6:7], v[10:11], s[4:5]
	s_mov_b32 s4, 0xde2e1e3
	s_mov_b32 s10, 0xb04d51a0
	;; [unrolled: 1-line block ×3, first 2 shown]
	v_rndne_f64_e32 v[12:13], v[12:13]
	s_mov_b32 s11, 0x405520e3
	v_fma_f64 v[8:9], v[6:7], v[8:9], s[10:11]
	v_fma_f64 v[10:11], v[6:7], v[10:11], s[4:5]
	s_mov_b32 s4, 0xfefa39ef
	s_mov_b32 s5, 0xbfe62e42
	;; [unrolled: 1-line block ×3, first 2 shown]
	v_fma_f64 v[14:15], v[12:13], s[4:5], v[2:3]
	s_mov_b32 s4, 0xee40073c
	s_mov_b32 s5, 0x406502da
	;; [unrolled: 1-line block ×3, first 2 shown]
	v_fma_f64 v[8:9], v[6:7], v[8:9], s[10:11]
	v_fma_f64 v[10:11], v[6:7], v[10:11], s[4:5]
	s_mov_b32 s4, 0x3b39803f
	s_mov_b32 s5, 0xbc7abc9e
	;; [unrolled: 1-line block ×3, first 2 shown]
	v_fma_f64 v[14:15], v[12:13], s[4:5], v[14:15]
	s_mov_b32 s4, 0x5ba1fddf
	s_mov_b32 s5, 0x4063f834
	;; [unrolled: 1-line block ×3, first 2 shown]
	v_fma_f64 v[8:9], v[6:7], v[8:9], s[10:11]
	v_fma_f64 v[10:11], v[6:7], v[10:11], s[4:5]
	s_mov_b32 s4, 0xfca7ab0c
	s_mov_b32 s10, 0x6a5dcb37
	;; [unrolled: 1-line block ×4, first 2 shown]
	v_fma_f64 v[16:17], v[14:15], s[10:11], s[4:5]
	s_mov_b32 s4, 0x4f4cea4f
	s_mov_b32 s10, 0xee91d35f
	;; [unrolled: 1-line block ×4, first 2 shown]
	v_fma_f64 v[8:9], v[6:7], v[8:9], s[10:11]
	v_fma_f64 v[10:11], v[6:7], v[10:11], s[4:5]
	s_mov_b32 s4, 0x623fde64
	s_mov_b32 s5, 0x3ec71dee
	;; [unrolled: 1-line block ×4, first 2 shown]
	v_fma_f64 v[16:17], v[14:15], v[16:17], s[4:5]
	s_mov_b32 s4, 0x5c2a0f4d
	s_mov_b32 s5, 0x402c0d8d
	v_fma_f64 v[8:9], v[6:7], v[8:9], s[10:11]
	v_fma_f64 v[10:11], v[6:7], v[10:11], s[4:5]
	s_mov_b32 s4, 0x7c89e6b0
	s_mov_b32 s5, 0x3efa0199
	v_fma_f64 v[16:17], v[14:15], v[16:17], s[4:5]
	s_mov_b32 s4, 0x14761f6e
	s_mov_b32 s5, 0x3f2a01a0
	v_fma_f64 v[8:9], v[6:7], v[8:9], 1.0
	v_fma_f64 v[6:7], v[6:7], v[10:11], 1.0
	v_rsq_f64_e32 v[10:11], v[0:1]
	v_fma_f64 v[16:17], v[14:15], v[16:17], s[4:5]
	s_mov_b32 s4, 0x1852b7b0
	s_mov_b32 s5, 0x3f56c16c
	v_div_scale_f64 v[18:19], null, v[8:9], v[8:9], v[6:7]
	v_mul_f64 v[20:21], v[0:1], v[10:11]
	v_mul_f64 v[10:11], v[10:11], 0.5
	v_fma_f64 v[16:17], v[14:15], v[16:17], s[4:5]
	s_mov_b32 s4, 0x11122322
	s_mov_b32 s5, 0x3f811111
	v_rcp_f64_e32 v[22:23], v[18:19]
	v_fma_f64 v[24:25], -v[10:11], v[20:21], 0.5
	v_fma_f64 v[16:17], v[14:15], v[16:17], s[4:5]
	s_mov_b32 s4, 0x555502a1
	s_mov_b32 s5, 0x3fa55555
	v_fma_f64 v[26:27], -v[18:19], v[22:23], 1.0
	v_fma_f64 v[20:21], v[20:21], v[24:25], v[20:21]
	v_fma_f64 v[10:11], v[10:11], v[24:25], v[10:11]
	;; [unrolled: 1-line block ×3, first 2 shown]
	s_mov_b32 s4, 0x55555511
	s_mov_b32 s5, 0x3fc55555
	v_fma_f64 v[22:23], v[22:23], v[26:27], v[22:23]
	v_fma_f64 v[24:25], -v[20:21], v[20:21], v[0:1]
	v_fma_f64 v[16:17], v[14:15], v[16:17], s[4:5]
	s_mov_b32 s4, 11
	s_mov_b32 s5, 0x3fe00000
	v_fma_f64 v[26:27], -v[18:19], v[22:23], 1.0
	v_fma_f64 v[20:21], v[24:25], v[10:11], v[20:21]
	v_fma_f64 v[16:17], v[14:15], v[16:17], s[4:5]
	v_div_scale_f64 v[24:25], s4, v[6:7], v[8:9], v[6:7]
	v_cmp_class_f64_e64 s5, v[0:1], 0x260
	v_fma_f64 v[22:23], v[22:23], v[26:27], v[22:23]
	v_fma_f64 v[26:27], -v[20:21], v[20:21], v[0:1]
	v_fma_f64 v[16:17], v[14:15], v[16:17], 1.0
	v_mul_f64 v[28:29], v[24:25], v[22:23]
	v_fma_f64 v[10:11], v[26:27], v[10:11], v[20:21]
	v_cvt_i32_f64_e32 v20, v[12:13]
	v_fma_f64 v[12:13], v[14:15], v[16:17], 1.0
	v_cndmask_b32_e64 v16, 0, 0xffffff80, vcc_lo
	s_mov_b32 vcc_lo, s4
	v_cmp_ngt_f64_e64 s4, 0xc090cc00, v[2:3]
	v_fma_f64 v[14:15], -v[18:19], v[28:29], v[24:25]
	v_ldexp_f64 v[10:11], v[10:11], v16
	v_ldexp_f64 v[12:13], v[12:13], v20
	v_div_fmas_f64 v[14:15], v[14:15], v[22:23], v[28:29]
	v_cmp_nlt_f64_e32 vcc_lo, 0x40900000, v[2:3]
	v_cndmask_b32_e64 v1, v11, v1, s5
	v_cndmask_b32_e64 v0, v10, v0, s5
	v_add_f64 v[0:1], v[0:1], v[0:1]
	v_div_fixup_f64 v[2:3], v[14:15], v[8:9], v[6:7]
	v_cndmask_b32_e32 v11, 0x7ff00000, v13, vcc_lo
	s_and_b32 vcc_lo, s4, vcc_lo
	v_cndmask_b32_e32 v6, 0, v12, vcc_lo
	v_cndmask_b32_e64 v7, 0, v11, s4
	s_mov_b32 s4, 0x50429b6d
	s_mov_b32 s5, 0x3fe20dd7
	v_mul_f64 v[0:1], v[0:1], v[6:7]
	v_mul_f64 v[2:3], v[2:3], s[4:5]
	s_mov_b32 s4, 0xfd0a823a
	s_mov_b32 s5, 0x4020a402
	v_div_scale_f64 v[6:7], null, v[0:1], v[0:1], v[2:3]
	v_rcp_f64_e32 v[8:9], v[6:7]
	v_fma_f64 v[10:11], -v[6:7], v[8:9], 1.0
	v_fma_f64 v[8:9], v[8:9], v[10:11], v[8:9]
	v_fma_f64 v[10:11], -v[6:7], v[8:9], 1.0
	v_fma_f64 v[8:9], v[8:9], v[10:11], v[8:9]
	v_div_scale_f64 v[10:11], vcc_lo, v[2:3], v[0:1], v[2:3]
	v_mul_f64 v[12:13], v[10:11], v[8:9]
	v_fma_f64 v[6:7], -v[6:7], v[12:13], v[10:11]
	v_div_fmas_f64 v[6:7], v[6:7], v[8:9], v[12:13]
	v_cmp_nlt_f64_e32 vcc_lo, s[4:5], v[4:5]
	s_andn2_b32 s4, s7, exec_lo
	v_div_fixup_f64 v[0:1], v[6:7], v[0:1], v[2:3]
	s_and_b32 s5, vcc_lo, exec_lo
	s_or_b32 s4, s4, s5
.LBB10_47:
	s_or_b32 exec_lo, exec_lo, s8
	s_and_saveexec_b32 s5, s4
	s_cbranch_execz .LBB10_51
; %bb.48:
	v_mul_f64 v[2:3], v[4:5], v[4:5]
	v_mov_b32_e32 v10, 0
	v_mov_b32_e32 v12, 0
	;; [unrolled: 1-line block ×6, first 2 shown]
	s_mov_b32 s8, 0
	v_mul_f64 v[6:7], v[4:5], v[2:3]
	v_mov_b32_e32 v2, 0
	v_mov_b32_e32 v3, 0x3ff00000
.LBB10_49:                              ; =>This Inner Loop Header: Depth=1
	v_mul_f64 v[10:11], v[6:7], v[10:11]
	v_add_f64 v[12:13], v[12:13], 1.0
	v_mul_f64 v[4:5], v[6:7], v[4:5]
	v_div_scale_f64 v[14:15], null, v[12:13], v[12:13], v[10:11]
	v_div_scale_f64 v[20:21], vcc_lo, v[10:11], v[12:13], v[10:11]
	v_rcp_f64_e32 v[16:17], v[14:15]
	v_fma_f64 v[18:19], -v[14:15], v[16:17], 1.0
	v_fma_f64 v[16:17], v[16:17], v[18:19], v[16:17]
	v_fma_f64 v[18:19], -v[14:15], v[16:17], 1.0
	v_fma_f64 v[16:17], v[16:17], v[18:19], v[16:17]
	v_mul_f64 v[18:19], v[20:21], v[16:17]
	v_fma_f64 v[14:15], -v[14:15], v[18:19], v[20:21]
	v_div_fmas_f64 v[14:15], v[14:15], v[16:17], v[18:19]
	v_add_f64 v[16:17], v[12:13], 1.0
	v_div_fixup_f64 v[10:11], v[14:15], v[12:13], v[10:11]
	v_div_scale_f64 v[12:13], null, v[16:17], v[16:17], v[4:5]
	v_div_scale_f64 v[26:27], vcc_lo, v[4:5], v[16:17], v[4:5]
	v_div_scale_f64 v[14:15], null, v[16:17], v[16:17], v[10:11]
	v_rcp_f64_e32 v[18:19], v[12:13]
	v_rcp_f64_e32 v[20:21], v[14:15]
	v_fma_f64 v[22:23], -v[12:13], v[18:19], 1.0
	v_fma_f64 v[24:25], -v[14:15], v[20:21], 1.0
	v_fma_f64 v[18:19], v[18:19], v[22:23], v[18:19]
	v_fma_f64 v[20:21], v[20:21], v[24:25], v[20:21]
	v_fma_f64 v[22:23], -v[12:13], v[18:19], 1.0
	v_fma_f64 v[24:25], -v[14:15], v[20:21], 1.0
	v_fma_f64 v[18:19], v[18:19], v[22:23], v[18:19]
	v_div_scale_f64 v[22:23], s4, v[10:11], v[16:17], v[10:11]
	v_fma_f64 v[20:21], v[20:21], v[24:25], v[20:21]
	v_mul_f64 v[24:25], v[26:27], v[18:19]
	v_mul_f64 v[28:29], v[22:23], v[20:21]
	v_fma_f64 v[12:13], -v[12:13], v[24:25], v[26:27]
	v_fma_f64 v[14:15], -v[14:15], v[28:29], v[22:23]
	v_div_fmas_f64 v[18:19], v[12:13], v[18:19], v[24:25]
	s_mov_b32 vcc_lo, s4
	v_div_fmas_f64 v[12:13], v[14:15], v[20:21], v[28:29]
	v_div_fixup_f64 v[4:5], v[18:19], v[16:17], v[4:5]
	v_div_fixup_f64 v[10:11], v[12:13], v[16:17], v[10:11]
	v_add_f64 v[12:13], v[16:17], 1.0
	v_add_f64 v[2:3], v[2:3], v[10:11]
	v_div_scale_f64 v[14:15], null, v[12:13], v[12:13], v[4:5]
	v_div_scale_f64 v[26:27], vcc_lo, v[4:5], v[12:13], v[4:5]
	v_div_scale_f64 v[16:17], null, v[2:3], v[2:3], v[10:11]
	v_rcp_f64_e32 v[18:19], v[14:15]
	v_rcp_f64_e32 v[20:21], v[16:17]
	v_fma_f64 v[22:23], -v[14:15], v[18:19], 1.0
	v_fma_f64 v[24:25], -v[16:17], v[20:21], 1.0
	v_fma_f64 v[18:19], v[18:19], v[22:23], v[18:19]
	v_fma_f64 v[20:21], v[20:21], v[24:25], v[20:21]
	v_fma_f64 v[22:23], -v[14:15], v[18:19], 1.0
	v_fma_f64 v[24:25], -v[16:17], v[20:21], 1.0
	v_fma_f64 v[18:19], v[18:19], v[22:23], v[18:19]
	v_div_scale_f64 v[22:23], s4, v[10:11], v[2:3], v[10:11]
	v_fma_f64 v[20:21], v[20:21], v[24:25], v[20:21]
	v_mul_f64 v[24:25], v[26:27], v[18:19]
	v_mul_f64 v[28:29], v[22:23], v[20:21]
	v_fma_f64 v[14:15], -v[14:15], v[24:25], v[26:27]
	v_fma_f64 v[16:17], -v[16:17], v[28:29], v[22:23]
	v_div_fmas_f64 v[14:15], v[14:15], v[18:19], v[24:25]
	s_mov_b32 vcc_lo, s4
	v_div_fmas_f64 v[16:17], v[16:17], v[20:21], v[28:29]
	v_div_fixup_f64 v[4:5], v[14:15], v[12:13], v[4:5]
	v_div_fixup_f64 v[16:17], v[16:17], v[2:3], v[10:11]
	v_add_f64 v[8:9], v[8:9], v[4:5]
	v_cmp_nlt_f64_e64 s4, 0x3cb00000, |v[16:17]|
	s_or_b32 s8, s4, s8
	s_andn2_b32 exec_lo, exec_lo, s8
	s_cbranch_execnz .LBB10_49
; %bb.50:
	s_or_b32 exec_lo, exec_lo, s8
	s_mov_b32 s8, 0x42b70f8b
	s_mov_b32 s9, 0xbfd0907f
	v_mul_f64 v[4:5], v[8:9], s[8:9]
	s_mov_b32 s8, 0x962715b8
	s_mov_b32 s9, 0x3fd6b8c7
	v_fma_f64 v[2:3], v[2:3], s[8:9], v[4:5]
	v_cndmask_b32_e64 v1, v1, v3, s7
	v_cndmask_b32_e64 v0, v0, v2, s7
.LBB10_51:
	s_or_b32 exec_lo, exec_lo, s5
                                        ; implicit-def: $vgpr4_vgpr5
.LBB10_52:
	s_andn2_saveexec_b32 s19, s6
	s_cbranch_execz .LBB10_134
; %bb.53:
	v_cmp_lt_f64_e32 vcc_lo, 0x90000000, v[4:5]
	s_mov_b32 s5, 0x3fe921fb
	s_mov_b32 s4, 0x54442d18
                                        ; implicit-def: $vgpr22
	v_cndmask_b32_e64 v0, 0, 0x100, vcc_lo
	v_ldexp_f64 v[0:1], -v[4:5], v0
	v_mul_f64 v[4:5], v[4:5], -2.0
	v_rsq_f64_e32 v[2:3], v[0:1]
	v_mul_f64 v[6:7], v[0:1], v[2:3]
	v_mul_f64 v[2:3], v[2:3], 0.5
	v_fma_f64 v[8:9], -v[2:3], v[6:7], 0.5
	v_fma_f64 v[6:7], v[6:7], v[8:9], v[6:7]
	v_fma_f64 v[2:3], v[2:3], v[8:9], v[2:3]
	v_fma_f64 v[8:9], -v[6:7], v[6:7], v[0:1]
	v_fma_f64 v[6:7], v[8:9], v[2:3], v[6:7]
	v_fma_f64 v[8:9], -v[6:7], v[6:7], v[0:1]
	v_fma_f64 v[2:3], v[8:9], v[2:3], v[6:7]
	v_cndmask_b32_e64 v6, 0, 0xffffff80, vcc_lo
	v_cmp_class_f64_e64 vcc_lo, v[0:1], 0x260
	v_ldexp_f64 v[2:3], v[2:3], v6
	v_cndmask_b32_e32 v7, v3, v1, vcc_lo
	v_cndmask_b32_e32 v6, v2, v0, vcc_lo
	v_mul_f64 v[0:1], v[4:5], v[6:7]
	v_div_scale_f64 v[2:3], null, 0x40080000, 0x40080000, v[0:1]
	v_div_scale_f64 v[10:11], vcc_lo, v[0:1], 0x40080000, v[0:1]
	v_rcp_f64_e32 v[4:5], v[2:3]
	v_fma_f64 v[8:9], -v[2:3], v[4:5], 1.0
	v_fma_f64 v[4:5], v[4:5], v[8:9], v[4:5]
	v_fma_f64 v[8:9], -v[2:3], v[4:5], 1.0
	v_fma_f64 v[4:5], v[4:5], v[8:9], v[4:5]
	v_mul_f64 v[8:9], v[10:11], v[4:5]
	v_fma_f64 v[2:3], -v[2:3], v[8:9], v[10:11]
	v_div_fmas_f64 v[2:3], v[2:3], v[4:5], v[8:9]
                                        ; implicit-def: $vgpr4_vgpr5
	v_div_fixup_f64 v[12:13], v[2:3], 0x40080000, v[0:1]
                                        ; implicit-def: $vgpr2_vgpr3
	v_add_f64 v[0:1], v[12:13], s[4:5]
	v_cmp_ngt_f64_e64 s6, 0x41d00000, |v[0:1]|
	v_trig_preop_f64 v[18:19], |v[0:1]|, 0
	v_trig_preop_f64 v[16:17], |v[0:1]|, 1
	v_ldexp_f64 v[20:21], |v[0:1]|, 0xffffff80
	v_trig_preop_f64 v[14:15], |v[0:1]|, 2
	v_and_b32_e32 v24, 0x7fffffff, v1
	s_and_saveexec_b32 s5, s6
	s_xor_b32 s7, exec_lo, s5
	s_cbranch_execz .LBB10_127
; %bb.54:
	v_cmp_le_f64_e64 vcc_lo, 0x7b000000, |v[0:1]|
	v_mov_b32_e32 v35, 0
	s_mov_b32 s5, 0x3ff921fb
	s_mov_b32 s8, 0x33145c07
	;; [unrolled: 1-line block ×3, first 2 shown]
	v_cndmask_b32_e32 v3, v24, v21, vcc_lo
	v_cndmask_b32_e32 v2, v0, v20, vcc_lo
	v_mul_f64 v[4:5], v[18:19], v[2:3]
	v_mul_f64 v[8:9], v[16:17], v[2:3]
	;; [unrolled: 1-line block ×3, first 2 shown]
	v_fma_f64 v[10:11], v[18:19], v[2:3], -v[4:5]
	v_fma_f64 v[33:34], v[16:17], v[2:3], -v[8:9]
	;; [unrolled: 1-line block ×3, first 2 shown]
	v_add_f64 v[22:23], v[8:9], v[10:11]
	v_add_f64 v[25:26], v[22:23], -v[8:9]
	v_add_f64 v[29:30], v[4:5], v[22:23]
	v_add_f64 v[27:28], v[22:23], -v[25:26]
	v_add_f64 v[10:11], v[10:11], -v[25:26]
	v_ldexp_f64 v[25:26], v[29:30], -2
	v_add_f64 v[4:5], v[29:30], -v[4:5]
	v_add_f64 v[8:9], v[8:9], -v[27:28]
	v_add_f64 v[27:28], v[31:32], v[33:34]
	v_cmp_neq_f64_e64 vcc_lo, 0x7ff00000, |v[25:26]|
	v_add_f64 v[4:5], v[22:23], -v[4:5]
	v_add_f64 v[8:9], v[10:11], v[8:9]
	v_fract_f64_e32 v[10:11], v[25:26]
	v_add_f64 v[22:23], v[27:28], v[8:9]
	v_ldexp_f64 v[10:11], v[10:11], 2
	v_add_f64 v[25:26], v[4:5], v[22:23]
	v_cndmask_b32_e32 v11, 0, v11, vcc_lo
	v_cndmask_b32_e32 v10, 0, v10, vcc_lo
	v_add_f64 v[29:30], v[25:26], v[10:11]
	v_add_f64 v[4:5], v[25:26], -v[4:5]
	v_cmp_gt_f64_e32 vcc_lo, 0, v[29:30]
	v_add_f64 v[29:30], v[27:28], -v[31:32]
	v_add_f64 v[4:5], v[22:23], -v[4:5]
	v_cndmask_b32_e64 v36, 0, 0x40100000, vcc_lo
	v_add_f64 v[48:49], v[27:28], -v[29:30]
	v_add_f64 v[29:30], v[33:34], -v[29:30]
	v_add_f64 v[10:11], v[10:11], v[35:36]
	v_add_f64 v[36:37], v[22:23], -v[27:28]
	v_add_f64 v[33:34], v[31:32], -v[48:49]
	v_add_f64 v[38:39], v[25:26], v[10:11]
	;; [unrolled: 3-line block ×3, first 2 shown]
	v_cvt_i32_f64_e32 v38, v[38:39]
	v_add_f64 v[27:28], v[27:28], -v[50:51]
	v_cvt_f64_i32_e32 v[36:37], v38
	v_add_f64 v[8:9], v[8:9], v[27:28]
	v_add_f64 v[10:11], v[10:11], -v[36:37]
	v_add_f64 v[8:9], v[29:30], v[8:9]
	v_add_f64 v[27:28], v[25:26], v[10:11]
	;; [unrolled: 1-line block ×3, first 2 shown]
	v_add_f64 v[8:9], v[27:28], -v[10:11]
	v_cmp_le_f64_e32 vcc_lo, 0.5, v[27:28]
	v_add_f64 v[2:3], v[4:5], v[2:3]
	v_add_f64 v[4:5], v[25:26], -v[8:9]
	v_cndmask_b32_e64 v36, 0, 0x3ff00000, vcc_lo
	v_add_co_ci_u32_e64 v22, null, 0, v38, vcc_lo
	v_add_f64 v[2:3], v[2:3], v[4:5]
	v_add_f64 v[4:5], v[27:28], -v[35:36]
	v_add_f64 v[8:9], v[4:5], v[2:3]
	v_mul_f64 v[10:11], v[8:9], s[4:5]
	v_add_f64 v[4:5], v[8:9], -v[4:5]
	v_fma_f64 v[25:26], v[8:9], s[4:5], -v[10:11]
	v_add_f64 v[2:3], v[2:3], -v[4:5]
	v_fma_f64 v[4:5], v[8:9], s[8:9], v[25:26]
	v_fma_f64 v[4:5], v[2:3], s[4:5], v[4:5]
	v_add_f64 v[2:3], v[10:11], v[4:5]
	v_add_f64 v[8:9], v[2:3], -v[10:11]
	v_add_f64 v[4:5], v[4:5], -v[8:9]
	s_andn2_saveexec_b32 s4, s7
	s_cbranch_execz .LBB10_129
	s_branch .LBB10_128
.LBB10_55:
	s_andn2_saveexec_b32 s4, s4
	s_cbranch_execz .LBB10_41
.LBB10_56:
	v_mov_b32_e32 v2, 4
                                        ; implicit-def: $vgpr4_vgpr5
	v_cmp_gt_i16_sdwa s6, v3, v2 src0_sel:BYTE_0 src1_sel:DWORD
	s_and_saveexec_b32 s7, s6
	s_xor_b32 s6, exec_lo, s7
	s_cbranch_execz .LBB10_78
; %bb.57:
	v_mov_b32_e32 v2, 7
                                        ; implicit-def: $vgpr4_vgpr5
	v_cmp_gt_i16_sdwa s7, v3, v2 src0_sel:BYTE_0 src1_sel:DWORD
	s_and_saveexec_b32 s8, s7
	s_xor_b32 s7, exec_lo, s8
	s_cbranch_execz .LBB10_67
; %bb.58:
	;; [unrolled: 7-line block ×4, first 2 shown]
	flat_load_dwordx2 v[4:5], v[0:1]
                                        ; implicit-def: $vgpr0_vgpr1
.LBB10_61:
	s_andn2_saveexec_b32 s9, s9
	s_cbranch_execz .LBB10_63
; %bb.62:
	flat_load_dword v0, v[0:1]
	s_waitcnt vmcnt(0) lgkmcnt(0)
	v_cvt_f64_f32_e32 v[4:5], v0
.LBB10_63:
	s_or_b32 exec_lo, exec_lo, s9
                                        ; implicit-def: $vgpr0_vgpr1
.LBB10_64:
	s_andn2_saveexec_b32 s8, s8
	s_cbranch_execz .LBB10_66
; %bb.65:
	flat_load_dword v0, v[0:1]
	s_waitcnt vmcnt(0) lgkmcnt(0)
	v_cvt_f32_f16_e32 v0, v0
	v_cvt_f64_f32_e32 v[4:5], v0
.LBB10_66:
	s_or_b32 exec_lo, exec_lo, s8
                                        ; implicit-def: $vgpr0_vgpr1
                                        ; implicit-def: $vgpr3
.LBB10_67:
	s_andn2_saveexec_b32 s7, s7
	s_cbranch_execz .LBB10_77
; %bb.68:
	v_mov_b32_e32 v2, 5
                                        ; implicit-def: $vgpr4_vgpr5
	v_cmp_gt_i16_sdwa s8, v3, v2 src0_sel:BYTE_0 src1_sel:DWORD
	s_and_saveexec_b32 s9, s8
	s_xor_b32 s8, exec_lo, s9
	s_cbranch_execz .LBB10_74
; %bb.69:
	v_mov_b32_e32 v2, 6
                                        ; implicit-def: $vgpr4_vgpr5
	v_cmp_gt_i16_sdwa s9, v3, v2 src0_sel:BYTE_0 src1_sel:DWORD
	s_and_saveexec_b32 s10, s9
	s_xor_b32 s9, exec_lo, s10
	s_cbranch_execz .LBB10_71
; %bb.70:
	s_waitcnt vmcnt(0) lgkmcnt(0)
	flat_load_dwordx2 v[4:5], v[0:1]
                                        ; implicit-def: $vgpr0_vgpr1
.LBB10_71:
	s_andn2_saveexec_b32 s9, s9
	s_cbranch_execz .LBB10_73
; %bb.72:
	flat_load_dword v0, v[0:1]
	s_waitcnt vmcnt(0) lgkmcnt(0)
	v_cvt_f64_f32_e32 v[4:5], v0
.LBB10_73:
	s_or_b32 exec_lo, exec_lo, s9
                                        ; implicit-def: $vgpr0_vgpr1
.LBB10_74:
	s_andn2_saveexec_b32 s8, s8
	s_cbranch_execz .LBB10_76
; %bb.75:
	flat_load_ushort v0, v[0:1]
	s_waitcnt vmcnt(0) lgkmcnt(0)
	v_cvt_f32_f16_e32 v0, v0
	v_cvt_f64_f32_e32 v[4:5], v0
.LBB10_76:
	s_or_b32 exec_lo, exec_lo, s8
.LBB10_77:
	s_or_b32 exec_lo, exec_lo, s7
                                        ; implicit-def: $vgpr3
                                        ; implicit-def: $vgpr0_vgpr1
.LBB10_78:
	s_andn2_saveexec_b32 s6, s6
	s_cbranch_execz .LBB10_96
; %bb.79:
	v_mov_b32_e32 v2, 1
                                        ; implicit-def: $vgpr4_vgpr5
	v_cmp_gt_i16_sdwa s7, v3, v2 src0_sel:BYTE_0 src1_sel:DWORD
	s_and_saveexec_b32 s8, s7
	s_xor_b32 s7, exec_lo, s8
	s_cbranch_execz .LBB10_89
; %bb.80:
	v_mov_b32_e32 v2, 2
                                        ; implicit-def: $vgpr4_vgpr5
	v_cmp_gt_i16_sdwa s8, v3, v2 src0_sel:BYTE_0 src1_sel:DWORD
	s_and_saveexec_b32 s9, s8
	s_xor_b32 s8, exec_lo, s9
	;; [unrolled: 7-line block ×3, first 2 shown]
	s_cbranch_execz .LBB10_83
; %bb.82:
	flat_load_dwordx2 v[0:1], v[0:1]
	s_waitcnt vmcnt(0) lgkmcnt(0)
	v_cvt_f64_i32_e32 v[1:2], v1
	v_cvt_f64_u32_e32 v[3:4], v0
	v_ldexp_f64 v[1:2], v[1:2], 32
	v_add_f64 v[4:5], v[1:2], v[3:4]
                                        ; implicit-def: $vgpr0_vgpr1
.LBB10_83:
	s_andn2_saveexec_b32 s9, s9
	s_cbranch_execz .LBB10_85
; %bb.84:
	flat_load_dword v0, v[0:1]
	s_waitcnt vmcnt(0) lgkmcnt(0)
	v_cvt_f64_i32_e32 v[4:5], v0
.LBB10_85:
	s_or_b32 exec_lo, exec_lo, s9
                                        ; implicit-def: $vgpr0_vgpr1
.LBB10_86:
	s_andn2_saveexec_b32 s8, s8
	s_cbranch_execz .LBB10_88
; %bb.87:
	flat_load_sshort v0, v[0:1]
	s_waitcnt vmcnt(0) lgkmcnt(0)
	v_cvt_f64_i32_e32 v[4:5], v0
.LBB10_88:
	s_or_b32 exec_lo, exec_lo, s8
                                        ; implicit-def: $vgpr0_vgpr1
                                        ; implicit-def: $vgpr3
.LBB10_89:
	s_andn2_saveexec_b32 s7, s7
	s_cbranch_execz .LBB10_95
; %bb.90:
	v_mov_b32_e32 v2, 0
                                        ; implicit-def: $vgpr4_vgpr5
	v_cmp_gt_i16_sdwa s8, v3, v2 src0_sel:BYTE_0 src1_sel:DWORD
	s_and_saveexec_b32 s9, s8
	s_xor_b32 s8, exec_lo, s9
	s_cbranch_execz .LBB10_92
; %bb.91:
	flat_load_sbyte v0, v[0:1]
	s_waitcnt vmcnt(0) lgkmcnt(0)
	v_cvt_f64_i32_e32 v[4:5], v0
                                        ; implicit-def: $vgpr0_vgpr1
.LBB10_92:
	s_andn2_saveexec_b32 s8, s8
	s_cbranch_execz .LBB10_94
; %bb.93:
	flat_load_ubyte v0, v[0:1]
	s_waitcnt vmcnt(0) lgkmcnt(0)
	v_cvt_f64_u32_e32 v[4:5], v0
.LBB10_94:
	s_or_b32 exec_lo, exec_lo, s8
.LBB10_95:
	s_or_b32 exec_lo, exec_lo, s7
.LBB10_96:
	s_or_b32 exec_lo, exec_lo, s6
	s_or_b32 s5, s5, exec_lo
	s_or_b32 exec_lo, exec_lo, s4
                                        ; implicit-def: $vgpr0_vgpr1
	s_and_saveexec_b32 s16, s5
	s_cbranch_execnz .LBB10_42
.LBB10_97:
	s_or_b32 exec_lo, exec_lo, s16
	s_waitcnt vmcnt(0) lgkmcnt(0)
	s_setpc_b64 s[30:31]
.LBB10_98:
	s_andn2_saveexec_b32 s6, s6
	s_cbranch_execz .LBB10_37
.LBB10_99:
	v_mov_b32_e32 v2, 22
	s_mov_b32 s9, s7
                                        ; implicit-def: $vgpr4_vgpr5
	v_cmp_gt_i16_sdwa s5, v3, v2 src0_sel:BYTE_0 src1_sel:DWORD
	s_and_saveexec_b32 s10, s5
	s_xor_b32 s5, exec_lo, s10
	s_cbranch_execz .LBB10_117
; %bb.100:
	v_mov_b32_e32 v2, 23
                                        ; implicit-def: $vgpr4_vgpr5
	v_cmp_gt_i16_sdwa s9, v3, v2 src0_sel:BYTE_0 src1_sel:DWORD
	s_and_saveexec_b32 s10, s9
	s_xor_b32 s9, exec_lo, s10
	s_cbranch_execz .LBB10_114
; %bb.101:
	v_mov_b32_e32 v2, 24
                                        ; implicit-def: $vgpr4_vgpr5
	v_cmp_gt_i16_sdwa s10, v3, v2 src0_sel:BYTE_0 src1_sel:DWORD
	s_and_saveexec_b32 s11, s10
	s_xor_b32 s10, exec_lo, s11
	s_cbranch_execz .LBB10_111
; %bb.102:
	flat_load_ubyte v2, v[0:1]
	s_mov_b32 s11, 0
	s_mov_b32 s12, exec_lo
	s_waitcnt vmcnt(0) lgkmcnt(0)
	v_cmpx_lt_i16_e32 0x7f, v2
	s_xor_b32 s12, exec_lo, s12
	s_cbranch_execz .LBB10_106
; %bb.103:
	s_mov_b32 s11, -1
	s_mov_b32 s13, exec_lo
	v_cmpx_eq_u16_e32 0x80, v2
; %bb.104:
	s_xor_b32 s11, exec_lo, -1
; %bb.105:
	s_or_b32 exec_lo, exec_lo, s13
	s_and_b32 s11, s11, exec_lo
.LBB10_106:
	s_or_saveexec_b32 s12, s12
	v_bfrev_b32_e32 v4, 4
	v_mov_b32_e32 v5, 0x7ff80000
	s_xor_b32 exec_lo, exec_lo, s12
; %bb.107:
	v_cmp_ne_u16_e32 vcc_lo, 0, v2
	v_mov_b32_e32 v4, 0
	v_mov_b32_e32 v5, 0
	s_andn2_b32 s11, s11, exec_lo
	s_and_b32 s13, vcc_lo, exec_lo
	s_or_b32 s11, s11, s13
; %bb.108:
	s_or_b32 exec_lo, exec_lo, s12
	s_and_saveexec_b32 s12, s11
	s_cbranch_execz .LBB10_110
; %bb.109:
	v_and_b32_e32 v3, 0xffff, v2
	v_lshlrev_b32_e32 v2, 24, v2
	v_and_b32_e32 v4, 3, v3
	v_bfe_u32 v7, v3, 2, 5
	v_and_b32_e32 v2, 0x80000000, v2
	v_ffbh_u32_e32 v5, v4
	v_cmp_eq_u32_e32 vcc_lo, 0, v7
	v_min_u32_e32 v5, 32, v5
	v_subrev_nc_u32_e32 v6, 29, v5
	v_sub_nc_u32_e32 v5, 30, v5
	v_lshlrev_b32_e32 v3, v6, v3
	v_cndmask_b32_e32 v5, v7, v5, vcc_lo
	v_and_b32_e32 v3, 3, v3
	v_cndmask_b32_e32 v3, v4, v3, vcc_lo
	v_lshl_add_u32 v4, v5, 23, 0x37800000
	v_lshlrev_b32_e32 v3, 21, v3
	v_or3_b32 v2, v2, v4, v3
	v_cvt_f64_f32_e32 v[4:5], v2
.LBB10_110:
	s_or_b32 exec_lo, exec_lo, s12
.LBB10_111:
	s_andn2_saveexec_b32 s10, s10
	s_cbranch_execz .LBB10_113
; %bb.112:
	flat_load_ubyte v2, v[0:1]
	s_waitcnt vmcnt(0) lgkmcnt(0)
	v_lshlrev_b32_e32 v2, 24, v2
	v_and_b32_e32 v3, 0x7f000000, v2
	v_ffbh_u32_e32 v4, v3
	v_add_nc_u32_e32 v6, 0x1000000, v3
	v_cmp_ne_u32_e32 vcc_lo, 0, v3
	v_min_u32_e32 v4, 32, v4
	v_sub_nc_u32_e64 v4, v4, 4 clamp
	v_lshlrev_b32_e32 v5, v4, v3
	v_lshlrev_b32_e32 v4, 23, v4
	v_lshrrev_b32_e32 v5, 4, v5
	v_sub_nc_u32_e32 v4, v5, v4
	v_ashrrev_i32_e32 v5, 8, v6
	v_add_nc_u32_e32 v4, 0x3c000000, v4
	v_and_or_b32 v4, 0x7f800000, v5, v4
	v_cndmask_b32_e32 v3, 0, v4, vcc_lo
	v_and_or_b32 v2, 0x80000000, v2, v3
	v_cvt_f64_f32_e32 v[4:5], v2
.LBB10_113:
	s_or_b32 exec_lo, exec_lo, s10
.LBB10_114:
	s_andn2_saveexec_b32 s9, s9
	s_cbranch_execz .LBB10_116
; %bb.115:
	flat_load_ubyte v2, v[0:1]
	s_waitcnt vmcnt(0) lgkmcnt(0)
	v_lshlrev_b32_e32 v3, 25, v2
	v_lshlrev_b16 v2, 8, v2
	v_lshrrev_b32_e32 v4, 4, v3
	v_and_or_b32 v5, 0x7f00, v2, 0.5
	v_cmp_gt_u32_e32 vcc_lo, 0x8000000, v3
	v_bfe_i32 v2, v2, 0, 16
	v_or_b32_e32 v4, 0x70000000, v4
	v_add_f32_e32 v5, -0.5, v5
	v_mul_f32_e32 v4, 0x7800000, v4
	v_cndmask_b32_e32 v3, v4, v5, vcc_lo
	v_and_or_b32 v2, 0x80000000, v2, v3
	v_cvt_f64_f32_e32 v[4:5], v2
.LBB10_116:
	s_or_b32 exec_lo, exec_lo, s9
	s_or_b32 s9, s7, exec_lo
                                        ; implicit-def: $vgpr3
.LBB10_117:
	s_or_saveexec_b32 s5, s5
	s_mov_b32 s10, 0
	s_mov_b32 s11, s8
	s_xor_b32 exec_lo, exec_lo, s5
	s_cbranch_execz .LBB10_125
; %bb.118:
	v_mov_b32_e32 v2, 14
	s_mov_b32 s10, s8
	s_mov_b32 s11, s9
                                        ; implicit-def: $vgpr4_vgpr5
	v_cmp_gt_i16_sdwa s12, v3, v2 src0_sel:BYTE_0 src1_sel:DWORD
	s_and_saveexec_b32 s13, s12
	s_xor_b32 s12, exec_lo, s13
	s_cbranch_execz .LBB10_122
; %bb.119:
	v_mov_b32_e32 v2, 15
	s_mov_b32 s10, -1
	s_mov_b32 s11, s9
                                        ; implicit-def: $vgpr4_vgpr5
	v_cmp_eq_u16_sdwa s14, v3, v2 src0_sel:BYTE_0 src1_sel:DWORD
	s_and_saveexec_b32 s13, s14
	s_cbranch_execz .LBB10_121
; %bb.120:
	flat_load_ushort v2, v[0:1]
	s_or_b32 s11, s9, exec_lo
	s_xor_b32 s10, exec_lo, -1
	s_waitcnt vmcnt(0) lgkmcnt(0)
	v_lshlrev_b32_e32 v2, 16, v2
	v_cvt_f64_f32_e32 v[4:5], v2
.LBB10_121:
	s_or_b32 exec_lo, exec_lo, s13
	s_andn2_b32 s13, s9, exec_lo
	s_and_b32 s11, s11, exec_lo
	s_andn2_b32 s14, s8, exec_lo
	s_and_b32 s10, s10, exec_lo
	s_or_b32 s11, s13, s11
	s_or_b32 s10, s14, s10
                                        ; implicit-def: $vgpr3
.LBB10_122:
	s_or_saveexec_b32 s12, s12
	s_mov_b32 s13, 0
	s_xor_b32 exec_lo, exec_lo, s12
; %bb.123:
	v_mov_b32_e32 v2, 11
	s_andn2_b32 s10, s10, exec_lo
	s_mov_b32 s13, exec_lo
	v_cmp_ne_u16_sdwa s14, v3, v2 src0_sel:BYTE_0 src1_sel:DWORD
	s_and_b32 s14, s14, exec_lo
	s_or_b32 s10, s10, s14
; %bb.124:
	s_or_b32 exec_lo, exec_lo, s12
	s_andn2_b32 s9, s9, exec_lo
	s_and_b32 s11, s11, exec_lo
	s_and_b32 s12, s10, exec_lo
	s_or_b32 s9, s9, s11
	s_andn2_b32 s11, s8, exec_lo
	s_and_b32 s10, s13, exec_lo
	s_or_b32 s11, s11, s12
.LBB10_125:
	s_or_b32 exec_lo, exec_lo, s5
	s_andn2_b32 s5, s7, exec_lo
	s_and_b32 s7, s9, exec_lo
	s_andn2_b32 s8, s8, exec_lo
	s_and_b32 s9, s11, exec_lo
	s_or_b32 s7, s5, s7
	s_and_b32 s5, s10, exec_lo
	s_or_b32 s8, s8, s9
	s_or_b32 exec_lo, exec_lo, s6
	s_and_saveexec_b32 s6, s8
	s_cbranch_execz .LBB10_38
.LBB10_126:
	s_trap 2
	; divergent unreachable
	s_andn2_b32 s5, s5, exec_lo
	s_or_b32 exec_lo, exec_lo, s6
	s_and_saveexec_b32 s6, s5
	s_xor_b32 s5, exec_lo, s6
	s_cbranch_execnz .LBB10_39
	s_branch .LBB10_40
.LBB10_127:
	s_andn2_saveexec_b32 s4, s7
	s_cbranch_execz .LBB10_129
.LBB10_128:
	s_mov_b32 s8, 0x6dc9c883
	s_mov_b32 s9, 0x3fe45f30
	;; [unrolled: 1-line block ×3, first 2 shown]
	v_mul_f64 v[2:3], |v[0:1]|, s[8:9]
	s_mov_b32 s8, 0x54442d18
	s_mov_b32 s9, 0xbff921fb
	;; [unrolled: 1-line block ×3, first 2 shown]
	v_rndne_f64_e32 v[8:9], v[2:3]
	v_fma_f64 v[2:3], v[8:9], s[8:9], |v[0:1]|
	v_mul_f64 v[4:5], v[8:9], s[10:11]
	s_mov_b32 s8, 0x252049c0
	s_mov_b32 s9, 0xb97b839a
	v_fma_f64 v[22:23], v[8:9], s[10:11], v[2:3]
	v_add_f64 v[10:11], v[2:3], v[4:5]
	s_mov_b32 s11, 0x3c91a626
	v_add_f64 v[2:3], v[2:3], -v[10:11]
	v_add_f64 v[10:11], v[10:11], -v[22:23]
	v_add_f64 v[2:3], v[2:3], v[4:5]
	v_fma_f64 v[4:5], v[8:9], s[10:11], v[4:5]
	v_add_f64 v[2:3], v[10:11], v[2:3]
	v_add_f64 v[2:3], v[2:3], -v[4:5]
	v_fma_f64 v[4:5], v[8:9], s[8:9], v[2:3]
	v_add_f64 v[2:3], v[22:23], v[4:5]
	v_add_f64 v[10:11], v[2:3], -v[22:23]
	v_cvt_i32_f64_e32 v22, v[8:9]
	v_add_f64 v[4:5], v[4:5], -v[10:11]
.LBB10_129:
	s_or_b32 exec_lo, exec_lo, s4
                                        ; implicit-def: $vgpr23
                                        ; implicit-def: $vgpr8_vgpr9
                                        ; implicit-def: $vgpr10_vgpr11
	s_and_saveexec_b32 s4, s6
	s_xor_b32 s4, exec_lo, s4
	s_cbranch_execz .LBB10_131
; %bb.130:
	v_cmp_le_f64_e64 vcc_lo, 0x7b000000, |v[0:1]|
	v_mov_b32_e32 v33, 0
	s_mov_b32 s6, 0x54442d18
	s_mov_b32 s7, 0x3ff921fb
	;; [unrolled: 1-line block ×4, first 2 shown]
	v_cndmask_b32_e32 v9, v24, v21, vcc_lo
	v_cndmask_b32_e32 v8, v0, v20, vcc_lo
	v_mul_f64 v[10:11], v[18:19], v[8:9]
	v_mul_f64 v[20:21], v[16:17], v[8:9]
	;; [unrolled: 1-line block ×3, first 2 shown]
	v_fma_f64 v[18:19], v[18:19], v[8:9], -v[10:11]
	v_fma_f64 v[16:17], v[16:17], v[8:9], -v[20:21]
	v_fma_f64 v[8:9], v[14:15], v[8:9], -v[31:32]
	v_add_f64 v[23:24], v[20:21], v[18:19]
	v_add_f64 v[25:26], v[23:24], -v[20:21]
	v_add_f64 v[29:30], v[10:11], v[23:24]
	v_add_f64 v[27:28], v[23:24], -v[25:26]
	v_add_f64 v[18:19], v[18:19], -v[25:26]
	v_ldexp_f64 v[25:26], v[29:30], -2
	v_add_f64 v[10:11], v[29:30], -v[10:11]
	v_add_f64 v[20:21], v[20:21], -v[27:28]
	v_add_f64 v[27:28], v[31:32], v[16:17]
	v_cmp_neq_f64_e64 vcc_lo, 0x7ff00000, |v[25:26]|
	v_add_f64 v[10:11], v[23:24], -v[10:11]
	v_add_f64 v[18:19], v[18:19], v[20:21]
	v_fract_f64_e32 v[20:21], v[25:26]
	v_add_f64 v[23:24], v[27:28], v[18:19]
	v_ldexp_f64 v[20:21], v[20:21], 2
	v_add_f64 v[25:26], v[10:11], v[23:24]
	v_cndmask_b32_e32 v21, 0, v21, vcc_lo
	v_cndmask_b32_e32 v20, 0, v20, vcc_lo
	v_add_f64 v[29:30], v[25:26], v[20:21]
	v_add_f64 v[10:11], v[25:26], -v[10:11]
	v_cmp_gt_f64_e32 vcc_lo, 0, v[29:30]
	v_add_f64 v[29:30], v[27:28], -v[31:32]
	v_add_f64 v[10:11], v[23:24], -v[10:11]
	v_cndmask_b32_e64 v34, 0, 0x40100000, vcc_lo
	v_add_f64 v[38:39], v[27:28], -v[29:30]
	v_add_f64 v[16:17], v[16:17], -v[29:30]
	v_add_f64 v[20:21], v[20:21], v[33:34]
	v_add_f64 v[34:35], v[23:24], -v[27:28]
	v_add_f64 v[29:30], v[31:32], -v[38:39]
	v_add_f64 v[36:37], v[25:26], v[20:21]
	;; [unrolled: 3-line block ×3, first 2 shown]
	v_cvt_i32_f64_e32 v36, v[36:37]
	v_add_f64 v[27:28], v[27:28], -v[48:49]
	v_cvt_f64_i32_e32 v[34:35], v36
	v_add_f64 v[18:19], v[18:19], v[27:28]
	v_add_f64 v[20:21], v[20:21], -v[34:35]
	v_add_f64 v[14:15], v[16:17], v[18:19]
	v_add_f64 v[16:17], v[25:26], v[20:21]
	;; [unrolled: 1-line block ×3, first 2 shown]
	v_add_f64 v[14:15], v[16:17], -v[20:21]
	v_cmp_le_f64_e32 vcc_lo, 0.5, v[16:17]
	v_add_f64 v[8:9], v[10:11], v[8:9]
	v_add_f64 v[10:11], v[25:26], -v[14:15]
	v_cndmask_b32_e64 v34, 0, 0x3ff00000, vcc_lo
	v_add_co_ci_u32_e64 v23, null, 0, v36, vcc_lo
	v_add_f64 v[8:9], v[8:9], v[10:11]
	v_add_f64 v[10:11], v[16:17], -v[33:34]
	v_add_f64 v[14:15], v[10:11], v[8:9]
	v_mul_f64 v[16:17], v[14:15], s[6:7]
	v_add_f64 v[10:11], v[14:15], -v[10:11]
	v_fma_f64 v[18:19], v[14:15], s[6:7], -v[16:17]
	v_add_f64 v[8:9], v[8:9], -v[10:11]
	v_fma_f64 v[10:11], v[14:15], s[8:9], v[18:19]
	v_fma_f64 v[10:11], v[8:9], s[6:7], v[10:11]
	v_add_f64 v[8:9], v[16:17], v[10:11]
	v_add_f64 v[14:15], v[8:9], -v[16:17]
	v_add_f64 v[10:11], v[10:11], -v[14:15]
	s_andn2_saveexec_b32 s4, s4
	s_cbranch_execnz .LBB10_132
	s_branch .LBB10_133
.LBB10_131:
	s_andn2_saveexec_b32 s4, s4
	s_cbranch_execz .LBB10_133
.LBB10_132:
	s_mov_b32 s6, 0x6dc9c883
	s_mov_b32 s7, 0x3fe45f30
	;; [unrolled: 1-line block ×3, first 2 shown]
	v_mul_f64 v[8:9], |v[0:1]|, s[6:7]
	s_mov_b32 s6, 0x54442d18
	s_mov_b32 s7, 0xbff921fb
	;; [unrolled: 1-line block ×3, first 2 shown]
	v_rndne_f64_e32 v[14:15], v[8:9]
	v_fma_f64 v[8:9], v[14:15], s[6:7], |v[0:1]|
	v_mul_f64 v[10:11], v[14:15], s[8:9]
	s_mov_b32 s6, 0x252049c0
	s_mov_b32 s7, 0xb97b839a
	v_cvt_i32_f64_e32 v23, v[14:15]
	v_fma_f64 v[18:19], v[14:15], s[8:9], v[8:9]
	v_add_f64 v[16:17], v[8:9], v[10:11]
	s_mov_b32 s9, 0x3c91a626
	v_add_f64 v[8:9], v[8:9], -v[16:17]
	v_add_f64 v[16:17], v[16:17], -v[18:19]
	v_add_f64 v[8:9], v[8:9], v[10:11]
	v_fma_f64 v[10:11], v[14:15], s[8:9], v[10:11]
	v_add_f64 v[8:9], v[16:17], v[8:9]
	v_add_f64 v[8:9], v[8:9], -v[10:11]
	v_fma_f64 v[10:11], v[14:15], s[6:7], v[8:9]
	v_add_f64 v[8:9], v[18:19], v[10:11]
	v_add_f64 v[16:17], v[8:9], -v[18:19]
	v_add_f64 v[10:11], v[10:11], -v[16:17]
.LBB10_133:
	s_or_b32 exec_lo, exec_lo, s4
	v_div_scale_f64 v[14:15], null, v[12:13], v[12:13], 1.0
	v_div_scale_f64 v[20:21], vcc_lo, 1.0, v[12:13], 1.0
	s_mov_b32 s4, 0xddcfbbde
	s_mov_b32 s5, 0x3f943525
	;; [unrolled: 1-line block ×4, first 2 shown]
	v_mul_f64 v[32:33], v[2:3], v[2:3]
	s_mov_b32 s8, 0xaf76e73b
	s_mov_b32 s10, 0xf68ea2d2
	;; [unrolled: 1-line block ×12, first 2 shown]
	v_mul_f64 v[38:39], v[8:9], v[8:9]
	v_rcp_f64_e32 v[16:17], v[14:15]
	s_mov_b32 s24, 0x19f4ec90
	s_mov_b32 s25, 0x3efa01a0
	;; [unrolled: 1-line block ×4, first 2 shown]
	v_mul_f64 v[54:55], v[4:5], 0.5
	v_mul_f64 v[34:35], v[32:33], 0.5
	v_mul_f64 v[64:65], v[2:3], -v[32:33]
	v_mul_f64 v[68:69], v[38:39], 0.5
	v_fma_f64 v[18:19], -v[14:15], v[16:17], 1.0
	v_fma_f64 v[16:17], v[16:17], v[18:19], v[16:17]
	v_fma_f64 v[18:19], -v[14:15], v[16:17], 1.0
	v_fma_f64 v[16:17], v[16:17], v[18:19], v[16:17]
	v_mul_f64 v[18:19], v[20:21], v[16:17]
	v_fma_f64 v[14:15], -v[14:15], v[18:19], v[20:21]
	v_div_fmas_f64 v[14:15], v[14:15], v[16:17], v[18:19]
	v_cmp_gt_f64_e32 vcc_lo, 0x10000000, v[6:7]
	v_div_fixup_f64 v[12:13], v[14:15], v[12:13], 1.0
	v_cndmask_b32_e64 v18, 0, 0x100, vcc_lo
	v_ldexp_f64 v[6:7], v[6:7], v18
	v_mul_f64 v[14:15], v[12:13], v[12:13]
	v_rsq_f64_e32 v[20:21], v[6:7]
	v_fma_f64 v[16:17], v[14:15], 0, s[4:5]
	s_mov_b32 s4, 0x6437b7
	s_mov_b32 s5, 0x3fd907d5
	v_fma_f64 v[24:25], v[14:15], 0, s[6:7]
	s_mov_b32 s6, 0x2572edf2
	s_mov_b32 s7, 0x402ab64b
	;; [unrolled: 3-line block ×3, first 2 shown]
	v_mul_f64 v[28:29], v[6:7], v[20:21]
	v_mul_f64 v[20:21], v[20:21], 0.5
	v_fma_f64 v[16:17], v[14:15], v[16:17], s[4:5]
	s_mov_b32 s4, 0xd50ae6fb
	s_mov_b32 s5, 0xbfc0db6c
	v_fma_f64 v[24:25], v[14:15], v[24:25], s[6:7]
	v_fma_f64 v[18:19], v[14:15], 0, s[4:5]
	s_mov_b32 s4, 0x3a2034eb
	s_mov_b32 s5, 0x3ff10d83
	;; [unrolled: 1-line block ×4, first 2 shown]
	v_fma_f64 v[26:27], v[14:15], v[26:27], s[6:7]
	s_mov_b32 s6, 0x7ea7dc35
	s_mov_b32 s7, 0x402f211b
	v_fma_f64 v[30:31], -v[20:21], v[28:29], 0.5
	v_fma_f64 v[16:17], v[14:15], v[16:17], s[4:5]
	s_mov_b32 s4, 0x98566852
	s_mov_b32 s5, 0xbfe40bee
	v_fma_f64 v[24:25], v[14:15], v[24:25], s[6:7]
	v_fma_f64 v[18:19], v[14:15], v[18:19], s[4:5]
	s_mov_b32 s4, 0xa0ef1acb
	s_mov_b32 s5, 0x3fee0dac
	;; [unrolled: 1-line block ×4, first 2 shown]
	v_fma_f64 v[26:27], v[14:15], v[26:27], s[6:7]
	s_mov_b32 s6, 0x2b79dbce
	s_mov_b32 s7, 0x4015e84e
	v_fma_f64 v[28:29], v[28:29], v[30:31], v[28:29]
	v_fma_f64 v[20:21], v[20:21], v[30:31], v[20:21]
	v_fma_f64 v[16:17], v[14:15], v[16:17], s[4:5]
	s_mov_b32 s4, 0xc2f79f7d
	s_mov_b32 s5, 0xbfe62e59
	v_fma_f64 v[24:25], v[14:15], v[24:25], s[6:7]
	v_fma_f64 v[18:19], v[14:15], v[18:19], s[4:5]
	s_mov_b32 s4, 0xcea8fe1d
	s_mov_b32 s5, 0x3fd67e69
	;; [unrolled: 1-line block ×4, first 2 shown]
	v_fma_f64 v[26:27], v[14:15], v[26:27], s[6:7]
	s_mov_b32 s6, 0xc195ece3
	s_mov_b32 s7, 0x3fee8992
	v_fma_f64 v[30:31], -v[28:29], v[28:29], v[6:7]
	v_fma_f64 v[16:17], v[14:15], v[16:17], s[4:5]
	s_mov_b32 s4, 0x4bb3f40b
	s_mov_b32 s5, 0xbfd1e7ea
	v_fma_f64 v[24:25], v[14:15], v[24:25], s[6:7]
	v_fma_f64 v[18:19], v[14:15], v[18:19], s[4:5]
	s_mov_b32 s4, 0x21e90978
	s_mov_b32 s5, 0x3fb03a41
	;; [unrolled: 1-line block ×4, first 2 shown]
	v_fma_f64 v[26:27], v[14:15], v[26:27], s[6:7]
	s_mov_b32 s6, 0xed64a9ee
	s_mov_b32 s7, 0x3fb6221d
	v_fma_f64 v[28:29], v[30:31], v[20:21], v[28:29]
	v_fma_f64 v[16:17], v[14:15], v[16:17], s[4:5]
	s_mov_b32 s4, 0xf47dbd8a
	s_mov_b32 s5, 0xbfa92f6e
	v_fma_f64 v[24:25], v[14:15], v[24:25], s[6:7]
	v_fma_f64 v[18:19], v[14:15], v[18:19], s[4:5]
	s_mov_b32 s4, 0xf12f5043
	s_mov_b32 s5, 0x3f77fe99
	;; [unrolled: 1-line block ×4, first 2 shown]
	v_fma_f64 v[26:27], v[14:15], v[26:27], s[6:7]
	s_mov_b32 s6, 0x6be393bb
	s_mov_b32 s7, 0x3f70e704
	v_fma_f64 v[30:31], -v[28:29], v[28:29], v[6:7]
	v_fma_f64 v[16:17], v[14:15], v[16:17], s[4:5]
	s_mov_b32 s4, 0xc8d9e090
	s_mov_b32 s5, 0xbf70a401
	v_fma_f64 v[24:25], v[14:15], v[24:25], s[6:7]
	v_fma_f64 v[18:19], v[14:15], v[18:19], s[4:5]
	s_mov_b32 s4, 0x600e17a2
	s_mov_b32 s5, 0x3f328976
	;; [unrolled: 1-line block ×4, first 2 shown]
	v_fma_f64 v[26:27], v[14:15], v[26:27], s[6:7]
	s_mov_b32 s6, 0xd603a5a0
	s_mov_b32 s7, 0x3f1a8b61
	v_fma_f64 v[20:21], v[30:31], v[20:21], v[28:29]
	v_cndmask_b32_e64 v30, 0, 0xffffff80, vcc_lo
	v_cmp_class_f64_e64 vcc_lo, v[6:7], 0x260
	v_fma_f64 v[16:17], v[14:15], v[16:17], s[4:5]
	s_mov_b32 s4, 0xaf4b009c
	s_mov_b32 s5, 0xbf24e06e
	v_fma_f64 v[24:25], v[14:15], v[24:25], s[6:7]
	v_fma_f64 v[18:19], v[14:15], v[18:19], s[4:5]
	s_mov_b32 s4, 0x69f8574e
	s_mov_b32 s5, 0x3edd4f3d
	;; [unrolled: 1-line block ×4, first 2 shown]
	v_fma_f64 v[26:27], v[14:15], v[26:27], s[8:9]
	s_mov_b32 s8, 0x7d97ee7a
	s_mov_b32 s9, 0x3df778a4
	v_ldexp_f64 v[20:21], v[20:21], v30
	v_fma_f64 v[16:17], v[14:15], v[16:17], s[4:5]
	s_mov_b32 s4, 0x1d42366d
	s_mov_b32 s5, 0xbec74a78
	v_fma_f64 v[18:19], v[14:15], v[18:19], s[4:5]
	s_mov_b32 s4, 0xbbad11c8
	s_mov_b32 s5, 0x3e75ca92
	v_cndmask_b32_e32 v7, v21, v7, vcc_lo
	v_cndmask_b32_e32 v6, v20, v6, vcc_lo
	v_fma_f64 v[16:17], v[14:15], v[16:17], s[4:5]
	s_mov_b32 s4, 0xb42fdfa7
	s_mov_b32 s5, 0xbe5ae600
	v_fma_f64 v[18:19], v[14:15], v[18:19], s[10:11]
	s_mov_b32 s10, 0xdb0724e8
	s_mov_b32 s11, 0x3eb3a845
	v_fma_f64 v[28:29], v[32:33], s[6:7], s[4:5]
	v_fma_f64 v[24:25], v[14:15], v[24:25], s[10:11]
	s_mov_b32 s10, 0x9037ab78
	s_mov_b32 s11, 0x3e21eeb6
	v_fma_f64 v[70:71], v[38:39], s[6:7], s[4:5]
	;; [unrolled: 4-line block ×3, first 2 shown]
	s_mov_b32 s8, 0xb99518a7
	s_mov_b32 s9, 0x3e9e52b9
	v_fma_f64 v[26:27], v[14:15], v[26:27], s[8:9]
	v_mul_f64 v[18:19], v[14:15], v[18:19]
	s_mov_b32 s8, 0x3dd589d4
	s_mov_b32 s9, 0x3e351fc7
	v_fma_f64 v[14:15], v[14:15], v[24:25], s[8:9]
	s_mov_b32 s8, 0x50429b6d
	s_mov_b32 s9, 0x3fe20dd7
	v_fma_f64 v[70:71], v[38:39], v[70:71], s[14:15]
	v_div_scale_f64 v[20:21], null, v[6:7], v[6:7], s[8:9]
	v_mul_f64 v[12:13], v[12:13], v[16:17]
	v_fma_f64 v[16:17], v[32:33], v[28:29], s[14:15]
	v_fma_f64 v[28:29], v[32:33], v[30:31], s[20:21]
	v_add_f64 v[30:31], -v[34:35], 1.0
	v_div_scale_f64 v[24:25], null, v[26:27], v[26:27], v[18:19]
	v_fma_f64 v[70:71], v[38:39], v[70:71], s[22:23]
	v_rcp_f64_e32 v[48:49], v[20:21]
	v_div_scale_f64 v[36:37], null, v[14:15], v[14:15], v[12:13]
	v_fma_f64 v[16:17], v[32:33], v[16:17], s[22:23]
	v_fma_f64 v[28:29], v[32:33], v[28:29], s[24:25]
	v_add_f64 v[52:53], -v[30:31], 1.0
	v_rcp_f64_e32 v[50:51], v[24:25]
	v_fma_f64 v[80:81], -v[20:21], v[48:49], 1.0
	v_rcp_f64_e32 v[66:67], v[36:37]
	v_fma_f64 v[16:17], v[32:33], v[16:17], s[26:27]
	v_fma_f64 v[28:29], v[32:33], v[28:29], s[6:7]
	v_add_f64 v[34:35], v[52:53], -v[34:35]
	v_fma_f64 v[82:83], -v[24:25], v[50:51], 1.0
	v_fma_f64 v[48:49], v[48:49], v[80:81], v[48:49]
	v_fma_f64 v[80:81], v[38:39], s[12:13], s[10:11]
	s_mov_b32 s10, 0x55555555
	s_mov_b32 s11, 0x3fa55555
	v_fma_f64 v[16:17], v[64:65], v[16:17], v[54:55]
	v_fma_f64 v[52:53], -v[36:37], v[66:67], 1.0
	v_add_f64 v[54:55], -v[68:69], 1.0
	v_fma_f64 v[28:29], v[32:33], v[28:29], s[10:11]
	v_fma_f64 v[34:35], v[2:3], -v[4:5], v[34:35]
	v_fma_f64 v[50:51], v[50:51], v[82:83], v[50:51]
	v_mul_f64 v[82:83], v[32:33], v[32:33]
	v_fma_f64 v[80:81], v[38:39], v[80:81], s[20:21]
	v_fma_f64 v[4:5], v[32:33], v[16:17], -v[4:5]
	v_fma_f64 v[52:53], v[66:67], v[52:53], v[66:67]
	v_add_f64 v[66:67], -v[54:55], 1.0
	v_fma_f64 v[16:17], -v[20:21], v[48:49], 1.0
	v_mul_f64 v[32:33], v[8:9], -v[38:39]
	v_fma_f64 v[28:29], v[82:83], v[28:29], v[34:35]
	v_fma_f64 v[34:35], -v[24:25], v[50:51], 1.0
	v_mul_f64 v[82:83], v[10:11], 0.5
	v_fma_f64 v[80:81], v[38:39], v[80:81], s[24:25]
	v_add_f64 v[66:67], v[66:67], -v[68:69]
	v_fma_f64 v[68:69], v[38:39], v[70:71], s[26:27]
	v_fma_f64 v[70:71], -v[36:37], v[52:53], 1.0
	v_fma_f64 v[16:17], v[48:49], v[16:17], v[48:49]
	v_div_scale_f64 v[48:49], s4, s[8:9], v[6:7], s[8:9]
	v_fma_f64 v[34:35], v[50:51], v[34:35], v[50:51]
	v_div_scale_f64 v[50:51], vcc_lo, v[18:19], v[26:27], v[18:19]
	v_add_f64 v[28:29], v[30:31], v[28:29]
	v_fma_f64 v[80:81], v[38:39], v[80:81], s[6:7]
	s_mov_b32 s7, 0xbfc55555
	s_mov_b32 s6, s10
	v_fma_f64 v[4:5], v[64:65], s[6:7], v[4:5]
	v_fma_f64 v[68:69], v[32:33], v[68:69], v[82:83]
	;; [unrolled: 1-line block ×3, first 2 shown]
	v_div_scale_f64 v[70:71], s5, v[12:13], v[14:15], v[12:13]
	v_mul_f64 v[64:65], v[48:49], v[16:17]
	v_mul_f64 v[82:83], v[50:51], v[34:35]
	v_fma_f64 v[80:81], v[38:39], v[80:81], s[10:11]
	v_add_f64 v[2:3], v[2:3], -v[4:5]
	v_fma_f64 v[68:69], v[38:39], v[68:69], -v[10:11]
	v_fma_f64 v[10:11], v[8:9], -v[10:11], v[66:67]
	v_mul_f64 v[66:67], v[70:71], v[52:53]
	v_mul_f64 v[38:39], v[38:39], v[38:39]
	v_fma_f64 v[20:21], -v[20:21], v[64:65], v[48:49]
	v_fma_f64 v[24:25], -v[24:25], v[82:83], v[50:51]
	v_fma_f64 v[32:33], v[32:33], s[6:7], v[68:69]
	v_fma_f64 v[36:37], -v[36:37], v[66:67], v[70:71]
	v_fma_f64 v[10:11], v[38:39], v[80:81], v[10:11]
	v_div_fmas_f64 v[4:5], v[24:25], v[34:35], v[82:83]
	s_mov_b32 vcc_lo, s4
	v_cmp_class_f64_e64 s4, v[0:1], 0x1f8
	v_div_fmas_f64 v[16:17], v[20:21], v[16:17], v[64:65]
	s_mov_b32 vcc_lo, s5
	v_and_b32_e32 v0, 1, v23
	v_and_b32_e32 v24, 1, v22
	v_cmp_eq_u32_e64 s5, 0, v0
	v_lshlrev_b32_e32 v0, 30, v23
	v_and_b32_e32 v0, 0x80000000, v0
	v_add_f64 v[8:9], v[8:9], -v[32:33]
	v_div_fmas_f64 v[20:21], v[36:37], v[52:53], v[66:67]
	v_add_f64 v[10:11], v[54:55], v[10:11]
	v_cmp_eq_u32_e32 vcc_lo, 0, v24
	v_div_fixup_f64 v[4:5], v[4:5], v[26:27], v[18:19]
	v_cndmask_b32_e32 v2, v28, v2, vcc_lo
	v_xor_b32_e32 v9, 0x80000000, v9
	v_div_fixup_f64 v[12:13], v[20:21], v[14:15], v[12:13]
	v_cndmask_b32_e64 v8, v8, v10, s5
	v_cndmask_b32_e64 v9, v9, v11, s5
	v_add_f64 v[4:5], v[4:5], 1.0
	v_cndmask_b32_e64 v8, 0, v8, s4
	v_xor_b32_e32 v9, v9, v0
	v_cndmask_b32_e64 v0, 0, v2, s4
	v_lshlrev_b32_e32 v2, 30, v22
	v_cndmask_b32_e64 v9, 0x7ff80000, v9, s4
	v_xor_b32_e32 v1, v2, v1
	v_cndmask_b32_e32 v2, v29, v3, vcc_lo
	v_and_b32_e32 v1, 0x80000000, v1
	v_mul_f64 v[8:9], v[12:13], v[8:9]
	v_xor_b32_e32 v1, v2, v1
	v_div_fixup_f64 v[2:3], v[16:17], v[6:7], s[8:9]
	v_cndmask_b32_e64 v1, 0x7ff80000, v1, s4
	v_fma_f64 v[0:1], v[4:5], v[0:1], -v[8:9]
	v_mul_f64 v[0:1], v[2:3], v[0:1]
.LBB10_134:
	s_or_b32 exec_lo, exec_lo, s19
.LBB10_135:
	s_or_b32 exec_lo, exec_lo, s18
.LBB10_136:
	s_or_b32 exec_lo, exec_lo, s17
	s_or_b32 exec_lo, exec_lo, s16
	s_setpc_b64 s[30:31]
.Lfunc_end10:
	.size	_ZN2at6native6invokeIZZZNS0_12_GLOBAL__N_119airy_ai_kernel_cudaERNS_18TensorIteratorBaseEENKUlvE_clEvENKUlvE_clEvEUldE_j15function_traitsIS7_EEENT1_11result_typeERKT_PrKPcPKT0_PKN3c1010ScalarTypeEi, .Lfunc_end10-_ZN2at6native6invokeIZZZNS0_12_GLOBAL__N_119airy_ai_kernel_cudaERNS_18TensorIteratorBaseEENKUlvE_clEvENKUlvE_clEvEUldE_j15function_traitsIS7_EEENT1_11result_typeERKT_PrKPcPKT0_PKN3c1010ScalarTypeEi
                                        ; -- End function
	.set .L_ZN2at6native6invokeIZZZNS0_12_GLOBAL__N_119airy_ai_kernel_cudaERNS_18TensorIteratorBaseEENKUlvE_clEvENKUlvE_clEvEUldE_j15function_traitsIS7_EEENT1_11result_typeERKT_PrKPcPKT0_PKN3c1010ScalarTypeEi.num_vgpr, 84
	.set .L_ZN2at6native6invokeIZZZNS0_12_GLOBAL__N_119airy_ai_kernel_cudaERNS_18TensorIteratorBaseEENKUlvE_clEvENKUlvE_clEvEUldE_j15function_traitsIS7_EEENT1_11result_typeERKT_PrKPcPKT0_PKN3c1010ScalarTypeEi.num_agpr, 0
	.set .L_ZN2at6native6invokeIZZZNS0_12_GLOBAL__N_119airy_ai_kernel_cudaERNS_18TensorIteratorBaseEENKUlvE_clEvENKUlvE_clEvEUldE_j15function_traitsIS7_EEENT1_11result_typeERKT_PrKPcPKT0_PKN3c1010ScalarTypeEi.numbered_sgpr, 32
	.set .L_ZN2at6native6invokeIZZZNS0_12_GLOBAL__N_119airy_ai_kernel_cudaERNS_18TensorIteratorBaseEENKUlvE_clEvENKUlvE_clEvEUldE_j15function_traitsIS7_EEENT1_11result_typeERKT_PrKPcPKT0_PKN3c1010ScalarTypeEi.num_named_barrier, 0
	.set .L_ZN2at6native6invokeIZZZNS0_12_GLOBAL__N_119airy_ai_kernel_cudaERNS_18TensorIteratorBaseEENKUlvE_clEvENKUlvE_clEvEUldE_j15function_traitsIS7_EEENT1_11result_typeERKT_PrKPcPKT0_PKN3c1010ScalarTypeEi.private_seg_size, 0
	.set .L_ZN2at6native6invokeIZZZNS0_12_GLOBAL__N_119airy_ai_kernel_cudaERNS_18TensorIteratorBaseEENKUlvE_clEvENKUlvE_clEvEUldE_j15function_traitsIS7_EEENT1_11result_typeERKT_PrKPcPKT0_PKN3c1010ScalarTypeEi.uses_vcc, 1
	.set .L_ZN2at6native6invokeIZZZNS0_12_GLOBAL__N_119airy_ai_kernel_cudaERNS_18TensorIteratorBaseEENKUlvE_clEvENKUlvE_clEvEUldE_j15function_traitsIS7_EEENT1_11result_typeERKT_PrKPcPKT0_PKN3c1010ScalarTypeEi.uses_flat_scratch, 0
	.set .L_ZN2at6native6invokeIZZZNS0_12_GLOBAL__N_119airy_ai_kernel_cudaERNS_18TensorIteratorBaseEENKUlvE_clEvENKUlvE_clEvEUldE_j15function_traitsIS7_EEENT1_11result_typeERKT_PrKPcPKT0_PKN3c1010ScalarTypeEi.has_dyn_sized_stack, 0
	.set .L_ZN2at6native6invokeIZZZNS0_12_GLOBAL__N_119airy_ai_kernel_cudaERNS_18TensorIteratorBaseEENKUlvE_clEvENKUlvE_clEvEUldE_j15function_traitsIS7_EEENT1_11result_typeERKT_PrKPcPKT0_PKN3c1010ScalarTypeEi.has_recursion, 0
	.set .L_ZN2at6native6invokeIZZZNS0_12_GLOBAL__N_119airy_ai_kernel_cudaERNS_18TensorIteratorBaseEENKUlvE_clEvENKUlvE_clEvEUldE_j15function_traitsIS7_EEENT1_11result_typeERKT_PrKPcPKT0_PKN3c1010ScalarTypeEi.has_indirect_call, 0
	.section	.AMDGPU.csdata,"",@progbits
; Function info:
; codeLenInByte = 8772
; TotalNumSgprs: 34
; NumVgprs: 84
; ScratchSize: 0
; MemoryBound: 1
	.section	.text._ZN2at6native32elementwise_kernel_manual_unrollILi128ELi4EZNS0_15gpu_kernel_implIZZZNS0_12_GLOBAL__N_119airy_ai_kernel_cudaERNS_18TensorIteratorBaseEENKUlvE_clEvENKUlvE_clEvEUldE_EEvS5_RKT_EUlibE0_EEviT1_,"axG",@progbits,_ZN2at6native32elementwise_kernel_manual_unrollILi128ELi4EZNS0_15gpu_kernel_implIZZZNS0_12_GLOBAL__N_119airy_ai_kernel_cudaERNS_18TensorIteratorBaseEENKUlvE_clEvENKUlvE_clEvEUldE_EEvS5_RKT_EUlibE0_EEviT1_,comdat
	.globl	_ZN2at6native32elementwise_kernel_manual_unrollILi128ELi4EZNS0_15gpu_kernel_implIZZZNS0_12_GLOBAL__N_119airy_ai_kernel_cudaERNS_18TensorIteratorBaseEENKUlvE_clEvENKUlvE_clEvEUldE_EEvS5_RKT_EUlibE0_EEviT1_ ; -- Begin function _ZN2at6native32elementwise_kernel_manual_unrollILi128ELi4EZNS0_15gpu_kernel_implIZZZNS0_12_GLOBAL__N_119airy_ai_kernel_cudaERNS_18TensorIteratorBaseEENKUlvE_clEvENKUlvE_clEvEUldE_EEvS5_RKT_EUlibE0_EEviT1_
	.p2align	8
	.type	_ZN2at6native32elementwise_kernel_manual_unrollILi128ELi4EZNS0_15gpu_kernel_implIZZZNS0_12_GLOBAL__N_119airy_ai_kernel_cudaERNS_18TensorIteratorBaseEENKUlvE_clEvENKUlvE_clEvEUldE_EEvS5_RKT_EUlibE0_EEviT1_,@function
_ZN2at6native32elementwise_kernel_manual_unrollILi128ELi4EZNS0_15gpu_kernel_implIZZZNS0_12_GLOBAL__N_119airy_ai_kernel_cudaERNS_18TensorIteratorBaseEENKUlvE_clEvENKUlvE_clEvEUldE_EEvS5_RKT_EUlibE0_EEviT1_: ; @_ZN2at6native32elementwise_kernel_manual_unrollILi128ELi4EZNS0_15gpu_kernel_implIZZZNS0_12_GLOBAL__N_119airy_ai_kernel_cudaERNS_18TensorIteratorBaseEENKUlvE_clEvENKUlvE_clEvEUldE_EEvS5_RKT_EUlibE0_EEviT1_
; %bb.0:
	s_clause 0x1
	s_load_dword s33, s[4:5], 0x8
	s_load_dword s58, s[4:5], 0x0
	v_lshl_or_b32 v43, s6, 9, v0
	s_add_u32 s0, s0, s7
	s_mov_b64 s[28:29], s[4:5]
	s_addc_u32 s1, s1, 0
	s_add_u32 s34, s28, 8
	s_addc_u32 s35, s29, 0
	v_or_b32_e32 v6, 0x180, v43
	s_mov_b32 s4, -1
	s_mov_b32 s53, 0
	s_mov_b32 s40, 0
	;; [unrolled: 1-line block ×3, first 2 shown]
	s_mov_b32 s5, exec_lo
	s_waitcnt lgkmcnt(0)
	s_add_i32 s52, s33, -1
	s_cmp_gt_u32 s52, 1
	s_cselect_b32 s54, -1, 0
	v_cmpx_le_i32_e64 s58, v6
	s_xor_b32 s55, exec_lo, s5
	s_cbranch_execz .LBB11_570
; %bb.1:
	v_mov_b32_e32 v0, 0
	s_clause 0x3
	s_load_dwordx4 s[44:47], s[34:35], 0x4
	s_load_dwordx2 s[48:49], s[34:35], 0x14
	s_load_dwordx4 s[40:43], s[34:35], 0xc4
	s_load_dwordx4 s[36:39], s[34:35], 0x148
	v_mov_b32_e32 v1, 8
	s_cmp_lg_u32 s33, 0
	s_mov_b32 s63, 0
	global_load_ushort v0, v0, s[34:35] offset:345
	s_cselect_b32 s60, -1, 0
	s_add_u32 s50, s34, 0xc4
	s_addc_u32 s51, s35, 0
	s_min_u32 s59, s52, 15
	s_cmp_gt_u32 s33, 1
	s_mov_b32 s61, 0
	s_cselect_b32 s57, -1, 0
	s_mov_b32 s62, exec_lo
	s_waitcnt vmcnt(0)
	v_readfirstlane_b32 s56, v0
	v_lshrrev_b32_sdwa v40, v1, v0 dst_sel:DWORD dst_unused:UNUSED_PAD src0_sel:DWORD src1_sel:WORD_0
	v_cmpx_gt_i32_e64 s58, v43
                                        ; implicit-def: $vgpr2_vgpr3
	s_cbranch_execz .LBB11_138
; %bb.2:
	s_andn2_b32 vcc_lo, exec_lo, s54
	s_cbranch_vccnz .LBB11_7
; %bb.3:
	s_andn2_b32 vcc_lo, exec_lo, s60
	s_cbranch_vccnz .LBB11_8
; %bb.4:
	s_add_i32 s9, s59, 1
	s_cmp_eq_u32 s52, 2
	s_cbranch_scc1 .LBB11_9
; %bb.5:
	v_mov_b32_e32 v2, 0
	v_mov_b32_e32 v41, 0
	;; [unrolled: 1-line block ×3, first 2 shown]
	s_and_b32 s8, s9, 28
	s_mov_b32 s10, 0
	s_mov_b64 s[4:5], s[34:35]
	s_mov_b64 s[6:7], s[50:51]
.LBB11_6:                               ; =>This Inner Loop Header: Depth=1
	s_clause 0x1
	s_load_dwordx8 s[12:19], s[4:5], 0x4
	s_load_dwordx4 s[64:67], s[4:5], 0x24
	s_load_dwordx8 s[20:27], s[6:7], 0x0
	s_add_u32 s4, s4, 48
	s_addc_u32 s5, s5, 0
	s_add_i32 s10, s10, 4
	s_add_u32 s6, s6, 32
	s_addc_u32 s7, s7, 0
	s_cmp_lg_u32 s8, s10
	s_waitcnt lgkmcnt(0)
	v_mul_hi_u32 v1, s13, v0
	v_add_nc_u32_e32 v1, v0, v1
	v_lshrrev_b32_e32 v1, s14, v1
	v_mul_hi_u32 v3, s16, v1
	v_mul_lo_u32 v5, v1, s12
	v_add_nc_u32_e32 v3, v1, v3
	v_sub_nc_u32_e32 v0, v0, v5
	v_lshrrev_b32_e32 v3, s17, v3
	v_mul_lo_u32 v5, v0, s20
	v_mul_lo_u32 v7, v0, s21
	v_mul_hi_u32 v4, s19, v3
	v_add_nc_u32_e32 v4, v3, v4
	v_lshrrev_b32_e32 v4, s64, v4
	v_mul_hi_u32 v6, s66, v4
	v_mul_lo_u32 v8, v4, s18
	v_add_nc_u32_e32 v0, v4, v6
	v_mul_lo_u32 v6, v3, s15
	v_sub_nc_u32_e32 v3, v3, v8
	v_lshrrev_b32_e32 v0, s67, v0
	v_mul_lo_u32 v8, v3, s24
	v_mul_lo_u32 v3, v3, s25
	v_sub_nc_u32_e32 v1, v1, v6
	v_mul_lo_u32 v9, v0, s65
	v_mul_lo_u32 v6, v1, s22
	;; [unrolled: 1-line block ×3, first 2 shown]
	v_sub_nc_u32_e32 v4, v4, v9
	v_add3_u32 v5, v5, v41, v6
	v_mul_lo_u32 v9, v4, s26
	v_mul_lo_u32 v4, v4, s27
	v_add3_u32 v1, v7, v2, v1
	v_add3_u32 v41, v8, v5, v9
	;; [unrolled: 1-line block ×3, first 2 shown]
	s_cbranch_scc1 .LBB11_6
	s_branch .LBB11_10
.LBB11_7:
                                        ; implicit-def: $vgpr41
                                        ; implicit-def: $vgpr2
	s_andn2_b32 vcc_lo, exec_lo, s4
	s_cbranch_vccz .LBB11_14
	s_branch .LBB11_16
.LBB11_8:
	v_mov_b32_e32 v41, 0
	v_mov_b32_e32 v2, 0
	s_branch .LBB11_13
.LBB11_9:
	v_mov_b32_e32 v41, 0
	v_mov_b32_e32 v2, 0
	;; [unrolled: 1-line block ×3, first 2 shown]
	s_mov_b32 s8, 0
.LBB11_10:
	s_and_b32 s9, s9, 3
	s_cmp_eq_u32 s9, 0
	s_cbranch_scc1 .LBB11_13
; %bb.11:
	s_lshl_b32 s4, s8, 3
	s_mul_i32 s6, s8, 12
	s_add_u32 s4, s34, s4
	s_addc_u32 s5, s35, 0
	s_add_u32 s4, s4, 0xc4
	s_addc_u32 s5, s5, 0
	;; [unrolled: 2-line block ×3, first 2 shown]
	.p2align	6
.LBB11_12:                              ; =>This Inner Loop Header: Depth=1
	s_clause 0x1
	s_load_dwordx2 s[10:11], s[6:7], 0x4
	s_load_dword s8, s[6:7], 0xc
	s_load_dwordx2 s[12:13], s[4:5], 0x0
	s_add_u32 s6, s6, 12
	s_addc_u32 s7, s7, 0
	s_add_u32 s4, s4, 8
	s_addc_u32 s5, s5, 0
	s_add_i32 s9, s9, -1
	s_cmp_lg_u32 s9, 0
	s_waitcnt lgkmcnt(0)
	v_mul_hi_u32 v1, s11, v0
	v_add_nc_u32_e32 v1, v0, v1
	v_lshrrev_b32_e32 v1, s8, v1
	v_mul_lo_u32 v3, v1, s10
	v_sub_nc_u32_e32 v0, v0, v3
	v_mad_u64_u32 v[41:42], null, v0, s12, v[41:42]
	v_mad_u64_u32 v[2:3], null, v0, s13, v[2:3]
	v_mov_b32_e32 v0, v1
	s_cbranch_scc1 .LBB11_12
.LBB11_13:
	s_cbranch_execnz .LBB11_16
.LBB11_14:
	s_waitcnt lgkmcnt(0)
	v_mul_hi_u32 v0, s45, v43
	s_andn2_b32 vcc_lo, exec_lo, s57
	v_add_nc_u32_e32 v0, v43, v0
	v_lshrrev_b32_e32 v0, s46, v0
	v_mul_lo_u32 v1, v0, s44
	v_sub_nc_u32_e32 v1, v43, v1
	v_mul_lo_u32 v41, v1, s40
	v_mul_lo_u32 v2, v1, s41
	s_cbranch_vccnz .LBB11_16
; %bb.15:
	v_mul_hi_u32 v1, s48, v0
	v_add_nc_u32_e32 v1, v0, v1
	v_lshrrev_b32_e32 v1, s49, v1
	v_mul_lo_u32 v1, v1, s47
	v_sub_nc_u32_e32 v0, v0, v1
	v_mad_u64_u32 v[41:42], null, v0, s42, v[41:42]
	v_mad_u64_u32 v[2:3], null, v0, s43, v[2:3]
.LBB11_16:
	s_waitcnt lgkmcnt(0)
	v_mov_b32_e32 v0, s38
	v_mov_b32_e32 v1, s39
	;; [unrolled: 1-line block ×3, first 2 shown]
	s_getpc_b64 s[4:5]
	s_add_u32 s4, s4, _ZN2at6native6invokeIZZZNS0_12_GLOBAL__N_119airy_ai_kernel_cudaERNS_18TensorIteratorBaseEENKUlvE_clEvENKUlvE_clEvEUldE_j15function_traitsIS7_EEENT1_11result_typeERKT_PrKPcPKT0_PKN3c1010ScalarTypeEi@rel32@lo+4
	s_addc_u32 s5, s5, _ZN2at6native6invokeIZZZNS0_12_GLOBAL__N_119airy_ai_kernel_cudaERNS_18TensorIteratorBaseEENKUlvE_clEvENKUlvE_clEvEUldE_j15function_traitsIS7_EEENT1_11result_typeERKT_PrKPcPKT0_PKN3c1010ScalarTypeEi@rel32@hi+12
	s_swappc_b64 s[30:31], s[4:5]
	v_add_co_u32 v4, s4, s36, v41
	v_add_co_ci_u32_e64 v5, null, s37, 0, s4
	s_and_b32 s5, s56, 0xff
	s_cmp_lt_i32 s5, 11
	s_cbranch_scc1 .LBB11_23
; %bb.17:
	s_and_b32 s6, 0xffff, s5
	s_cmp_gt_i32 s6, 25
	s_cbranch_scc0 .LBB11_26
; %bb.18:
	s_cmp_gt_i32 s6, 28
	s_cbranch_scc0 .LBB11_27
; %bb.19:
	;; [unrolled: 3-line block ×4, first 2 shown]
	s_mov_b32 s8, 0
	s_mov_b32 s4, -1
	s_cmp_eq_u32 s6, 46
	s_mov_b32 s7, 0
	s_cbranch_scc0 .LBB11_30
; %bb.22:
	v_cvt_f32_f64_e32 v2, v[0:1]
	s_mov_b32 s7, -1
	s_mov_b32 s4, 0
	v_bfe_u32 v3, v2, 16, 1
	v_cmp_o_f32_e32 vcc_lo, v2, v2
	v_add3_u32 v2, v2, v3, 0x7fff
	v_mov_b32_e32 v3, 0x7fc0
	v_cndmask_b32_sdwa v2, v3, v2, vcc_lo dst_sel:DWORD dst_unused:UNUSED_PAD src0_sel:DWORD src1_sel:WORD_1
	global_store_dword v[4:5], v2, off
	s_branch .LBB11_30
.LBB11_23:
	s_mov_b32 s4, 0
	s_mov_b32 s7, 0
	s_cbranch_execnz .LBB11_98
.LBB11_24:
	s_andn2_b32 vcc_lo, exec_lo, s7
	s_cbranch_vccnz .LBB11_136
.LBB11_25:
	v_add_nc_u32_e32 v43, 0x80, v43
	s_mov_b32 s5, -1
	s_branch .LBB11_137
.LBB11_26:
	s_mov_b32 s4, 0
	s_mov_b32 s7, 0
	s_cbranch_execnz .LBB11_57
	s_branch .LBB11_97
.LBB11_27:
	s_mov_b32 s8, -1
	s_mov_b32 s4, 0
	s_mov_b32 s7, 0
	s_branch .LBB11_40
.LBB11_28:
	s_mov_b32 s8, -1
	s_mov_b32 s4, 0
	s_mov_b32 s7, 0
	s_branch .LBB11_36
.LBB11_29:
	s_mov_b32 s8, -1
	s_mov_b32 s4, 0
	s_mov_b32 s7, 0
.LBB11_30:
	s_and_b32 vcc_lo, exec_lo, s8
	s_cbranch_vccz .LBB11_35
; %bb.31:
	s_cmp_eq_u32 s6, 44
	s_mov_b32 s4, -1
	s_cbranch_scc0 .LBB11_35
; %bb.32:
	v_cvt_f32_f64_e32 v2, v[0:1]
	v_mov_b32_e32 v3, 0xff
	s_mov_b32 s7, exec_lo
	v_bfe_u32 v6, v2, 23, 8
	v_cmpx_ne_u32_e32 0xff, v6
	s_cbranch_execz .LBB11_34
; %bb.33:
	v_and_b32_e32 v3, 0x400000, v2
	v_and_or_b32 v6, 0x3fffff, v2, v6
	v_lshrrev_b32_e32 v2, 23, v2
	v_cmp_ne_u32_e32 vcc_lo, 0, v3
	v_cmp_ne_u32_e64 s4, 0, v6
	s_and_b32 s4, vcc_lo, s4
	v_cndmask_b32_e64 v3, 0, 1, s4
	v_add_nc_u32_e32 v3, v2, v3
.LBB11_34:
	s_or_b32 exec_lo, exec_lo, s7
	s_mov_b32 s7, -1
	s_mov_b32 s4, 0
	global_store_byte v[4:5], v3, off
.LBB11_35:
	s_mov_b32 s8, 0
.LBB11_36:
	s_and_b32 vcc_lo, exec_lo, s8
	s_cbranch_vccz .LBB11_39
; %bb.37:
	s_cmp_eq_u32 s6, 29
	s_mov_b32 s4, -1
	s_cbranch_scc0 .LBB11_39
; %bb.38:
	v_trunc_f64_e32 v[2:3], v[0:1]
	s_mov_b32 s7, -1
	s_mov_b32 s4, 0
	s_mov_b32 s8, 0
	v_ldexp_f64 v[6:7], v[2:3], 0xffffffe0
	v_floor_f64_e32 v[6:7], v[6:7]
	v_fma_f64 v[2:3], 0xc1f00000, v[6:7], v[2:3]
	v_cvt_u32_f64_e32 v7, v[6:7]
	v_cvt_u32_f64_e32 v6, v[2:3]
	global_store_dwordx2 v[4:5], v[6:7], off
	s_branch .LBB11_40
.LBB11_39:
	s_mov_b32 s8, 0
.LBB11_40:
	s_and_b32 vcc_lo, exec_lo, s8
	s_cbranch_vccz .LBB11_56
; %bb.41:
	s_cmp_lt_i32 s6, 27
	s_mov_b32 s7, -1
	s_cbranch_scc1 .LBB11_47
; %bb.42:
	s_cmp_gt_i32 s6, 27
	s_cbranch_scc0 .LBB11_44
; %bb.43:
	v_cvt_u32_f64_e32 v2, v[0:1]
	s_mov_b32 s7, 0
	global_store_dword v[4:5], v2, off
.LBB11_44:
	s_andn2_b32 vcc_lo, exec_lo, s7
	s_cbranch_vccnz .LBB11_46
; %bb.45:
	v_cvt_u32_f64_e32 v2, v[0:1]
	global_store_short v[4:5], v2, off
.LBB11_46:
	s_mov_b32 s7, 0
.LBB11_47:
	s_andn2_b32 vcc_lo, exec_lo, s7
	s_cbranch_vccnz .LBB11_55
; %bb.48:
	v_cvt_f32_f64_e32 v2, v[0:1]
	v_mov_b32_e32 v6, 0x80
	s_mov_b32 s7, exec_lo
	v_and_b32_e32 v3, 0x7fffffff, v2
	v_cmpx_gt_u32_e32 0x43800000, v3
	s_cbranch_execz .LBB11_54
; %bb.49:
	v_cmp_lt_u32_e32 vcc_lo, 0x3bffffff, v3
	s_mov_b32 s8, 0
                                        ; implicit-def: $vgpr3
	s_and_saveexec_b32 s9, vcc_lo
	s_xor_b32 s9, exec_lo, s9
	s_cbranch_execz .LBB11_169
; %bb.50:
	v_bfe_u32 v3, v2, 20, 1
	s_mov_b32 s8, exec_lo
	v_add3_u32 v3, v2, v3, 0x487ffff
	v_lshrrev_b32_e32 v3, 20, v3
	s_andn2_saveexec_b32 s9, s9
	s_cbranch_execnz .LBB11_170
.LBB11_51:
	s_or_b32 exec_lo, exec_lo, s9
	v_mov_b32_e32 v6, 0
	s_and_saveexec_b32 s9, s8
.LBB11_52:
	v_lshrrev_b32_e32 v2, 24, v2
	v_and_or_b32 v6, 0x80, v2, v3
.LBB11_53:
	s_or_b32 exec_lo, exec_lo, s9
.LBB11_54:
	s_or_b32 exec_lo, exec_lo, s7
	global_store_byte v[4:5], v6, off
.LBB11_55:
	s_mov_b32 s7, -1
.LBB11_56:
	s_branch .LBB11_97
.LBB11_57:
	s_cmp_gt_i32 s6, 22
	s_mov_b32 s8, -1
	s_cbranch_scc0 .LBB11_89
; %bb.58:
	s_cmp_lt_i32 s6, 24
	s_mov_b32 s7, -1
	s_cbranch_scc1 .LBB11_78
; %bb.59:
	s_cmp_gt_i32 s6, 24
	s_cbranch_scc0 .LBB11_67
; %bb.60:
	v_cvt_f32_f64_e32 v2, v[0:1]
	v_mov_b32_e32 v6, 0x80
	s_mov_b32 s7, exec_lo
	v_and_b32_e32 v3, 0x7fffffff, v2
	v_cmpx_gt_u32_e32 0x47800000, v3
	s_cbranch_execz .LBB11_66
; %bb.61:
	v_cmp_lt_u32_e32 vcc_lo, 0x37ffffff, v3
	s_mov_b32 s8, 0
                                        ; implicit-def: $vgpr3
	s_and_saveexec_b32 s9, vcc_lo
	s_xor_b32 s9, exec_lo, s9
	s_cbranch_execz .LBB11_172
; %bb.62:
	v_bfe_u32 v3, v2, 21, 1
	s_mov_b32 s8, exec_lo
	v_add3_u32 v3, v2, v3, 0x88fffff
	v_lshrrev_b32_e32 v3, 21, v3
	s_andn2_saveexec_b32 s9, s9
	s_cbranch_execnz .LBB11_173
.LBB11_63:
	s_or_b32 exec_lo, exec_lo, s9
	v_mov_b32_e32 v6, 0
	s_and_saveexec_b32 s9, s8
.LBB11_64:
	v_lshrrev_b32_e32 v2, 24, v2
	v_and_or_b32 v6, 0x80, v2, v3
.LBB11_65:
	s_or_b32 exec_lo, exec_lo, s9
.LBB11_66:
	s_or_b32 exec_lo, exec_lo, s7
	s_mov_b32 s7, 0
	global_store_byte v[4:5], v6, off
.LBB11_67:
	s_and_b32 vcc_lo, exec_lo, s7
	s_cbranch_vccz .LBB11_77
; %bb.68:
	v_cvt_f32_f64_e32 v2, v[0:1]
	s_mov_b32 s7, exec_lo
                                        ; implicit-def: $vgpr3
	v_and_b32_e32 v6, 0x7fffffff, v2
	v_cmpx_gt_u32_e32 0x43f00000, v6
	s_xor_b32 s7, exec_lo, s7
	s_cbranch_execz .LBB11_74
; %bb.69:
	s_mov_b32 s8, exec_lo
                                        ; implicit-def: $vgpr3
	v_cmpx_lt_u32_e32 0x3c7fffff, v6
	s_xor_b32 s8, exec_lo, s8
; %bb.70:
	v_bfe_u32 v3, v2, 20, 1
	v_add3_u32 v3, v2, v3, 0x407ffff
	v_and_b32_e32 v6, 0xff00000, v3
	v_lshrrev_b32_e32 v3, 20, v3
	v_cmp_ne_u32_e32 vcc_lo, 0x7f00000, v6
	v_cndmask_b32_e32 v3, 0x7e, v3, vcc_lo
; %bb.71:
	s_andn2_saveexec_b32 s8, s8
; %bb.72:
	v_add_f32_e64 v3, 0x46800000, |v2|
; %bb.73:
	s_or_b32 exec_lo, exec_lo, s8
                                        ; implicit-def: $vgpr6
.LBB11_74:
	s_andn2_saveexec_b32 s7, s7
; %bb.75:
	v_mov_b32_e32 v3, 0x7f
	v_cmp_lt_u32_e32 vcc_lo, 0x7f800000, v6
	v_cndmask_b32_e32 v3, 0x7e, v3, vcc_lo
; %bb.76:
	s_or_b32 exec_lo, exec_lo, s7
	v_lshrrev_b32_e32 v2, 24, v2
	v_and_or_b32 v2, 0x80, v2, v3
	global_store_byte v[4:5], v2, off
.LBB11_77:
	s_mov_b32 s7, 0
.LBB11_78:
	s_andn2_b32 vcc_lo, exec_lo, s7
	s_cbranch_vccnz .LBB11_88
; %bb.79:
	v_cvt_f32_f64_e32 v2, v[0:1]
	s_mov_b32 s7, exec_lo
                                        ; implicit-def: $vgpr3
	v_and_b32_e32 v6, 0x7fffffff, v2
	v_cmpx_gt_u32_e32 0x47800000, v6
	s_xor_b32 s7, exec_lo, s7
	s_cbranch_execz .LBB11_85
; %bb.80:
	s_mov_b32 s8, exec_lo
                                        ; implicit-def: $vgpr3
	v_cmpx_lt_u32_e32 0x387fffff, v6
	s_xor_b32 s8, exec_lo, s8
; %bb.81:
	v_bfe_u32 v3, v2, 21, 1
	v_add3_u32 v3, v2, v3, 0x80fffff
	v_lshrrev_b32_e32 v3, 21, v3
; %bb.82:
	s_andn2_saveexec_b32 s8, s8
; %bb.83:
	v_add_f32_e64 v3, 0x43000000, |v2|
; %bb.84:
	s_or_b32 exec_lo, exec_lo, s8
                                        ; implicit-def: $vgpr6
.LBB11_85:
	s_andn2_saveexec_b32 s7, s7
; %bb.86:
	v_mov_b32_e32 v3, 0x7f
	v_cmp_lt_u32_e32 vcc_lo, 0x7f800000, v6
	v_cndmask_b32_e32 v3, 0x7c, v3, vcc_lo
; %bb.87:
	s_or_b32 exec_lo, exec_lo, s7
	v_lshrrev_b32_e32 v2, 24, v2
	v_and_or_b32 v2, 0x80, v2, v3
	global_store_byte v[4:5], v2, off
.LBB11_88:
	s_mov_b32 s8, 0
	s_mov_b32 s7, -1
.LBB11_89:
	s_andn2_b32 vcc_lo, exec_lo, s8
	s_cbranch_vccnz .LBB11_97
; %bb.90:
	s_cmp_gt_i32 s6, 14
	s_mov_b32 s8, -1
	s_cbranch_scc0 .LBB11_94
; %bb.91:
	s_cmp_eq_u32 s6, 15
	s_mov_b32 s4, -1
	s_cbranch_scc0 .LBB11_93
; %bb.92:
	v_cvt_f32_f64_e32 v2, v[0:1]
	s_mov_b32 s7, -1
	s_mov_b32 s4, 0
	v_bfe_u32 v3, v2, 16, 1
	v_cmp_o_f32_e32 vcc_lo, v2, v2
	v_add3_u32 v2, v2, v3, 0x7fff
	v_mov_b32_e32 v3, 0x7fc0
	v_cndmask_b32_sdwa v2, v3, v2, vcc_lo dst_sel:DWORD dst_unused:UNUSED_PAD src0_sel:DWORD src1_sel:WORD_1
	global_store_short v[4:5], v2, off
.LBB11_93:
	s_mov_b32 s8, 0
.LBB11_94:
	s_and_b32 vcc_lo, exec_lo, s8
	s_cbranch_vccz .LBB11_97
; %bb.95:
	s_cmp_eq_u32 s6, 11
	s_mov_b32 s4, -1
	s_cbranch_scc0 .LBB11_97
; %bb.96:
	v_cmp_neq_f64_e32 vcc_lo, 0, v[0:1]
	s_mov_b32 s7, -1
	s_mov_b32 s4, 0
	v_cndmask_b32_e64 v2, 0, 1, vcc_lo
	global_store_byte v[4:5], v2, off
.LBB11_97:
	s_branch .LBB11_24
.LBB11_98:
	s_and_b32 s5, 0xffff, s5
	s_mov_b32 s6, -1
	s_cmp_lt_i32 s5, 5
	s_cbranch_scc1 .LBB11_119
; %bb.99:
	s_cmp_lt_i32 s5, 8
	s_cbranch_scc1 .LBB11_109
; %bb.100:
	;; [unrolled: 3-line block ×3, first 2 shown]
	s_cmp_gt_i32 s5, 9
	s_cbranch_scc0 .LBB11_103
; %bb.102:
	v_mov_b32_e32 v2, 0
	s_mov_b32 s6, 0
	v_mov_b32_e32 v3, v2
	global_store_dwordx4 v[4:5], v[0:3], off
.LBB11_103:
	s_andn2_b32 vcc_lo, exec_lo, s6
	s_cbranch_vccnz .LBB11_105
; %bb.104:
	v_cvt_f32_f64_e32 v2, v[0:1]
	v_mov_b32_e32 v3, 0
	global_store_dwordx2 v[4:5], v[2:3], off
.LBB11_105:
	s_mov_b32 s6, 0
.LBB11_106:
	s_andn2_b32 vcc_lo, exec_lo, s6
	s_cbranch_vccnz .LBB11_108
; %bb.107:
	v_and_or_b32 v2, 0x1ff, v1, v0
	v_lshrrev_b32_e32 v3, 8, v1
	v_bfe_u32 v6, v1, 20, 11
	v_cmp_ne_u32_e32 vcc_lo, 0, v2
	v_sub_nc_u32_e32 v7, 0x3f1, v6
	v_add_nc_u32_e32 v6, 0xfffffc10, v6
	v_cndmask_b32_e64 v2, 0, 1, vcc_lo
	v_and_or_b32 v2, 0xffe, v3, v2
	v_med3_i32 v3, v7, 0, 13
	v_or_b32_e32 v7, 0x1000, v2
	v_lshrrev_b32_e32 v8, v3, v7
	v_lshlrev_b32_e32 v3, v3, v8
	v_cmp_ne_u32_e32 vcc_lo, v3, v7
	v_lshl_or_b32 v7, v6, 12, v2
	v_cndmask_b32_e64 v3, 0, 1, vcc_lo
	v_cmp_gt_i32_e32 vcc_lo, 1, v6
	v_or_b32_e32 v3, v8, v3
	v_cndmask_b32_e32 v3, v7, v3, vcc_lo
	v_and_b32_e32 v7, 7, v3
	v_lshrrev_b32_e32 v3, 2, v3
	v_cmp_lt_i32_e32 vcc_lo, 5, v7
	v_cndmask_b32_e64 v8, 0, 1, vcc_lo
	v_cmp_eq_u32_e32 vcc_lo, 3, v7
	v_cndmask_b32_e64 v7, 0, 1, vcc_lo
	v_cmp_ne_u32_e32 vcc_lo, 0, v2
	v_or_b32_e32 v7, v7, v8
	v_mov_b32_e32 v8, 0x7e00
	v_add_nc_u32_e32 v3, v3, v7
	v_cndmask_b32_e32 v2, 0x7c00, v8, vcc_lo
	v_cmp_gt_i32_e32 vcc_lo, 31, v6
	v_cndmask_b32_e32 v3, 0x7c00, v3, vcc_lo
	v_cmp_eq_u32_e32 vcc_lo, 0x40f, v6
	v_cndmask_b32_e32 v2, v3, v2, vcc_lo
	v_lshrrev_b32_e32 v3, 16, v1
	v_and_or_b32 v2, 0x8000, v3, v2
	v_and_b32_e32 v2, 0xffff, v2
	global_store_dword v[4:5], v2, off
.LBB11_108:
	s_mov_b32 s6, 0
.LBB11_109:
	s_andn2_b32 vcc_lo, exec_lo, s6
	s_cbranch_vccnz .LBB11_118
; %bb.110:
	s_cmp_lt_i32 s5, 6
	s_mov_b32 s6, -1
	s_cbranch_scc1 .LBB11_116
; %bb.111:
	s_cmp_gt_i32 s5, 6
	s_cbranch_scc0 .LBB11_113
; %bb.112:
	s_mov_b32 s6, 0
	global_store_dwordx2 v[4:5], v[0:1], off
.LBB11_113:
	s_andn2_b32 vcc_lo, exec_lo, s6
	s_cbranch_vccnz .LBB11_115
; %bb.114:
	v_cvt_f32_f64_e32 v2, v[0:1]
	global_store_dword v[4:5], v2, off
.LBB11_115:
	s_mov_b32 s6, 0
.LBB11_116:
	s_andn2_b32 vcc_lo, exec_lo, s6
	s_cbranch_vccnz .LBB11_118
; %bb.117:
	v_and_or_b32 v2, 0x1ff, v1, v0
	v_lshrrev_b32_e32 v3, 8, v1
	v_bfe_u32 v6, v1, 20, 11
	v_cmp_ne_u32_e32 vcc_lo, 0, v2
	v_sub_nc_u32_e32 v7, 0x3f1, v6
	v_add_nc_u32_e32 v6, 0xfffffc10, v6
	v_cndmask_b32_e64 v2, 0, 1, vcc_lo
	v_and_or_b32 v2, 0xffe, v3, v2
	v_med3_i32 v3, v7, 0, 13
	v_or_b32_e32 v7, 0x1000, v2
	v_lshrrev_b32_e32 v8, v3, v7
	v_lshlrev_b32_e32 v3, v3, v8
	v_cmp_ne_u32_e32 vcc_lo, v3, v7
	v_lshl_or_b32 v7, v6, 12, v2
	v_cndmask_b32_e64 v3, 0, 1, vcc_lo
	v_cmp_gt_i32_e32 vcc_lo, 1, v6
	v_or_b32_e32 v3, v8, v3
	v_cndmask_b32_e32 v3, v7, v3, vcc_lo
	v_and_b32_e32 v7, 7, v3
	v_lshrrev_b32_e32 v3, 2, v3
	v_cmp_lt_i32_e32 vcc_lo, 5, v7
	v_cndmask_b32_e64 v8, 0, 1, vcc_lo
	v_cmp_eq_u32_e32 vcc_lo, 3, v7
	v_cndmask_b32_e64 v7, 0, 1, vcc_lo
	v_cmp_ne_u32_e32 vcc_lo, 0, v2
	v_or_b32_e32 v7, v7, v8
	v_mov_b32_e32 v8, 0x7e00
	v_add_nc_u32_e32 v3, v3, v7
	v_cndmask_b32_e32 v2, 0x7c00, v8, vcc_lo
	v_cmp_gt_i32_e32 vcc_lo, 31, v6
	v_cndmask_b32_e32 v3, 0x7c00, v3, vcc_lo
	v_cmp_eq_u32_e32 vcc_lo, 0x40f, v6
	v_cndmask_b32_e32 v2, v3, v2, vcc_lo
	v_lshrrev_b32_e32 v3, 16, v1
	v_and_or_b32 v2, 0x8000, v3, v2
	global_store_short v[4:5], v2, off
.LBB11_118:
	s_mov_b32 s6, 0
.LBB11_119:
	s_andn2_b32 vcc_lo, exec_lo, s6
	s_cbranch_vccnz .LBB11_135
; %bb.120:
	s_cmp_lt_i32 s5, 2
	s_mov_b32 s6, -1
	s_cbranch_scc1 .LBB11_130
; %bb.121:
	s_cmp_lt_i32 s5, 3
	s_cbranch_scc1 .LBB11_127
; %bb.122:
	s_cmp_gt_i32 s5, 3
	s_cbranch_scc0 .LBB11_124
; %bb.123:
	v_trunc_f64_e32 v[2:3], v[0:1]
	s_mov_b32 s6, 0
	v_ldexp_f64 v[6:7], v[2:3], 0xffffffe0
	v_floor_f64_e32 v[6:7], v[6:7]
	v_fma_f64 v[2:3], 0xc1f00000, v[6:7], v[2:3]
	v_cvt_i32_f64_e32 v7, v[6:7]
	v_cvt_u32_f64_e32 v6, v[2:3]
	global_store_dwordx2 v[4:5], v[6:7], off
.LBB11_124:
	s_andn2_b32 vcc_lo, exec_lo, s6
	s_cbranch_vccnz .LBB11_126
; %bb.125:
	v_cvt_i32_f64_e32 v2, v[0:1]
	global_store_dword v[4:5], v2, off
.LBB11_126:
	s_mov_b32 s6, 0
.LBB11_127:
	s_andn2_b32 vcc_lo, exec_lo, s6
	s_cbranch_vccnz .LBB11_129
; %bb.128:
	v_cvt_i32_f64_e32 v2, v[0:1]
	global_store_short v[4:5], v2, off
.LBB11_129:
	s_mov_b32 s6, 0
.LBB11_130:
	s_andn2_b32 vcc_lo, exec_lo, s6
	s_cbranch_vccnz .LBB11_135
; %bb.131:
	s_cmp_gt_i32 s5, 0
	s_mov_b32 s5, -1
	s_cbranch_scc0 .LBB11_133
; %bb.132:
	v_cvt_i32_f64_e32 v2, v[0:1]
	s_mov_b32 s5, 0
	global_store_byte v[4:5], v2, off
.LBB11_133:
	s_andn2_b32 vcc_lo, exec_lo, s5
	s_cbranch_vccnz .LBB11_135
; %bb.134:
	v_trunc_f64_e32 v[0:1], v[0:1]
	v_ldexp_f64 v[2:3], v[0:1], 0xffffffe0
	v_floor_f64_e32 v[2:3], v[2:3]
	v_fma_f64 v[0:1], 0xc1f00000, v[2:3], v[0:1]
	v_cvt_u32_f64_e32 v0, v[0:1]
	global_store_byte v[4:5], v0, off
.LBB11_135:
	s_branch .LBB11_25
.LBB11_136:
	s_mov_b32 s5, 0
                                        ; implicit-def: $vgpr43
.LBB11_137:
	s_and_b32 s61, s4, exec_lo
	s_orn2_b32 s4, s5, exec_lo
.LBB11_138:
	s_or_b32 exec_lo, exec_lo, s62
	s_mov_b32 s6, 0
                                        ; implicit-def: $sgpr5
                                        ; implicit-def: $vgpr4_vgpr5
                                        ; implicit-def: $vgpr0_vgpr1
	s_and_saveexec_b32 s62, s4
	s_cbranch_execz .LBB11_145
; %bb.139:
	s_mov_b32 s7, -1
	s_mov_b32 s63, s61
	s_mov_b32 s64, exec_lo
	v_cmpx_gt_i32_e64 s58, v43
	s_cbranch_execz .LBB11_284
; %bb.140:
	s_andn2_b32 vcc_lo, exec_lo, s54
	s_cbranch_vccnz .LBB11_148
; %bb.141:
	s_andn2_b32 vcc_lo, exec_lo, s60
	s_cbranch_vccnz .LBB11_149
; %bb.142:
	s_add_i32 s9, s59, 1
	s_cmp_eq_u32 s52, 2
	s_cbranch_scc1 .LBB11_150
; %bb.143:
	v_mov_b32_e32 v2, 0
	v_mov_b32_e32 v41, 0
	;; [unrolled: 1-line block ×3, first 2 shown]
	s_and_b32 s8, s9, 28
	s_mov_b32 s10, 0
	s_mov_b64 s[4:5], s[34:35]
	s_mov_b64 s[6:7], s[50:51]
.LBB11_144:                             ; =>This Inner Loop Header: Depth=1
	s_clause 0x1
	s_load_dwordx8 s[12:19], s[4:5], 0x4
	s_load_dwordx4 s[68:71], s[4:5], 0x24
	s_load_dwordx8 s[20:27], s[6:7], 0x0
	s_add_u32 s4, s4, 48
	s_addc_u32 s5, s5, 0
	s_add_i32 s10, s10, 4
	s_add_u32 s6, s6, 32
	s_addc_u32 s7, s7, 0
	s_cmp_eq_u32 s8, s10
	s_waitcnt lgkmcnt(0)
	v_mul_hi_u32 v1, s13, v0
	v_add_nc_u32_e32 v1, v0, v1
	v_lshrrev_b32_e32 v1, s14, v1
	v_mul_hi_u32 v3, s16, v1
	v_mul_lo_u32 v5, v1, s12
	v_add_nc_u32_e32 v3, v1, v3
	v_sub_nc_u32_e32 v0, v0, v5
	v_lshrrev_b32_e32 v3, s17, v3
	v_mul_lo_u32 v5, v0, s20
	v_mul_lo_u32 v7, v0, s21
	v_mul_hi_u32 v4, s19, v3
	v_add_nc_u32_e32 v4, v3, v4
	v_lshrrev_b32_e32 v4, s68, v4
	v_mul_hi_u32 v6, s70, v4
	v_mul_lo_u32 v8, v4, s18
	v_add_nc_u32_e32 v0, v4, v6
	v_mul_lo_u32 v6, v3, s15
	v_sub_nc_u32_e32 v3, v3, v8
	v_lshrrev_b32_e32 v0, s71, v0
	v_mul_lo_u32 v8, v3, s24
	v_mul_lo_u32 v3, v3, s25
	v_sub_nc_u32_e32 v1, v1, v6
	v_mul_lo_u32 v9, v0, s69
	v_mul_lo_u32 v6, v1, s22
	;; [unrolled: 1-line block ×3, first 2 shown]
	v_sub_nc_u32_e32 v4, v4, v9
	v_add3_u32 v5, v5, v41, v6
	v_mul_lo_u32 v9, v4, s26
	v_mul_lo_u32 v4, v4, s27
	v_add3_u32 v1, v7, v2, v1
	v_add3_u32 v41, v8, v5, v9
	;; [unrolled: 1-line block ×3, first 2 shown]
	s_cbranch_scc0 .LBB11_144
	s_branch .LBB11_151
.LBB11_145:
	s_or_b32 exec_lo, exec_lo, s62
	s_mov_b32 s4, 0
	s_and_saveexec_b32 s7, s61
	s_cbranch_execnz .LBB11_530
.LBB11_146:
	s_or_b32 exec_lo, exec_lo, s7
	s_and_saveexec_b32 s7, s63
	s_xor_b32 s7, exec_lo, s7
	s_cbranch_execz .LBB11_531
.LBB11_147:
	v_cmp_neq_f64_e32 vcc_lo, 0, v[0:1]
	v_cndmask_b32_e64 v2, 0, 1, vcc_lo
	global_store_byte v[4:5], v2, off
	s_or_b32 exec_lo, exec_lo, s7
	s_and_saveexec_b32 s7, s6
	s_xor_b32 s6, exec_lo, s7
	s_cbranch_execz .LBB11_569
	s_branch .LBB11_532
.LBB11_148:
                                        ; implicit-def: $vgpr41
                                        ; implicit-def: $vgpr2
	s_branch .LBB11_155
.LBB11_149:
	v_mov_b32_e32 v41, 0
	v_mov_b32_e32 v2, 0
	s_branch .LBB11_154
.LBB11_150:
	v_mov_b32_e32 v41, 0
	v_mov_b32_e32 v2, 0
	;; [unrolled: 1-line block ×3, first 2 shown]
	s_mov_b32 s8, 0
.LBB11_151:
	s_and_b32 s9, s9, 3
	s_cmp_eq_u32 s9, 0
	s_cbranch_scc1 .LBB11_154
; %bb.152:
	s_lshl_b32 s4, s8, 3
	s_mul_i32 s6, s8, 12
	s_add_u32 s4, s34, s4
	s_addc_u32 s5, s35, 0
	s_add_u32 s4, s4, 0xc4
	s_addc_u32 s5, s5, 0
	;; [unrolled: 2-line block ×3, first 2 shown]
	.p2align	6
.LBB11_153:                             ; =>This Inner Loop Header: Depth=1
	s_clause 0x1
	s_load_dwordx2 s[10:11], s[6:7], 0x4
	s_load_dword s8, s[6:7], 0xc
	s_load_dwordx2 s[12:13], s[4:5], 0x0
	s_add_u32 s6, s6, 12
	s_addc_u32 s7, s7, 0
	s_add_u32 s4, s4, 8
	s_addc_u32 s5, s5, 0
	s_add_i32 s9, s9, -1
	s_cmp_lg_u32 s9, 0
	s_waitcnt lgkmcnt(0)
	v_mul_hi_u32 v1, s11, v0
	v_add_nc_u32_e32 v1, v0, v1
	v_lshrrev_b32_e32 v1, s8, v1
	v_mul_lo_u32 v3, v1, s10
	v_sub_nc_u32_e32 v0, v0, v3
	v_mad_u64_u32 v[41:42], null, v0, s12, v[41:42]
	v_mad_u64_u32 v[2:3], null, v0, s13, v[2:3]
	v_mov_b32_e32 v0, v1
	s_cbranch_scc1 .LBB11_153
.LBB11_154:
	s_cbranch_execnz .LBB11_157
.LBB11_155:
	s_waitcnt lgkmcnt(0)
	v_mul_hi_u32 v0, s45, v43
	s_andn2_b32 vcc_lo, exec_lo, s57
	v_add_nc_u32_e32 v0, v43, v0
	v_lshrrev_b32_e32 v0, s46, v0
	v_mul_lo_u32 v1, v0, s44
	v_sub_nc_u32_e32 v1, v43, v1
	v_mul_lo_u32 v41, v1, s40
	v_mul_lo_u32 v2, v1, s41
	s_cbranch_vccnz .LBB11_157
; %bb.156:
	v_mul_hi_u32 v1, s48, v0
	v_add_nc_u32_e32 v1, v0, v1
	v_lshrrev_b32_e32 v1, s49, v1
	v_mul_lo_u32 v1, v1, s47
	v_sub_nc_u32_e32 v0, v0, v1
	v_mad_u64_u32 v[41:42], null, v0, s42, v[41:42]
	v_mad_u64_u32 v[2:3], null, v0, s43, v[2:3]
.LBB11_157:
	s_waitcnt lgkmcnt(0)
	v_mov_b32_e32 v0, s38
	v_mov_b32_e32 v1, s39
	v_mov_b32_e32 v3, v40
	s_getpc_b64 s[4:5]
	s_add_u32 s4, s4, _ZN2at6native6invokeIZZZNS0_12_GLOBAL__N_119airy_ai_kernel_cudaERNS_18TensorIteratorBaseEENKUlvE_clEvENKUlvE_clEvEUldE_j15function_traitsIS7_EEENT1_11result_typeERKT_PrKPcPKT0_PKN3c1010ScalarTypeEi@rel32@lo+4
	s_addc_u32 s5, s5, _ZN2at6native6invokeIZZZNS0_12_GLOBAL__N_119airy_ai_kernel_cudaERNS_18TensorIteratorBaseEENKUlvE_clEvENKUlvE_clEvEUldE_j15function_traitsIS7_EEENT1_11result_typeERKT_PrKPcPKT0_PKN3c1010ScalarTypeEi@rel32@hi+12
	s_swappc_b64 s[30:31], s[4:5]
	v_add_co_u32 v4, s4, s36, v41
	v_add_co_ci_u32_e64 v5, null, s37, 0, s4
	s_and_b32 s5, s56, 0xff
	s_cmp_lt_i32 s5, 11
	s_cbranch_scc1 .LBB11_164
; %bb.158:
	s_and_b32 s6, 0xffff, s5
	s_cmp_gt_i32 s6, 25
	s_cbranch_scc0 .LBB11_167
; %bb.159:
	s_cmp_gt_i32 s6, 28
	s_cbranch_scc0 .LBB11_168
; %bb.160:
	;; [unrolled: 3-line block ×4, first 2 shown]
	s_mov_b32 s8, 0
	s_mov_b32 s4, -1
	s_cmp_eq_u32 s6, 46
	s_mov_b32 s7, 0
	s_cbranch_scc0 .LBB11_175
; %bb.163:
	v_cvt_f32_f64_e32 v2, v[0:1]
	s_mov_b32 s7, -1
	s_mov_b32 s4, 0
	v_bfe_u32 v3, v2, 16, 1
	v_cmp_o_f32_e32 vcc_lo, v2, v2
	v_add3_u32 v2, v2, v3, 0x7fff
	v_mov_b32_e32 v3, 0x7fc0
	v_cndmask_b32_sdwa v2, v3, v2, vcc_lo dst_sel:DWORD dst_unused:UNUSED_PAD src0_sel:DWORD src1_sel:WORD_1
	global_store_dword v[4:5], v2, off
	s_branch .LBB11_175
.LBB11_164:
	s_mov_b32 s7, 0
	s_mov_b32 s4, s61
	s_cbranch_execnz .LBB11_244
.LBB11_165:
	s_andn2_b32 vcc_lo, exec_lo, s7
	s_cbranch_vccnz .LBB11_282
.LBB11_166:
	v_add_nc_u32_e32 v43, 0x80, v43
	s_mov_b32 s5, -1
	s_branch .LBB11_283
.LBB11_167:
	s_mov_b32 s8, -1
	s_mov_b32 s7, 0
	s_mov_b32 s4, s61
	s_branch .LBB11_202
.LBB11_168:
	s_mov_b32 s8, -1
	s_mov_b32 s7, 0
	s_mov_b32 s4, s61
	s_branch .LBB11_185
.LBB11_169:
	s_andn2_saveexec_b32 s9, s9
	s_cbranch_execz .LBB11_51
.LBB11_170:
	v_add_f32_e64 v3, 0x46000000, |v2|
	s_andn2_b32 s8, s8, exec_lo
	v_and_b32_e32 v3, 0xff, v3
	v_cmp_ne_u32_e32 vcc_lo, 0, v3
	s_and_b32 s10, vcc_lo, exec_lo
	s_or_b32 s8, s8, s10
	s_or_b32 exec_lo, exec_lo, s9
	v_mov_b32_e32 v6, 0
	s_and_saveexec_b32 s9, s8
	s_cbranch_execnz .LBB11_52
	s_branch .LBB11_53
.LBB11_171:
	s_mov_b32 s8, -1
	s_mov_b32 s7, 0
	s_mov_b32 s4, s61
	s_branch .LBB11_181
.LBB11_172:
	s_andn2_saveexec_b32 s9, s9
	s_cbranch_execz .LBB11_63
.LBB11_173:
	v_add_f32_e64 v3, 0x42800000, |v2|
	s_andn2_b32 s8, s8, exec_lo
	v_and_b32_e32 v3, 0xff, v3
	v_cmp_ne_u32_e32 vcc_lo, 0, v3
	s_and_b32 s10, vcc_lo, exec_lo
	s_or_b32 s8, s8, s10
	s_or_b32 exec_lo, exec_lo, s9
	v_mov_b32_e32 v6, 0
	s_and_saveexec_b32 s9, s8
	s_cbranch_execnz .LBB11_64
	s_branch .LBB11_65
.LBB11_174:
	s_mov_b32 s8, -1
	s_mov_b32 s7, 0
	s_mov_b32 s4, s61
.LBB11_175:
	s_and_b32 vcc_lo, exec_lo, s8
	s_cbranch_vccz .LBB11_180
; %bb.176:
	s_cmp_eq_u32 s6, 44
	s_mov_b32 s4, -1
	s_cbranch_scc0 .LBB11_180
; %bb.177:
	v_cvt_f32_f64_e32 v2, v[0:1]
	v_mov_b32_e32 v3, 0xff
	s_mov_b32 s7, exec_lo
	v_bfe_u32 v6, v2, 23, 8
	v_cmpx_ne_u32_e32 0xff, v6
	s_cbranch_execz .LBB11_179
; %bb.178:
	v_and_b32_e32 v3, 0x400000, v2
	v_and_or_b32 v6, 0x3fffff, v2, v6
	v_lshrrev_b32_e32 v2, 23, v2
	v_cmp_ne_u32_e32 vcc_lo, 0, v3
	v_cmp_ne_u32_e64 s4, 0, v6
	s_and_b32 s4, vcc_lo, s4
	v_cndmask_b32_e64 v3, 0, 1, s4
	v_add_nc_u32_e32 v3, v2, v3
.LBB11_179:
	s_or_b32 exec_lo, exec_lo, s7
	s_mov_b32 s7, -1
	s_mov_b32 s4, 0
	global_store_byte v[4:5], v3, off
.LBB11_180:
	s_mov_b32 s8, 0
.LBB11_181:
	s_and_b32 vcc_lo, exec_lo, s8
	s_cbranch_vccz .LBB11_184
; %bb.182:
	s_cmp_eq_u32 s6, 29
	s_mov_b32 s4, -1
	s_cbranch_scc0 .LBB11_184
; %bb.183:
	v_trunc_f64_e32 v[2:3], v[0:1]
	s_mov_b32 s7, -1
	s_mov_b32 s4, 0
	s_mov_b32 s8, 0
	v_ldexp_f64 v[6:7], v[2:3], 0xffffffe0
	v_floor_f64_e32 v[6:7], v[6:7]
	v_fma_f64 v[2:3], 0xc1f00000, v[6:7], v[2:3]
	v_cvt_u32_f64_e32 v7, v[6:7]
	v_cvt_u32_f64_e32 v6, v[2:3]
	global_store_dwordx2 v[4:5], v[6:7], off
	s_branch .LBB11_185
.LBB11_184:
	s_mov_b32 s8, 0
.LBB11_185:
	s_and_b32 vcc_lo, exec_lo, s8
	s_cbranch_vccz .LBB11_201
; %bb.186:
	s_cmp_lt_i32 s6, 27
	s_mov_b32 s7, -1
	s_cbranch_scc1 .LBB11_192
; %bb.187:
	v_cvt_u32_f64_e32 v2, v[0:1]
	s_cmp_gt_i32 s6, 27
	s_cbranch_scc0 .LBB11_189
; %bb.188:
	s_mov_b32 s7, 0
	global_store_dword v[4:5], v2, off
.LBB11_189:
	s_andn2_b32 vcc_lo, exec_lo, s7
	s_cbranch_vccnz .LBB11_191
; %bb.190:
	global_store_short v[4:5], v2, off
.LBB11_191:
	s_mov_b32 s7, 0
.LBB11_192:
	s_andn2_b32 vcc_lo, exec_lo, s7
	s_cbranch_vccnz .LBB11_200
; %bb.193:
	v_cvt_f32_f64_e32 v2, v[0:1]
	v_mov_b32_e32 v6, 0x80
	s_mov_b32 s7, exec_lo
	v_and_b32_e32 v3, 0x7fffffff, v2
	v_cmpx_gt_u32_e32 0x43800000, v3
	s_cbranch_execz .LBB11_199
; %bb.194:
	v_cmp_lt_u32_e32 vcc_lo, 0x3bffffff, v3
	s_mov_b32 s8, 0
                                        ; implicit-def: $vgpr3
	s_and_saveexec_b32 s9, vcc_lo
	s_xor_b32 s9, exec_lo, s9
	s_cbranch_execz .LBB11_311
; %bb.195:
	v_bfe_u32 v3, v2, 20, 1
	s_mov_b32 s8, exec_lo
	v_add3_u32 v3, v2, v3, 0x487ffff
	v_lshrrev_b32_e32 v3, 20, v3
	s_andn2_saveexec_b32 s9, s9
	s_cbranch_execnz .LBB11_312
.LBB11_196:
	s_or_b32 exec_lo, exec_lo, s9
	v_mov_b32_e32 v6, 0
	s_and_saveexec_b32 s9, s8
.LBB11_197:
	v_lshrrev_b32_e32 v2, 24, v2
	v_and_or_b32 v6, 0x80, v2, v3
.LBB11_198:
	s_or_b32 exec_lo, exec_lo, s9
.LBB11_199:
	s_or_b32 exec_lo, exec_lo, s7
	global_store_byte v[4:5], v6, off
.LBB11_200:
	s_mov_b32 s7, -1
.LBB11_201:
	s_mov_b32 s8, 0
.LBB11_202:
	s_and_b32 vcc_lo, exec_lo, s8
	s_cbranch_vccz .LBB11_243
; %bb.203:
	s_cmp_gt_i32 s6, 22
	s_mov_b32 s8, -1
	s_cbranch_scc0 .LBB11_235
; %bb.204:
	s_cmp_lt_i32 s6, 24
	s_mov_b32 s7, -1
	s_cbranch_scc1 .LBB11_224
; %bb.205:
	s_cmp_gt_i32 s6, 24
	s_cbranch_scc0 .LBB11_213
; %bb.206:
	v_cvt_f32_f64_e32 v2, v[0:1]
	v_mov_b32_e32 v6, 0x80
	s_mov_b32 s7, exec_lo
	v_and_b32_e32 v3, 0x7fffffff, v2
	v_cmpx_gt_u32_e32 0x47800000, v3
	s_cbranch_execz .LBB11_212
; %bb.207:
	v_cmp_lt_u32_e32 vcc_lo, 0x37ffffff, v3
	s_mov_b32 s8, 0
                                        ; implicit-def: $vgpr3
	s_and_saveexec_b32 s9, vcc_lo
	s_xor_b32 s9, exec_lo, s9
	s_cbranch_execz .LBB11_314
; %bb.208:
	v_bfe_u32 v3, v2, 21, 1
	s_mov_b32 s8, exec_lo
	v_add3_u32 v3, v2, v3, 0x88fffff
	v_lshrrev_b32_e32 v3, 21, v3
	s_andn2_saveexec_b32 s9, s9
	s_cbranch_execnz .LBB11_315
.LBB11_209:
	s_or_b32 exec_lo, exec_lo, s9
	v_mov_b32_e32 v6, 0
	s_and_saveexec_b32 s9, s8
.LBB11_210:
	v_lshrrev_b32_e32 v2, 24, v2
	v_and_or_b32 v6, 0x80, v2, v3
.LBB11_211:
	s_or_b32 exec_lo, exec_lo, s9
.LBB11_212:
	s_or_b32 exec_lo, exec_lo, s7
	s_mov_b32 s7, 0
	global_store_byte v[4:5], v6, off
.LBB11_213:
	s_and_b32 vcc_lo, exec_lo, s7
	s_cbranch_vccz .LBB11_223
; %bb.214:
	v_cvt_f32_f64_e32 v2, v[0:1]
	s_mov_b32 s7, exec_lo
                                        ; implicit-def: $vgpr3
	v_and_b32_e32 v6, 0x7fffffff, v2
	v_cmpx_gt_u32_e32 0x43f00000, v6
	s_xor_b32 s7, exec_lo, s7
	s_cbranch_execz .LBB11_220
; %bb.215:
	s_mov_b32 s8, exec_lo
                                        ; implicit-def: $vgpr3
	v_cmpx_lt_u32_e32 0x3c7fffff, v6
	s_xor_b32 s8, exec_lo, s8
; %bb.216:
	v_bfe_u32 v3, v2, 20, 1
	v_add3_u32 v3, v2, v3, 0x407ffff
	v_and_b32_e32 v6, 0xff00000, v3
	v_lshrrev_b32_e32 v3, 20, v3
	v_cmp_ne_u32_e32 vcc_lo, 0x7f00000, v6
	v_cndmask_b32_e32 v3, 0x7e, v3, vcc_lo
; %bb.217:
	s_andn2_saveexec_b32 s8, s8
; %bb.218:
	v_add_f32_e64 v3, 0x46800000, |v2|
; %bb.219:
	s_or_b32 exec_lo, exec_lo, s8
                                        ; implicit-def: $vgpr6
.LBB11_220:
	s_andn2_saveexec_b32 s7, s7
; %bb.221:
	v_mov_b32_e32 v3, 0x7f
	v_cmp_lt_u32_e32 vcc_lo, 0x7f800000, v6
	v_cndmask_b32_e32 v3, 0x7e, v3, vcc_lo
; %bb.222:
	s_or_b32 exec_lo, exec_lo, s7
	v_lshrrev_b32_e32 v2, 24, v2
	v_and_or_b32 v2, 0x80, v2, v3
	global_store_byte v[4:5], v2, off
.LBB11_223:
	s_mov_b32 s7, 0
.LBB11_224:
	s_andn2_b32 vcc_lo, exec_lo, s7
	s_cbranch_vccnz .LBB11_234
; %bb.225:
	v_cvt_f32_f64_e32 v2, v[0:1]
	s_mov_b32 s7, exec_lo
                                        ; implicit-def: $vgpr3
	v_and_b32_e32 v6, 0x7fffffff, v2
	v_cmpx_gt_u32_e32 0x47800000, v6
	s_xor_b32 s7, exec_lo, s7
	s_cbranch_execz .LBB11_231
; %bb.226:
	s_mov_b32 s8, exec_lo
                                        ; implicit-def: $vgpr3
	v_cmpx_lt_u32_e32 0x387fffff, v6
	s_xor_b32 s8, exec_lo, s8
; %bb.227:
	v_bfe_u32 v3, v2, 21, 1
	v_add3_u32 v3, v2, v3, 0x80fffff
	v_lshrrev_b32_e32 v3, 21, v3
; %bb.228:
	s_andn2_saveexec_b32 s8, s8
; %bb.229:
	v_add_f32_e64 v3, 0x43000000, |v2|
; %bb.230:
	s_or_b32 exec_lo, exec_lo, s8
                                        ; implicit-def: $vgpr6
.LBB11_231:
	s_andn2_saveexec_b32 s7, s7
; %bb.232:
	v_mov_b32_e32 v3, 0x7f
	v_cmp_lt_u32_e32 vcc_lo, 0x7f800000, v6
	v_cndmask_b32_e32 v3, 0x7c, v3, vcc_lo
; %bb.233:
	s_or_b32 exec_lo, exec_lo, s7
	v_lshrrev_b32_e32 v2, 24, v2
	v_and_or_b32 v2, 0x80, v2, v3
	global_store_byte v[4:5], v2, off
.LBB11_234:
	s_mov_b32 s8, 0
	s_mov_b32 s7, -1
.LBB11_235:
	s_andn2_b32 vcc_lo, exec_lo, s8
	s_cbranch_vccnz .LBB11_243
; %bb.236:
	s_cmp_gt_i32 s6, 14
	s_mov_b32 s8, -1
	s_cbranch_scc0 .LBB11_240
; %bb.237:
	s_cmp_eq_u32 s6, 15
	s_mov_b32 s4, -1
	s_cbranch_scc0 .LBB11_239
; %bb.238:
	v_cvt_f32_f64_e32 v2, v[0:1]
	s_mov_b32 s7, -1
	s_mov_b32 s4, 0
	v_bfe_u32 v3, v2, 16, 1
	v_cmp_o_f32_e32 vcc_lo, v2, v2
	v_add3_u32 v2, v2, v3, 0x7fff
	v_mov_b32_e32 v3, 0x7fc0
	v_cndmask_b32_sdwa v2, v3, v2, vcc_lo dst_sel:DWORD dst_unused:UNUSED_PAD src0_sel:DWORD src1_sel:WORD_1
	global_store_short v[4:5], v2, off
.LBB11_239:
	s_mov_b32 s8, 0
.LBB11_240:
	s_and_b32 vcc_lo, exec_lo, s8
	s_cbranch_vccz .LBB11_243
; %bb.241:
	s_cmp_eq_u32 s6, 11
	s_mov_b32 s4, -1
	s_cbranch_scc0 .LBB11_243
; %bb.242:
	v_cmp_neq_f64_e32 vcc_lo, 0, v[0:1]
	s_mov_b32 s7, -1
	s_mov_b32 s4, 0
	v_cndmask_b32_e64 v2, 0, 1, vcc_lo
	global_store_byte v[4:5], v2, off
.LBB11_243:
	s_branch .LBB11_165
.LBB11_244:
	s_and_b32 s5, 0xffff, s5
	s_mov_b32 s6, -1
	s_cmp_lt_i32 s5, 5
	s_cbranch_scc1 .LBB11_265
; %bb.245:
	s_cmp_lt_i32 s5, 8
	s_cbranch_scc1 .LBB11_255
; %bb.246:
	;; [unrolled: 3-line block ×3, first 2 shown]
	s_cmp_gt_i32 s5, 9
	s_cbranch_scc0 .LBB11_249
; %bb.248:
	v_mov_b32_e32 v2, 0
	s_mov_b32 s6, 0
	v_mov_b32_e32 v3, v2
	global_store_dwordx4 v[4:5], v[0:3], off
.LBB11_249:
	s_andn2_b32 vcc_lo, exec_lo, s6
	s_cbranch_vccnz .LBB11_251
; %bb.250:
	v_cvt_f32_f64_e32 v2, v[0:1]
	v_mov_b32_e32 v3, 0
	global_store_dwordx2 v[4:5], v[2:3], off
.LBB11_251:
	s_mov_b32 s6, 0
.LBB11_252:
	s_andn2_b32 vcc_lo, exec_lo, s6
	s_cbranch_vccnz .LBB11_254
; %bb.253:
	v_and_or_b32 v2, 0x1ff, v1, v0
	v_lshrrev_b32_e32 v3, 8, v1
	v_bfe_u32 v6, v1, 20, 11
	v_cmp_ne_u32_e32 vcc_lo, 0, v2
	v_sub_nc_u32_e32 v7, 0x3f1, v6
	v_add_nc_u32_e32 v6, 0xfffffc10, v6
	v_cndmask_b32_e64 v2, 0, 1, vcc_lo
	v_and_or_b32 v2, 0xffe, v3, v2
	v_med3_i32 v3, v7, 0, 13
	v_or_b32_e32 v7, 0x1000, v2
	v_lshrrev_b32_e32 v8, v3, v7
	v_lshlrev_b32_e32 v3, v3, v8
	v_cmp_ne_u32_e32 vcc_lo, v3, v7
	v_lshl_or_b32 v7, v6, 12, v2
	v_cndmask_b32_e64 v3, 0, 1, vcc_lo
	v_cmp_gt_i32_e32 vcc_lo, 1, v6
	v_or_b32_e32 v3, v8, v3
	v_cndmask_b32_e32 v3, v7, v3, vcc_lo
	v_and_b32_e32 v7, 7, v3
	v_lshrrev_b32_e32 v3, 2, v3
	v_cmp_lt_i32_e32 vcc_lo, 5, v7
	v_cndmask_b32_e64 v8, 0, 1, vcc_lo
	v_cmp_eq_u32_e32 vcc_lo, 3, v7
	v_cndmask_b32_e64 v7, 0, 1, vcc_lo
	v_cmp_ne_u32_e32 vcc_lo, 0, v2
	v_or_b32_e32 v7, v7, v8
	v_mov_b32_e32 v8, 0x7e00
	v_add_nc_u32_e32 v3, v3, v7
	v_cndmask_b32_e32 v2, 0x7c00, v8, vcc_lo
	v_cmp_gt_i32_e32 vcc_lo, 31, v6
	v_cndmask_b32_e32 v3, 0x7c00, v3, vcc_lo
	v_cmp_eq_u32_e32 vcc_lo, 0x40f, v6
	v_cndmask_b32_e32 v2, v3, v2, vcc_lo
	v_lshrrev_b32_e32 v3, 16, v1
	v_and_or_b32 v2, 0x8000, v3, v2
	v_and_b32_e32 v2, 0xffff, v2
	global_store_dword v[4:5], v2, off
.LBB11_254:
	s_mov_b32 s6, 0
.LBB11_255:
	s_andn2_b32 vcc_lo, exec_lo, s6
	s_cbranch_vccnz .LBB11_264
; %bb.256:
	s_cmp_lt_i32 s5, 6
	s_mov_b32 s6, -1
	s_cbranch_scc1 .LBB11_262
; %bb.257:
	s_cmp_gt_i32 s5, 6
	s_cbranch_scc0 .LBB11_259
; %bb.258:
	s_mov_b32 s6, 0
	global_store_dwordx2 v[4:5], v[0:1], off
.LBB11_259:
	s_andn2_b32 vcc_lo, exec_lo, s6
	s_cbranch_vccnz .LBB11_261
; %bb.260:
	v_cvt_f32_f64_e32 v2, v[0:1]
	global_store_dword v[4:5], v2, off
.LBB11_261:
	s_mov_b32 s6, 0
.LBB11_262:
	s_andn2_b32 vcc_lo, exec_lo, s6
	s_cbranch_vccnz .LBB11_264
; %bb.263:
	v_and_or_b32 v2, 0x1ff, v1, v0
	v_lshrrev_b32_e32 v3, 8, v1
	v_bfe_u32 v6, v1, 20, 11
	v_cmp_ne_u32_e32 vcc_lo, 0, v2
	v_sub_nc_u32_e32 v7, 0x3f1, v6
	v_add_nc_u32_e32 v6, 0xfffffc10, v6
	v_cndmask_b32_e64 v2, 0, 1, vcc_lo
	v_and_or_b32 v2, 0xffe, v3, v2
	v_med3_i32 v3, v7, 0, 13
	v_or_b32_e32 v7, 0x1000, v2
	v_lshrrev_b32_e32 v8, v3, v7
	v_lshlrev_b32_e32 v3, v3, v8
	v_cmp_ne_u32_e32 vcc_lo, v3, v7
	v_lshl_or_b32 v7, v6, 12, v2
	v_cndmask_b32_e64 v3, 0, 1, vcc_lo
	v_cmp_gt_i32_e32 vcc_lo, 1, v6
	v_or_b32_e32 v3, v8, v3
	v_cndmask_b32_e32 v3, v7, v3, vcc_lo
	v_and_b32_e32 v7, 7, v3
	v_lshrrev_b32_e32 v3, 2, v3
	v_cmp_lt_i32_e32 vcc_lo, 5, v7
	v_cndmask_b32_e64 v8, 0, 1, vcc_lo
	v_cmp_eq_u32_e32 vcc_lo, 3, v7
	v_cndmask_b32_e64 v7, 0, 1, vcc_lo
	v_cmp_ne_u32_e32 vcc_lo, 0, v2
	v_or_b32_e32 v7, v7, v8
	v_mov_b32_e32 v8, 0x7e00
	v_add_nc_u32_e32 v3, v3, v7
	v_cndmask_b32_e32 v2, 0x7c00, v8, vcc_lo
	v_cmp_gt_i32_e32 vcc_lo, 31, v6
	v_cndmask_b32_e32 v3, 0x7c00, v3, vcc_lo
	v_cmp_eq_u32_e32 vcc_lo, 0x40f, v6
	v_cndmask_b32_e32 v2, v3, v2, vcc_lo
	v_lshrrev_b32_e32 v3, 16, v1
	v_and_or_b32 v2, 0x8000, v3, v2
	global_store_short v[4:5], v2, off
.LBB11_264:
	s_mov_b32 s6, 0
.LBB11_265:
	s_andn2_b32 vcc_lo, exec_lo, s6
	s_cbranch_vccnz .LBB11_281
; %bb.266:
	s_cmp_lt_i32 s5, 2
	s_mov_b32 s6, -1
	s_cbranch_scc1 .LBB11_276
; %bb.267:
	s_cmp_lt_i32 s5, 3
	s_cbranch_scc1 .LBB11_273
; %bb.268:
	s_cmp_gt_i32 s5, 3
	s_cbranch_scc0 .LBB11_270
; %bb.269:
	v_trunc_f64_e32 v[2:3], v[0:1]
	s_mov_b32 s6, 0
	v_ldexp_f64 v[6:7], v[2:3], 0xffffffe0
	v_floor_f64_e32 v[6:7], v[6:7]
	v_fma_f64 v[2:3], 0xc1f00000, v[6:7], v[2:3]
	v_cvt_i32_f64_e32 v7, v[6:7]
	v_cvt_u32_f64_e32 v6, v[2:3]
	global_store_dwordx2 v[4:5], v[6:7], off
.LBB11_270:
	s_andn2_b32 vcc_lo, exec_lo, s6
	s_cbranch_vccnz .LBB11_272
; %bb.271:
	v_cvt_i32_f64_e32 v2, v[0:1]
	global_store_dword v[4:5], v2, off
.LBB11_272:
	s_mov_b32 s6, 0
.LBB11_273:
	s_andn2_b32 vcc_lo, exec_lo, s6
	s_cbranch_vccnz .LBB11_275
; %bb.274:
	v_cvt_i32_f64_e32 v2, v[0:1]
	global_store_short v[4:5], v2, off
.LBB11_275:
	s_mov_b32 s6, 0
.LBB11_276:
	s_andn2_b32 vcc_lo, exec_lo, s6
	s_cbranch_vccnz .LBB11_281
; %bb.277:
	s_cmp_gt_i32 s5, 0
	s_mov_b32 s5, -1
	s_cbranch_scc0 .LBB11_279
; %bb.278:
	v_cvt_i32_f64_e32 v2, v[0:1]
	s_mov_b32 s5, 0
	global_store_byte v[4:5], v2, off
.LBB11_279:
	s_andn2_b32 vcc_lo, exec_lo, s5
	s_cbranch_vccnz .LBB11_281
; %bb.280:
	v_trunc_f64_e32 v[0:1], v[0:1]
	v_ldexp_f64 v[2:3], v[0:1], 0xffffffe0
	v_floor_f64_e32 v[2:3], v[2:3]
	v_fma_f64 v[0:1], 0xc1f00000, v[2:3], v[0:1]
	v_cvt_u32_f64_e32 v0, v[0:1]
	global_store_byte v[4:5], v0, off
.LBB11_281:
	s_branch .LBB11_166
.LBB11_282:
	s_mov_b32 s5, 0
                                        ; implicit-def: $vgpr43
.LBB11_283:
	s_andn2_b32 s6, s61, exec_lo
	s_and_b32 s4, s4, exec_lo
	s_orn2_b32 s7, s5, exec_lo
	s_or_b32 s63, s6, s4
.LBB11_284:
	s_or_b32 exec_lo, exec_lo, s64
	s_mov_b32 s4, 0
	s_mov_b32 s6, 0
                                        ; implicit-def: $sgpr5
                                        ; implicit-def: $vgpr4_vgpr5
                                        ; implicit-def: $vgpr0_vgpr1
	s_and_saveexec_b32 s64, s7
	s_cbranch_execz .LBB11_529
; %bb.285:
	s_mov_b32 s7, -1
	s_mov_b32 s66, s63
	s_mov_b32 s65, exec_lo
	v_cmpx_gt_i32_e64 s58, v43
	s_cbranch_execz .LBB11_429
; %bb.286:
	s_andn2_b32 vcc_lo, exec_lo, s54
	s_cbranch_vccnz .LBB11_291
; %bb.287:
	s_andn2_b32 vcc_lo, exec_lo, s60
	s_cbranch_vccnz .LBB11_292
; %bb.288:
	s_add_i32 s9, s59, 1
	s_cmp_eq_u32 s52, 2
	s_cbranch_scc1 .LBB11_293
; %bb.289:
	v_mov_b32_e32 v2, 0
	v_mov_b32_e32 v41, 0
	v_mov_b32_e32 v0, v43
	s_and_b32 s8, s9, 28
	s_mov_b32 s10, 0
	s_mov_b64 s[4:5], s[34:35]
	s_mov_b64 s[6:7], s[50:51]
.LBB11_290:                             ; =>This Inner Loop Header: Depth=1
	s_clause 0x1
	s_load_dwordx8 s[12:19], s[4:5], 0x4
	s_load_dwordx4 s[68:71], s[4:5], 0x24
	s_load_dwordx8 s[20:27], s[6:7], 0x0
	s_add_u32 s4, s4, 48
	s_addc_u32 s5, s5, 0
	s_add_i32 s10, s10, 4
	s_add_u32 s6, s6, 32
	s_addc_u32 s7, s7, 0
	s_cmp_eq_u32 s8, s10
	s_waitcnt lgkmcnt(0)
	v_mul_hi_u32 v1, s13, v0
	v_add_nc_u32_e32 v1, v0, v1
	v_lshrrev_b32_e32 v1, s14, v1
	v_mul_hi_u32 v3, s16, v1
	v_mul_lo_u32 v5, v1, s12
	v_add_nc_u32_e32 v3, v1, v3
	v_sub_nc_u32_e32 v0, v0, v5
	v_lshrrev_b32_e32 v3, s17, v3
	v_mul_lo_u32 v5, v0, s20
	v_mul_lo_u32 v7, v0, s21
	v_mul_hi_u32 v4, s19, v3
	v_add_nc_u32_e32 v4, v3, v4
	v_lshrrev_b32_e32 v4, s68, v4
	v_mul_hi_u32 v6, s70, v4
	v_mul_lo_u32 v8, v4, s18
	v_add_nc_u32_e32 v0, v4, v6
	v_mul_lo_u32 v6, v3, s15
	v_sub_nc_u32_e32 v3, v3, v8
	v_lshrrev_b32_e32 v0, s71, v0
	v_mul_lo_u32 v8, v3, s24
	v_mul_lo_u32 v3, v3, s25
	v_sub_nc_u32_e32 v1, v1, v6
	v_mul_lo_u32 v9, v0, s69
	v_mul_lo_u32 v6, v1, s22
	;; [unrolled: 1-line block ×3, first 2 shown]
	v_sub_nc_u32_e32 v4, v4, v9
	v_add3_u32 v5, v5, v41, v6
	v_mul_lo_u32 v9, v4, s26
	v_mul_lo_u32 v4, v4, s27
	v_add3_u32 v1, v7, v2, v1
	v_add3_u32 v41, v8, v5, v9
	;; [unrolled: 1-line block ×3, first 2 shown]
	s_cbranch_scc0 .LBB11_290
	s_branch .LBB11_294
.LBB11_291:
	s_mov_b32 s4, -1
                                        ; implicit-def: $vgpr41
                                        ; implicit-def: $vgpr2
	s_branch .LBB11_298
.LBB11_292:
	v_mov_b32_e32 v41, 0
	v_mov_b32_e32 v2, 0
	s_branch .LBB11_297
.LBB11_293:
	v_mov_b32_e32 v41, 0
	v_mov_b32_e32 v2, 0
	;; [unrolled: 1-line block ×3, first 2 shown]
	s_mov_b32 s8, 0
.LBB11_294:
	s_and_b32 s9, s9, 3
	s_cmp_eq_u32 s9, 0
	s_cbranch_scc1 .LBB11_297
; %bb.295:
	s_lshl_b32 s4, s8, 3
	s_mul_i32 s6, s8, 12
	s_add_u32 s4, s34, s4
	s_addc_u32 s5, s35, 0
	s_add_u32 s4, s4, 0xc4
	s_addc_u32 s5, s5, 0
	;; [unrolled: 2-line block ×3, first 2 shown]
	.p2align	6
.LBB11_296:                             ; =>This Inner Loop Header: Depth=1
	s_clause 0x1
	s_load_dwordx2 s[10:11], s[6:7], 0x4
	s_load_dword s8, s[6:7], 0xc
	s_load_dwordx2 s[12:13], s[4:5], 0x0
	s_add_u32 s6, s6, 12
	s_addc_u32 s7, s7, 0
	s_add_u32 s4, s4, 8
	s_addc_u32 s5, s5, 0
	s_add_i32 s9, s9, -1
	s_cmp_lg_u32 s9, 0
	s_waitcnt lgkmcnt(0)
	v_mul_hi_u32 v1, s11, v0
	v_add_nc_u32_e32 v1, v0, v1
	v_lshrrev_b32_e32 v1, s8, v1
	v_mul_lo_u32 v3, v1, s10
	v_sub_nc_u32_e32 v0, v0, v3
	v_mad_u64_u32 v[41:42], null, v0, s12, v[41:42]
	v_mad_u64_u32 v[2:3], null, v0, s13, v[2:3]
	v_mov_b32_e32 v0, v1
	s_cbranch_scc1 .LBB11_296
.LBB11_297:
	s_mov_b32 s4, 0
.LBB11_298:
	s_andn2_b32 vcc_lo, exec_lo, s4
	s_cbranch_vccnz .LBB11_301
; %bb.299:
	s_waitcnt lgkmcnt(0)
	v_mul_hi_u32 v0, s45, v43
	s_andn2_b32 vcc_lo, exec_lo, s57
	v_add_nc_u32_e32 v0, v43, v0
	v_lshrrev_b32_e32 v0, s46, v0
	v_mul_lo_u32 v1, v0, s44
	v_sub_nc_u32_e32 v1, v43, v1
	v_mul_lo_u32 v41, v1, s40
	v_mul_lo_u32 v2, v1, s41
	s_cbranch_vccnz .LBB11_301
; %bb.300:
	v_mul_hi_u32 v1, s48, v0
	v_add_nc_u32_e32 v1, v0, v1
	v_lshrrev_b32_e32 v1, s49, v1
	v_mul_lo_u32 v1, v1, s47
	v_sub_nc_u32_e32 v0, v0, v1
	v_mad_u64_u32 v[41:42], null, v0, s42, v[41:42]
	v_mad_u64_u32 v[2:3], null, v0, s43, v[2:3]
.LBB11_301:
	s_waitcnt lgkmcnt(0)
	v_mov_b32_e32 v0, s38
	v_mov_b32_e32 v1, s39
	;; [unrolled: 1-line block ×3, first 2 shown]
	s_getpc_b64 s[4:5]
	s_add_u32 s4, s4, _ZN2at6native6invokeIZZZNS0_12_GLOBAL__N_119airy_ai_kernel_cudaERNS_18TensorIteratorBaseEENKUlvE_clEvENKUlvE_clEvEUldE_j15function_traitsIS7_EEENT1_11result_typeERKT_PrKPcPKT0_PKN3c1010ScalarTypeEi@rel32@lo+4
	s_addc_u32 s5, s5, _ZN2at6native6invokeIZZZNS0_12_GLOBAL__N_119airy_ai_kernel_cudaERNS_18TensorIteratorBaseEENKUlvE_clEvENKUlvE_clEvEUldE_j15function_traitsIS7_EEENT1_11result_typeERKT_PrKPcPKT0_PKN3c1010ScalarTypeEi@rel32@hi+12
	s_swappc_b64 s[30:31], s[4:5]
	v_add_co_u32 v4, s4, s36, v41
	v_add_co_ci_u32_e64 v5, null, s37, 0, s4
	s_and_b32 s5, s56, 0xff
	s_cmp_lt_i32 s5, 11
	s_cbranch_scc1 .LBB11_308
; %bb.302:
	s_and_b32 s6, 0xffff, s5
	s_cmp_gt_i32 s6, 25
	s_cbranch_scc0 .LBB11_309
; %bb.303:
	s_cmp_gt_i32 s6, 28
	s_cbranch_scc0 .LBB11_310
; %bb.304:
	;; [unrolled: 3-line block ×4, first 2 shown]
	s_mov_b32 s8, 0
	s_mov_b32 s4, -1
	s_cmp_eq_u32 s6, 46
	s_mov_b32 s7, 0
	s_cbranch_scc0 .LBB11_317
; %bb.307:
	v_cvt_f32_f64_e32 v2, v[0:1]
	s_mov_b32 s7, -1
	s_mov_b32 s4, 0
	v_bfe_u32 v3, v2, 16, 1
	v_cmp_o_f32_e32 vcc_lo, v2, v2
	v_add3_u32 v2, v2, v3, 0x7fff
	v_mov_b32_e32 v3, 0x7fc0
	v_cndmask_b32_sdwa v2, v3, v2, vcc_lo dst_sel:DWORD dst_unused:UNUSED_PAD src0_sel:DWORD src1_sel:WORD_1
	global_store_dword v[4:5], v2, off
	s_branch .LBB11_317
.LBB11_308:
	s_mov_b32 s6, -1
	s_mov_b32 s7, 0
	s_mov_b32 s4, s63
	s_branch .LBB11_386
.LBB11_309:
	s_mov_b32 s8, -1
	s_mov_b32 s7, 0
	s_mov_b32 s4, s63
	s_branch .LBB11_344
.LBB11_310:
	s_mov_b32 s8, -1
	s_mov_b32 s7, 0
	s_mov_b32 s4, s63
	s_branch .LBB11_327
.LBB11_311:
	s_andn2_saveexec_b32 s9, s9
	s_cbranch_execz .LBB11_196
.LBB11_312:
	v_add_f32_e64 v3, 0x46000000, |v2|
	s_andn2_b32 s8, s8, exec_lo
	v_and_b32_e32 v3, 0xff, v3
	v_cmp_ne_u32_e32 vcc_lo, 0, v3
	s_and_b32 s10, vcc_lo, exec_lo
	s_or_b32 s8, s8, s10
	s_or_b32 exec_lo, exec_lo, s9
	v_mov_b32_e32 v6, 0
	s_and_saveexec_b32 s9, s8
	s_cbranch_execnz .LBB11_197
	s_branch .LBB11_198
.LBB11_313:
	s_mov_b32 s8, -1
	s_mov_b32 s7, 0
	s_mov_b32 s4, s63
	s_branch .LBB11_323
.LBB11_314:
	s_andn2_saveexec_b32 s9, s9
	s_cbranch_execz .LBB11_209
.LBB11_315:
	v_add_f32_e64 v3, 0x42800000, |v2|
	s_andn2_b32 s8, s8, exec_lo
	v_and_b32_e32 v3, 0xff, v3
	v_cmp_ne_u32_e32 vcc_lo, 0, v3
	s_and_b32 s10, vcc_lo, exec_lo
	s_or_b32 s8, s8, s10
	s_or_b32 exec_lo, exec_lo, s9
	v_mov_b32_e32 v6, 0
	s_and_saveexec_b32 s9, s8
	s_cbranch_execnz .LBB11_210
	s_branch .LBB11_211
.LBB11_316:
	s_mov_b32 s8, -1
	s_mov_b32 s7, 0
	s_mov_b32 s4, s63
.LBB11_317:
	s_and_b32 vcc_lo, exec_lo, s8
	s_cbranch_vccz .LBB11_322
; %bb.318:
	s_cmp_eq_u32 s6, 44
	s_mov_b32 s4, -1
	s_cbranch_scc0 .LBB11_322
; %bb.319:
	v_cvt_f32_f64_e32 v2, v[0:1]
	v_mov_b32_e32 v3, 0xff
	s_mov_b32 s7, exec_lo
	v_bfe_u32 v6, v2, 23, 8
	v_cmpx_ne_u32_e32 0xff, v6
	s_cbranch_execz .LBB11_321
; %bb.320:
	v_and_b32_e32 v3, 0x400000, v2
	v_and_or_b32 v6, 0x3fffff, v2, v6
	v_lshrrev_b32_e32 v2, 23, v2
	v_cmp_ne_u32_e32 vcc_lo, 0, v3
	v_cmp_ne_u32_e64 s4, 0, v6
	s_and_b32 s4, vcc_lo, s4
	v_cndmask_b32_e64 v3, 0, 1, s4
	v_add_nc_u32_e32 v3, v2, v3
.LBB11_321:
	s_or_b32 exec_lo, exec_lo, s7
	s_mov_b32 s7, -1
	s_mov_b32 s4, 0
	global_store_byte v[4:5], v3, off
.LBB11_322:
	s_mov_b32 s8, 0
.LBB11_323:
	s_and_b32 vcc_lo, exec_lo, s8
	s_cbranch_vccz .LBB11_326
; %bb.324:
	s_cmp_eq_u32 s6, 29
	s_mov_b32 s4, -1
	s_cbranch_scc0 .LBB11_326
; %bb.325:
	v_trunc_f64_e32 v[2:3], v[0:1]
	s_mov_b32 s7, -1
	s_mov_b32 s4, 0
	s_mov_b32 s8, 0
	v_ldexp_f64 v[6:7], v[2:3], 0xffffffe0
	v_floor_f64_e32 v[6:7], v[6:7]
	v_fma_f64 v[2:3], 0xc1f00000, v[6:7], v[2:3]
	v_cvt_u32_f64_e32 v7, v[6:7]
	v_cvt_u32_f64_e32 v6, v[2:3]
	global_store_dwordx2 v[4:5], v[6:7], off
	s_branch .LBB11_327
.LBB11_326:
	s_mov_b32 s8, 0
.LBB11_327:
	s_and_b32 vcc_lo, exec_lo, s8
	s_cbranch_vccz .LBB11_343
; %bb.328:
	s_cmp_lt_i32 s6, 27
	s_mov_b32 s7, -1
	s_cbranch_scc1 .LBB11_334
; %bb.329:
	v_cvt_u32_f64_e32 v2, v[0:1]
	s_cmp_gt_i32 s6, 27
	s_cbranch_scc0 .LBB11_331
; %bb.330:
	s_mov_b32 s7, 0
	global_store_dword v[4:5], v2, off
.LBB11_331:
	s_andn2_b32 vcc_lo, exec_lo, s7
	s_cbranch_vccnz .LBB11_333
; %bb.332:
	global_store_short v[4:5], v2, off
.LBB11_333:
	s_mov_b32 s7, 0
.LBB11_334:
	s_andn2_b32 vcc_lo, exec_lo, s7
	s_cbranch_vccnz .LBB11_342
; %bb.335:
	v_cvt_f32_f64_e32 v2, v[0:1]
	v_mov_b32_e32 v6, 0x80
	s_mov_b32 s7, exec_lo
	v_and_b32_e32 v3, 0x7fffffff, v2
	v_cmpx_gt_u32_e32 0x43800000, v3
	s_cbranch_execz .LBB11_341
; %bb.336:
	v_cmp_lt_u32_e32 vcc_lo, 0x3bffffff, v3
	s_mov_b32 s8, 0
                                        ; implicit-def: $vgpr3
	s_and_saveexec_b32 s9, vcc_lo
	s_xor_b32 s9, exec_lo, s9
	s_cbranch_execz .LBB11_454
; %bb.337:
	v_bfe_u32 v3, v2, 20, 1
	s_mov_b32 s8, exec_lo
	v_add3_u32 v3, v2, v3, 0x487ffff
	v_lshrrev_b32_e32 v3, 20, v3
	s_andn2_saveexec_b32 s9, s9
	s_cbranch_execnz .LBB11_455
.LBB11_338:
	s_or_b32 exec_lo, exec_lo, s9
	v_mov_b32_e32 v6, 0
	s_and_saveexec_b32 s9, s8
.LBB11_339:
	v_lshrrev_b32_e32 v2, 24, v2
	v_and_or_b32 v6, 0x80, v2, v3
.LBB11_340:
	s_or_b32 exec_lo, exec_lo, s9
.LBB11_341:
	s_or_b32 exec_lo, exec_lo, s7
	global_store_byte v[4:5], v6, off
.LBB11_342:
	s_mov_b32 s7, -1
.LBB11_343:
	s_mov_b32 s8, 0
.LBB11_344:
	s_and_b32 vcc_lo, exec_lo, s8
	s_cbranch_vccz .LBB11_385
; %bb.345:
	s_cmp_gt_i32 s6, 22
	s_mov_b32 s8, -1
	s_cbranch_scc0 .LBB11_377
; %bb.346:
	s_cmp_lt_i32 s6, 24
	s_mov_b32 s7, -1
	s_cbranch_scc1 .LBB11_366
; %bb.347:
	s_cmp_gt_i32 s6, 24
	s_cbranch_scc0 .LBB11_355
; %bb.348:
	v_cvt_f32_f64_e32 v2, v[0:1]
	v_mov_b32_e32 v6, 0x80
	s_mov_b32 s7, exec_lo
	v_and_b32_e32 v3, 0x7fffffff, v2
	v_cmpx_gt_u32_e32 0x47800000, v3
	s_cbranch_execz .LBB11_354
; %bb.349:
	v_cmp_lt_u32_e32 vcc_lo, 0x37ffffff, v3
	s_mov_b32 s8, 0
                                        ; implicit-def: $vgpr3
	s_and_saveexec_b32 s9, vcc_lo
	s_xor_b32 s9, exec_lo, s9
	s_cbranch_execz .LBB11_456
; %bb.350:
	v_bfe_u32 v3, v2, 21, 1
	s_mov_b32 s8, exec_lo
	v_add3_u32 v3, v2, v3, 0x88fffff
	v_lshrrev_b32_e32 v3, 21, v3
	s_andn2_saveexec_b32 s9, s9
	s_cbranch_execnz .LBB11_457
.LBB11_351:
	s_or_b32 exec_lo, exec_lo, s9
	v_mov_b32_e32 v6, 0
	s_and_saveexec_b32 s9, s8
.LBB11_352:
	v_lshrrev_b32_e32 v2, 24, v2
	v_and_or_b32 v6, 0x80, v2, v3
.LBB11_353:
	s_or_b32 exec_lo, exec_lo, s9
.LBB11_354:
	s_or_b32 exec_lo, exec_lo, s7
	s_mov_b32 s7, 0
	global_store_byte v[4:5], v6, off
.LBB11_355:
	s_and_b32 vcc_lo, exec_lo, s7
	s_cbranch_vccz .LBB11_365
; %bb.356:
	v_cvt_f32_f64_e32 v2, v[0:1]
	s_mov_b32 s7, exec_lo
                                        ; implicit-def: $vgpr3
	v_and_b32_e32 v6, 0x7fffffff, v2
	v_cmpx_gt_u32_e32 0x43f00000, v6
	s_xor_b32 s7, exec_lo, s7
	s_cbranch_execz .LBB11_362
; %bb.357:
	s_mov_b32 s8, exec_lo
                                        ; implicit-def: $vgpr3
	v_cmpx_lt_u32_e32 0x3c7fffff, v6
	s_xor_b32 s8, exec_lo, s8
; %bb.358:
	v_bfe_u32 v3, v2, 20, 1
	v_add3_u32 v3, v2, v3, 0x407ffff
	v_and_b32_e32 v6, 0xff00000, v3
	v_lshrrev_b32_e32 v3, 20, v3
	v_cmp_ne_u32_e32 vcc_lo, 0x7f00000, v6
	v_cndmask_b32_e32 v3, 0x7e, v3, vcc_lo
; %bb.359:
	s_andn2_saveexec_b32 s8, s8
; %bb.360:
	v_add_f32_e64 v3, 0x46800000, |v2|
; %bb.361:
	s_or_b32 exec_lo, exec_lo, s8
                                        ; implicit-def: $vgpr6
.LBB11_362:
	s_andn2_saveexec_b32 s7, s7
; %bb.363:
	v_mov_b32_e32 v3, 0x7f
	v_cmp_lt_u32_e32 vcc_lo, 0x7f800000, v6
	v_cndmask_b32_e32 v3, 0x7e, v3, vcc_lo
; %bb.364:
	s_or_b32 exec_lo, exec_lo, s7
	v_lshrrev_b32_e32 v2, 24, v2
	v_and_or_b32 v2, 0x80, v2, v3
	global_store_byte v[4:5], v2, off
.LBB11_365:
	s_mov_b32 s7, 0
.LBB11_366:
	s_andn2_b32 vcc_lo, exec_lo, s7
	s_cbranch_vccnz .LBB11_376
; %bb.367:
	v_cvt_f32_f64_e32 v2, v[0:1]
	s_mov_b32 s7, exec_lo
                                        ; implicit-def: $vgpr3
	v_and_b32_e32 v6, 0x7fffffff, v2
	v_cmpx_gt_u32_e32 0x47800000, v6
	s_xor_b32 s7, exec_lo, s7
	s_cbranch_execz .LBB11_373
; %bb.368:
	s_mov_b32 s8, exec_lo
                                        ; implicit-def: $vgpr3
	v_cmpx_lt_u32_e32 0x387fffff, v6
	s_xor_b32 s8, exec_lo, s8
; %bb.369:
	v_bfe_u32 v3, v2, 21, 1
	v_add3_u32 v3, v2, v3, 0x80fffff
	v_lshrrev_b32_e32 v3, 21, v3
; %bb.370:
	s_andn2_saveexec_b32 s8, s8
; %bb.371:
	v_add_f32_e64 v3, 0x43000000, |v2|
; %bb.372:
	s_or_b32 exec_lo, exec_lo, s8
                                        ; implicit-def: $vgpr6
.LBB11_373:
	s_andn2_saveexec_b32 s7, s7
; %bb.374:
	v_mov_b32_e32 v3, 0x7f
	v_cmp_lt_u32_e32 vcc_lo, 0x7f800000, v6
	v_cndmask_b32_e32 v3, 0x7c, v3, vcc_lo
; %bb.375:
	s_or_b32 exec_lo, exec_lo, s7
	v_lshrrev_b32_e32 v2, 24, v2
	v_and_or_b32 v2, 0x80, v2, v3
	global_store_byte v[4:5], v2, off
.LBB11_376:
	s_mov_b32 s8, 0
	s_mov_b32 s7, -1
.LBB11_377:
	s_andn2_b32 vcc_lo, exec_lo, s8
	s_cbranch_vccnz .LBB11_385
; %bb.378:
	s_cmp_gt_i32 s6, 14
	s_mov_b32 s8, -1
	s_cbranch_scc0 .LBB11_382
; %bb.379:
	s_cmp_eq_u32 s6, 15
	s_mov_b32 s4, -1
	s_cbranch_scc0 .LBB11_381
; %bb.380:
	v_cvt_f32_f64_e32 v2, v[0:1]
	s_mov_b32 s7, -1
	s_mov_b32 s4, 0
	v_bfe_u32 v3, v2, 16, 1
	v_cmp_o_f32_e32 vcc_lo, v2, v2
	v_add3_u32 v2, v2, v3, 0x7fff
	v_mov_b32_e32 v3, 0x7fc0
	v_cndmask_b32_sdwa v2, v3, v2, vcc_lo dst_sel:DWORD dst_unused:UNUSED_PAD src0_sel:DWORD src1_sel:WORD_1
	global_store_short v[4:5], v2, off
.LBB11_381:
	s_mov_b32 s8, 0
.LBB11_382:
	s_and_b32 vcc_lo, exec_lo, s8
	s_cbranch_vccz .LBB11_385
; %bb.383:
	s_cmp_eq_u32 s6, 11
	s_mov_b32 s4, -1
	s_cbranch_scc0 .LBB11_385
; %bb.384:
	v_cmp_neq_f64_e32 vcc_lo, 0, v[0:1]
	s_mov_b32 s7, -1
	s_mov_b32 s4, 0
	v_cndmask_b32_e64 v2, 0, 1, vcc_lo
	global_store_byte v[4:5], v2, off
.LBB11_385:
	s_mov_b32 s6, 0
.LBB11_386:
	s_and_b32 vcc_lo, exec_lo, s6
	s_cbranch_vccz .LBB11_425
; %bb.387:
	s_and_b32 s5, 0xffff, s5
	s_mov_b32 s6, -1
	s_cmp_lt_i32 s5, 5
	s_cbranch_scc1 .LBB11_408
; %bb.388:
	s_cmp_lt_i32 s5, 8
	s_cbranch_scc1 .LBB11_398
; %bb.389:
	;; [unrolled: 3-line block ×3, first 2 shown]
	s_cmp_gt_i32 s5, 9
	s_cbranch_scc0 .LBB11_392
; %bb.391:
	v_mov_b32_e32 v2, 0
	s_mov_b32 s6, 0
	v_mov_b32_e32 v3, v2
	global_store_dwordx4 v[4:5], v[0:3], off
.LBB11_392:
	s_andn2_b32 vcc_lo, exec_lo, s6
	s_cbranch_vccnz .LBB11_394
; %bb.393:
	v_cvt_f32_f64_e32 v2, v[0:1]
	v_mov_b32_e32 v3, 0
	global_store_dwordx2 v[4:5], v[2:3], off
.LBB11_394:
	s_mov_b32 s6, 0
.LBB11_395:
	s_andn2_b32 vcc_lo, exec_lo, s6
	s_cbranch_vccnz .LBB11_397
; %bb.396:
	v_and_or_b32 v2, 0x1ff, v1, v0
	v_lshrrev_b32_e32 v3, 8, v1
	v_bfe_u32 v6, v1, 20, 11
	v_cmp_ne_u32_e32 vcc_lo, 0, v2
	v_sub_nc_u32_e32 v7, 0x3f1, v6
	v_add_nc_u32_e32 v6, 0xfffffc10, v6
	v_cndmask_b32_e64 v2, 0, 1, vcc_lo
	v_and_or_b32 v2, 0xffe, v3, v2
	v_med3_i32 v3, v7, 0, 13
	v_or_b32_e32 v7, 0x1000, v2
	v_lshrrev_b32_e32 v8, v3, v7
	v_lshlrev_b32_e32 v3, v3, v8
	v_cmp_ne_u32_e32 vcc_lo, v3, v7
	v_lshl_or_b32 v7, v6, 12, v2
	v_cndmask_b32_e64 v3, 0, 1, vcc_lo
	v_cmp_gt_i32_e32 vcc_lo, 1, v6
	v_or_b32_e32 v3, v8, v3
	v_cndmask_b32_e32 v3, v7, v3, vcc_lo
	v_and_b32_e32 v7, 7, v3
	v_lshrrev_b32_e32 v3, 2, v3
	v_cmp_lt_i32_e32 vcc_lo, 5, v7
	v_cndmask_b32_e64 v8, 0, 1, vcc_lo
	v_cmp_eq_u32_e32 vcc_lo, 3, v7
	v_cndmask_b32_e64 v7, 0, 1, vcc_lo
	v_cmp_ne_u32_e32 vcc_lo, 0, v2
	v_or_b32_e32 v7, v7, v8
	v_mov_b32_e32 v8, 0x7e00
	v_add_nc_u32_e32 v3, v3, v7
	v_cndmask_b32_e32 v2, 0x7c00, v8, vcc_lo
	v_cmp_gt_i32_e32 vcc_lo, 31, v6
	v_cndmask_b32_e32 v3, 0x7c00, v3, vcc_lo
	v_cmp_eq_u32_e32 vcc_lo, 0x40f, v6
	v_cndmask_b32_e32 v2, v3, v2, vcc_lo
	v_lshrrev_b32_e32 v3, 16, v1
	v_and_or_b32 v2, 0x8000, v3, v2
	v_and_b32_e32 v2, 0xffff, v2
	global_store_dword v[4:5], v2, off
.LBB11_397:
	s_mov_b32 s6, 0
.LBB11_398:
	s_andn2_b32 vcc_lo, exec_lo, s6
	s_cbranch_vccnz .LBB11_407
; %bb.399:
	s_cmp_lt_i32 s5, 6
	s_mov_b32 s6, -1
	s_cbranch_scc1 .LBB11_405
; %bb.400:
	s_cmp_gt_i32 s5, 6
	s_cbranch_scc0 .LBB11_402
; %bb.401:
	s_mov_b32 s6, 0
	global_store_dwordx2 v[4:5], v[0:1], off
.LBB11_402:
	s_andn2_b32 vcc_lo, exec_lo, s6
	s_cbranch_vccnz .LBB11_404
; %bb.403:
	v_cvt_f32_f64_e32 v2, v[0:1]
	global_store_dword v[4:5], v2, off
.LBB11_404:
	s_mov_b32 s6, 0
.LBB11_405:
	s_andn2_b32 vcc_lo, exec_lo, s6
	s_cbranch_vccnz .LBB11_407
; %bb.406:
	v_and_or_b32 v2, 0x1ff, v1, v0
	v_lshrrev_b32_e32 v3, 8, v1
	v_bfe_u32 v6, v1, 20, 11
	v_cmp_ne_u32_e32 vcc_lo, 0, v2
	v_sub_nc_u32_e32 v7, 0x3f1, v6
	v_add_nc_u32_e32 v6, 0xfffffc10, v6
	v_cndmask_b32_e64 v2, 0, 1, vcc_lo
	v_and_or_b32 v2, 0xffe, v3, v2
	v_med3_i32 v3, v7, 0, 13
	v_or_b32_e32 v7, 0x1000, v2
	v_lshrrev_b32_e32 v8, v3, v7
	v_lshlrev_b32_e32 v3, v3, v8
	v_cmp_ne_u32_e32 vcc_lo, v3, v7
	v_lshl_or_b32 v7, v6, 12, v2
	v_cndmask_b32_e64 v3, 0, 1, vcc_lo
	v_cmp_gt_i32_e32 vcc_lo, 1, v6
	v_or_b32_e32 v3, v8, v3
	v_cndmask_b32_e32 v3, v7, v3, vcc_lo
	v_and_b32_e32 v7, 7, v3
	v_lshrrev_b32_e32 v3, 2, v3
	v_cmp_lt_i32_e32 vcc_lo, 5, v7
	v_cndmask_b32_e64 v8, 0, 1, vcc_lo
	v_cmp_eq_u32_e32 vcc_lo, 3, v7
	v_cndmask_b32_e64 v7, 0, 1, vcc_lo
	v_cmp_ne_u32_e32 vcc_lo, 0, v2
	v_or_b32_e32 v7, v7, v8
	v_mov_b32_e32 v8, 0x7e00
	v_add_nc_u32_e32 v3, v3, v7
	v_cndmask_b32_e32 v2, 0x7c00, v8, vcc_lo
	v_cmp_gt_i32_e32 vcc_lo, 31, v6
	v_cndmask_b32_e32 v3, 0x7c00, v3, vcc_lo
	v_cmp_eq_u32_e32 vcc_lo, 0x40f, v6
	v_cndmask_b32_e32 v2, v3, v2, vcc_lo
	v_lshrrev_b32_e32 v3, 16, v1
	v_and_or_b32 v2, 0x8000, v3, v2
	global_store_short v[4:5], v2, off
.LBB11_407:
	s_mov_b32 s6, 0
.LBB11_408:
	s_andn2_b32 vcc_lo, exec_lo, s6
	s_cbranch_vccnz .LBB11_424
; %bb.409:
	s_cmp_lt_i32 s5, 2
	s_mov_b32 s6, -1
	s_cbranch_scc1 .LBB11_419
; %bb.410:
	s_cmp_lt_i32 s5, 3
	s_cbranch_scc1 .LBB11_416
; %bb.411:
	s_cmp_gt_i32 s5, 3
	s_cbranch_scc0 .LBB11_413
; %bb.412:
	v_trunc_f64_e32 v[2:3], v[0:1]
	s_mov_b32 s6, 0
	v_ldexp_f64 v[6:7], v[2:3], 0xffffffe0
	v_floor_f64_e32 v[6:7], v[6:7]
	v_fma_f64 v[2:3], 0xc1f00000, v[6:7], v[2:3]
	v_cvt_i32_f64_e32 v7, v[6:7]
	v_cvt_u32_f64_e32 v6, v[2:3]
	global_store_dwordx2 v[4:5], v[6:7], off
.LBB11_413:
	s_andn2_b32 vcc_lo, exec_lo, s6
	s_cbranch_vccnz .LBB11_415
; %bb.414:
	v_cvt_i32_f64_e32 v2, v[0:1]
	global_store_dword v[4:5], v2, off
.LBB11_415:
	s_mov_b32 s6, 0
.LBB11_416:
	s_andn2_b32 vcc_lo, exec_lo, s6
	s_cbranch_vccnz .LBB11_418
; %bb.417:
	v_cvt_i32_f64_e32 v2, v[0:1]
	global_store_short v[4:5], v2, off
.LBB11_418:
	s_mov_b32 s6, 0
.LBB11_419:
	s_andn2_b32 vcc_lo, exec_lo, s6
	s_cbranch_vccnz .LBB11_424
; %bb.420:
	s_cmp_gt_i32 s5, 0
	s_mov_b32 s5, -1
	s_cbranch_scc0 .LBB11_422
; %bb.421:
	v_cvt_i32_f64_e32 v2, v[0:1]
	s_mov_b32 s5, 0
	global_store_byte v[4:5], v2, off
.LBB11_422:
	s_andn2_b32 vcc_lo, exec_lo, s5
	s_cbranch_vccnz .LBB11_424
; %bb.423:
	v_trunc_f64_e32 v[0:1], v[0:1]
	v_ldexp_f64 v[2:3], v[0:1], 0xffffffe0
	v_floor_f64_e32 v[2:3], v[2:3]
	v_fma_f64 v[0:1], 0xc1f00000, v[2:3], v[0:1]
	v_cvt_u32_f64_e32 v0, v[0:1]
	global_store_byte v[4:5], v0, off
.LBB11_424:
	s_mov_b32 s7, -1
.LBB11_425:
	s_andn2_b32 vcc_lo, exec_lo, s7
	s_cbranch_vccnz .LBB11_427
; %bb.426:
	v_add_nc_u32_e32 v43, 0x80, v43
	s_mov_b32 s5, -1
	s_branch .LBB11_428
.LBB11_427:
	s_mov_b32 s5, 0
                                        ; implicit-def: $vgpr43
.LBB11_428:
	s_andn2_b32 s6, s63, exec_lo
	s_and_b32 s4, s4, exec_lo
	s_orn2_b32 s7, s5, exec_lo
	s_or_b32 s66, s6, s4
.LBB11_429:
	s_or_b32 exec_lo, exec_lo, s65
	s_mov_b32 s4, 0
	s_mov_b32 s6, 0
                                        ; implicit-def: $sgpr5
                                        ; implicit-def: $vgpr4_vgpr5
                                        ; implicit-def: $vgpr0_vgpr1
	s_and_saveexec_b32 s65, s7
	s_cbranch_execz .LBB11_528
; %bb.430:
	v_cmp_gt_i32_e32 vcc_lo, s58, v43
	s_mov_b32 s7, s66
                                        ; implicit-def: $sgpr5
                                        ; implicit-def: $vgpr4_vgpr5
                                        ; implicit-def: $vgpr0_vgpr1
	s_and_saveexec_b32 s58, vcc_lo
	s_cbranch_execz .LBB11_527
; %bb.431:
	s_andn2_b32 vcc_lo, exec_lo, s54
	s_cbranch_vccnz .LBB11_436
; %bb.432:
	s_andn2_b32 vcc_lo, exec_lo, s60
	s_cbranch_vccnz .LBB11_437
; %bb.433:
	s_add_i32 s59, s59, 1
	s_cmp_eq_u32 s52, 2
	s_cbranch_scc1 .LBB11_438
; %bb.434:
	v_mov_b32_e32 v2, 0
	v_mov_b32_e32 v41, 0
	;; [unrolled: 1-line block ×3, first 2 shown]
	s_and_b32 s6, s59, 28
	s_mov_b32 s7, 0
	s_mov_b64 s[4:5], s[34:35]
.LBB11_435:                             ; =>This Inner Loop Header: Depth=1
	s_clause 0x1
	s_load_dwordx8 s[8:15], s[4:5], 0x4
	s_load_dwordx4 s[24:27], s[4:5], 0x24
	s_load_dwordx8 s[16:23], s[50:51], 0x0
	s_add_u32 s4, s4, 48
	s_addc_u32 s5, s5, 0
	s_add_i32 s7, s7, 4
	s_add_u32 s50, s50, 32
	s_addc_u32 s51, s51, 0
	s_cmp_eq_u32 s6, s7
	s_waitcnt lgkmcnt(0)
	v_mul_hi_u32 v1, s9, v0
	v_add_nc_u32_e32 v1, v0, v1
	v_lshrrev_b32_e32 v1, s10, v1
	v_mul_hi_u32 v3, s12, v1
	v_mul_lo_u32 v5, v1, s8
	v_add_nc_u32_e32 v3, v1, v3
	v_sub_nc_u32_e32 v0, v0, v5
	v_lshrrev_b32_e32 v3, s13, v3
	v_mul_lo_u32 v5, v0, s16
	v_mul_lo_u32 v7, v0, s17
	v_mul_hi_u32 v4, s15, v3
	v_add_nc_u32_e32 v4, v3, v4
	v_lshrrev_b32_e32 v4, s24, v4
	v_mul_hi_u32 v6, s26, v4
	v_mul_lo_u32 v8, v4, s14
	v_add_nc_u32_e32 v0, v4, v6
	v_mul_lo_u32 v6, v3, s11
	v_sub_nc_u32_e32 v3, v3, v8
	v_lshrrev_b32_e32 v0, s27, v0
	v_mul_lo_u32 v8, v3, s20
	v_mul_lo_u32 v3, v3, s21
	v_sub_nc_u32_e32 v1, v1, v6
	v_mul_lo_u32 v9, v0, s25
	v_mul_lo_u32 v6, v1, s18
	;; [unrolled: 1-line block ×3, first 2 shown]
	v_sub_nc_u32_e32 v4, v4, v9
	v_add3_u32 v5, v5, v41, v6
	v_mul_lo_u32 v9, v4, s22
	v_mul_lo_u32 v4, v4, s23
	v_add3_u32 v1, v7, v2, v1
	v_add3_u32 v41, v8, v5, v9
	v_add3_u32 v2, v3, v1, v4
	s_cbranch_scc0 .LBB11_435
	s_branch .LBB11_439
.LBB11_436:
	s_mov_b32 s4, -1
                                        ; implicit-def: $vgpr41
                                        ; implicit-def: $vgpr2
	s_branch .LBB11_443
.LBB11_437:
	v_mov_b32_e32 v41, 0
	v_mov_b32_e32 v2, 0
	s_branch .LBB11_442
.LBB11_438:
	v_mov_b32_e32 v41, 0
	v_mov_b32_e32 v2, 0
	;; [unrolled: 1-line block ×3, first 2 shown]
.LBB11_439:
	s_and_b32 s8, s59, 3
	s_cmp_eq_u32 s8, 0
	s_cbranch_scc1 .LBB11_442
; %bb.440:
	s_lshl_b32 s4, s6, 3
	s_mul_i32 s6, s6, 12
	s_add_u32 s4, s34, s4
	s_addc_u32 s5, s35, 0
	s_add_u32 s4, s4, 0xc4
	s_addc_u32 s5, s5, 0
	;; [unrolled: 2-line block ×3, first 2 shown]
.LBB11_441:                             ; =>This Inner Loop Header: Depth=1
	s_clause 0x1
	s_load_dwordx2 s[10:11], s[6:7], 0x4
	s_load_dword s9, s[6:7], 0xc
	s_load_dwordx2 s[12:13], s[4:5], 0x0
	s_add_u32 s6, s6, 12
	s_addc_u32 s7, s7, 0
	s_add_u32 s4, s4, 8
	s_addc_u32 s5, s5, 0
	s_add_i32 s8, s8, -1
	s_cmp_lg_u32 s8, 0
	s_waitcnt lgkmcnt(0)
	v_mul_hi_u32 v1, s11, v0
	v_add_nc_u32_e32 v1, v0, v1
	v_lshrrev_b32_e32 v1, s9, v1
	v_mul_lo_u32 v3, v1, s10
	v_sub_nc_u32_e32 v0, v0, v3
	v_mad_u64_u32 v[41:42], null, v0, s12, v[41:42]
	v_mad_u64_u32 v[2:3], null, v0, s13, v[2:3]
	v_mov_b32_e32 v0, v1
	s_cbranch_scc1 .LBB11_441
.LBB11_442:
	s_mov_b32 s4, 0
.LBB11_443:
	s_andn2_b32 vcc_lo, exec_lo, s4
	s_cbranch_vccnz .LBB11_446
; %bb.444:
	s_waitcnt lgkmcnt(0)
	v_mul_hi_u32 v0, s45, v43
	s_andn2_b32 vcc_lo, exec_lo, s57
	v_add_nc_u32_e32 v0, v43, v0
	v_lshrrev_b32_e32 v0, s46, v0
	v_mul_lo_u32 v1, v0, s44
	v_sub_nc_u32_e32 v1, v43, v1
	v_mul_lo_u32 v41, v1, s40
	v_mul_lo_u32 v2, v1, s41
	s_cbranch_vccnz .LBB11_446
; %bb.445:
	v_mul_hi_u32 v1, s48, v0
	v_add_nc_u32_e32 v1, v0, v1
	v_lshrrev_b32_e32 v1, s49, v1
	v_mul_lo_u32 v1, v1, s47
	v_sub_nc_u32_e32 v0, v0, v1
	v_mad_u64_u32 v[41:42], null, v0, s42, v[41:42]
	v_mad_u64_u32 v[2:3], null, v0, s43, v[2:3]
.LBB11_446:
	s_waitcnt lgkmcnt(0)
	v_mov_b32_e32 v0, s38
	v_mov_b32_e32 v1, s39
	;; [unrolled: 1-line block ×3, first 2 shown]
	s_getpc_b64 s[4:5]
	s_add_u32 s4, s4, _ZN2at6native6invokeIZZZNS0_12_GLOBAL__N_119airy_ai_kernel_cudaERNS_18TensorIteratorBaseEENKUlvE_clEvENKUlvE_clEvEUldE_j15function_traitsIS7_EEENT1_11result_typeERKT_PrKPcPKT0_PKN3c1010ScalarTypeEi@rel32@lo+4
	s_addc_u32 s5, s5, _ZN2at6native6invokeIZZZNS0_12_GLOBAL__N_119airy_ai_kernel_cudaERNS_18TensorIteratorBaseEENKUlvE_clEvENKUlvE_clEvEUldE_j15function_traitsIS7_EEENT1_11result_typeERKT_PrKPcPKT0_PKN3c1010ScalarTypeEi@rel32@hi+12
	s_swappc_b64 s[30:31], s[4:5]
	v_add_co_u32 v4, s4, s36, v41
	v_add_co_ci_u32_e64 v5, null, s37, 0, s4
	s_and_b32 s5, s56, 0xff
	s_cmp_lt_i32 s5, 11
	s_cbranch_scc1 .LBB11_453
; %bb.447:
	s_and_b32 s6, 0xffff, s5
	s_mov_b32 s7, -1
	s_cmp_gt_i32 s6, 25
	s_mov_b32 s4, s66
	s_cbranch_scc0 .LBB11_485
; %bb.448:
	s_cmp_gt_i32 s6, 28
	s_mov_b32 s4, s66
	s_cbranch_scc0 .LBB11_469
; %bb.449:
	;; [unrolled: 4-line block ×4, first 2 shown]
	s_cmp_eq_u32 s6, 46
	s_mov_b32 s4, -1
	s_cbranch_scc0 .LBB11_458
; %bb.452:
	v_cvt_f32_f64_e32 v2, v[0:1]
	s_mov_b32 s4, 0
	s_mov_b32 s7, 0
	v_bfe_u32 v3, v2, 16, 1
	v_cmp_o_f32_e32 vcc_lo, v2, v2
	v_add3_u32 v2, v2, v3, 0x7fff
	v_mov_b32_e32 v3, 0x7fc0
	v_cndmask_b32_sdwa v2, v3, v2, vcc_lo dst_sel:DWORD dst_unused:UNUSED_PAD src0_sel:DWORD src1_sel:WORD_1
	global_store_dword v[4:5], v2, off
	s_branch .LBB11_459
.LBB11_453:
	s_mov_b32 s8, 0
	s_mov_b32 s7, -1
	s_mov_b32 s4, s66
	s_branch .LBB11_526
.LBB11_454:
	s_andn2_saveexec_b32 s9, s9
	s_cbranch_execz .LBB11_338
.LBB11_455:
	v_add_f32_e64 v3, 0x46000000, |v2|
	s_andn2_b32 s8, s8, exec_lo
	v_and_b32_e32 v3, 0xff, v3
	v_cmp_ne_u32_e32 vcc_lo, 0, v3
	s_and_b32 s10, vcc_lo, exec_lo
	s_or_b32 s8, s8, s10
	s_or_b32 exec_lo, exec_lo, s9
	v_mov_b32_e32 v6, 0
	s_and_saveexec_b32 s9, s8
	s_cbranch_execnz .LBB11_339
	s_branch .LBB11_340
.LBB11_456:
	s_andn2_saveexec_b32 s9, s9
	s_cbranch_execz .LBB11_351
.LBB11_457:
	v_add_f32_e64 v3, 0x42800000, |v2|
	s_andn2_b32 s8, s8, exec_lo
	v_and_b32_e32 v3, 0xff, v3
	v_cmp_ne_u32_e32 vcc_lo, 0, v3
	s_and_b32 s10, vcc_lo, exec_lo
	s_or_b32 s8, s8, s10
	s_or_b32 exec_lo, exec_lo, s9
	v_mov_b32_e32 v6, 0
	s_and_saveexec_b32 s9, s8
	s_cbranch_execnz .LBB11_352
	s_branch .LBB11_353
.LBB11_458:
	s_mov_b32 s7, 0
.LBB11_459:
	s_and_b32 vcc_lo, exec_lo, s7
	s_cbranch_vccz .LBB11_464
; %bb.460:
	s_cmp_eq_u32 s6, 44
	s_mov_b32 s4, -1
	s_cbranch_scc0 .LBB11_464
; %bb.461:
	v_cvt_f32_f64_e32 v2, v[0:1]
	v_mov_b32_e32 v3, 0xff
	s_mov_b32 s7, exec_lo
	v_bfe_u32 v6, v2, 23, 8
	v_cmpx_ne_u32_e32 0xff, v6
	s_cbranch_execz .LBB11_463
; %bb.462:
	v_and_b32_e32 v3, 0x400000, v2
	v_and_or_b32 v6, 0x3fffff, v2, v6
	v_lshrrev_b32_e32 v2, 23, v2
	v_cmp_ne_u32_e32 vcc_lo, 0, v3
	v_cmp_ne_u32_e64 s4, 0, v6
	s_and_b32 s4, vcc_lo, s4
	v_cndmask_b32_e64 v3, 0, 1, s4
	v_add_nc_u32_e32 v3, v2, v3
.LBB11_463:
	s_or_b32 exec_lo, exec_lo, s7
	s_mov_b32 s4, 0
	global_store_byte v[4:5], v3, off
.LBB11_464:
	s_mov_b32 s7, 0
.LBB11_465:
	s_and_b32 vcc_lo, exec_lo, s7
	s_cbranch_vccz .LBB11_468
; %bb.466:
	s_cmp_eq_u32 s6, 29
	s_mov_b32 s4, -1
	s_cbranch_scc0 .LBB11_468
; %bb.467:
	v_trunc_f64_e32 v[2:3], v[0:1]
	s_mov_b32 s4, 0
	s_mov_b32 s7, 0
	v_ldexp_f64 v[6:7], v[2:3], 0xffffffe0
	v_floor_f64_e32 v[6:7], v[6:7]
	v_fma_f64 v[2:3], 0xc1f00000, v[6:7], v[2:3]
	v_cvt_u32_f64_e32 v7, v[6:7]
	v_cvt_u32_f64_e32 v6, v[2:3]
	global_store_dwordx2 v[4:5], v[6:7], off
	s_branch .LBB11_469
.LBB11_468:
	s_mov_b32 s7, 0
.LBB11_469:
	s_and_b32 vcc_lo, exec_lo, s7
	s_cbranch_vccz .LBB11_484
; %bb.470:
	s_cmp_lt_i32 s6, 27
	s_mov_b32 s7, -1
	s_cbranch_scc1 .LBB11_476
; %bb.471:
	v_cvt_u32_f64_e32 v2, v[0:1]
	s_cmp_gt_i32 s6, 27
	s_cbranch_scc0 .LBB11_473
; %bb.472:
	s_mov_b32 s7, 0
	global_store_dword v[4:5], v2, off
.LBB11_473:
	s_andn2_b32 vcc_lo, exec_lo, s7
	s_cbranch_vccnz .LBB11_475
; %bb.474:
	global_store_short v[4:5], v2, off
.LBB11_475:
	s_mov_b32 s7, 0
.LBB11_476:
	s_andn2_b32 vcc_lo, exec_lo, s7
	s_cbranch_vccnz .LBB11_484
; %bb.477:
	v_cvt_f32_f64_e32 v2, v[0:1]
	v_mov_b32_e32 v6, 0x80
	s_mov_b32 s7, exec_lo
	v_and_b32_e32 v3, 0x7fffffff, v2
	v_cmpx_gt_u32_e32 0x43800000, v3
	s_cbranch_execz .LBB11_483
; %bb.478:
	v_cmp_lt_u32_e32 vcc_lo, 0x3bffffff, v3
	s_mov_b32 s8, 0
                                        ; implicit-def: $vgpr3
	s_and_saveexec_b32 s9, vcc_lo
	s_xor_b32 s9, exec_lo, s9
	s_cbranch_execz .LBB11_1121
; %bb.479:
	v_bfe_u32 v3, v2, 20, 1
	s_mov_b32 s8, exec_lo
	v_add3_u32 v3, v2, v3, 0x487ffff
	v_lshrrev_b32_e32 v3, 20, v3
	s_andn2_saveexec_b32 s9, s9
	s_cbranch_execnz .LBB11_1122
.LBB11_480:
	s_or_b32 exec_lo, exec_lo, s9
	v_mov_b32_e32 v6, 0
	s_and_saveexec_b32 s9, s8
.LBB11_481:
	v_lshrrev_b32_e32 v2, 24, v2
	v_and_or_b32 v6, 0x80, v2, v3
.LBB11_482:
	s_or_b32 exec_lo, exec_lo, s9
.LBB11_483:
	s_or_b32 exec_lo, exec_lo, s7
	global_store_byte v[4:5], v6, off
.LBB11_484:
	s_mov_b32 s7, 0
.LBB11_485:
	s_and_b32 vcc_lo, exec_lo, s7
	s_mov_b32 s7, 0
	s_cbranch_vccz .LBB11_525
; %bb.486:
	s_cmp_gt_i32 s6, 22
	s_mov_b32 s8, -1
	s_cbranch_scc0 .LBB11_518
; %bb.487:
	s_cmp_lt_i32 s6, 24
	s_cbranch_scc1 .LBB11_507
; %bb.488:
	s_cmp_gt_i32 s6, 24
	s_cbranch_scc0 .LBB11_496
; %bb.489:
	v_cvt_f32_f64_e32 v2, v[0:1]
	v_mov_b32_e32 v6, 0x80
	s_mov_b32 s8, exec_lo
	v_and_b32_e32 v3, 0x7fffffff, v2
	v_cmpx_gt_u32_e32 0x47800000, v3
	s_cbranch_execz .LBB11_495
; %bb.490:
	v_cmp_lt_u32_e32 vcc_lo, 0x37ffffff, v3
	s_mov_b32 s9, 0
                                        ; implicit-def: $vgpr3
	s_and_saveexec_b32 s10, vcc_lo
	s_xor_b32 s10, exec_lo, s10
	s_cbranch_execz .LBB11_1125
; %bb.491:
	v_bfe_u32 v3, v2, 21, 1
	s_mov_b32 s9, exec_lo
	v_add3_u32 v3, v2, v3, 0x88fffff
	v_lshrrev_b32_e32 v3, 21, v3
	s_andn2_saveexec_b32 s10, s10
	s_cbranch_execnz .LBB11_1126
.LBB11_492:
	s_or_b32 exec_lo, exec_lo, s10
	v_mov_b32_e32 v6, 0
	s_and_saveexec_b32 s10, s9
.LBB11_493:
	v_lshrrev_b32_e32 v2, 24, v2
	v_and_or_b32 v6, 0x80, v2, v3
.LBB11_494:
	s_or_b32 exec_lo, exec_lo, s10
.LBB11_495:
	s_or_b32 exec_lo, exec_lo, s8
	s_mov_b32 s8, 0
	global_store_byte v[4:5], v6, off
.LBB11_496:
	s_and_b32 vcc_lo, exec_lo, s8
	s_cbranch_vccz .LBB11_506
; %bb.497:
	v_cvt_f32_f64_e32 v2, v[0:1]
	s_mov_b32 s8, exec_lo
                                        ; implicit-def: $vgpr3
	v_and_b32_e32 v6, 0x7fffffff, v2
	v_cmpx_gt_u32_e32 0x43f00000, v6
	s_xor_b32 s8, exec_lo, s8
	s_cbranch_execz .LBB11_503
; %bb.498:
	s_mov_b32 s9, exec_lo
                                        ; implicit-def: $vgpr3
	v_cmpx_lt_u32_e32 0x3c7fffff, v6
	s_xor_b32 s9, exec_lo, s9
; %bb.499:
	v_bfe_u32 v3, v2, 20, 1
	v_add3_u32 v3, v2, v3, 0x407ffff
	v_and_b32_e32 v6, 0xff00000, v3
	v_lshrrev_b32_e32 v3, 20, v3
	v_cmp_ne_u32_e32 vcc_lo, 0x7f00000, v6
	v_cndmask_b32_e32 v3, 0x7e, v3, vcc_lo
; %bb.500:
	s_andn2_saveexec_b32 s9, s9
; %bb.501:
	v_add_f32_e64 v3, 0x46800000, |v2|
; %bb.502:
	s_or_b32 exec_lo, exec_lo, s9
                                        ; implicit-def: $vgpr6
.LBB11_503:
	s_andn2_saveexec_b32 s8, s8
; %bb.504:
	v_mov_b32_e32 v3, 0x7f
	v_cmp_lt_u32_e32 vcc_lo, 0x7f800000, v6
	v_cndmask_b32_e32 v3, 0x7e, v3, vcc_lo
; %bb.505:
	s_or_b32 exec_lo, exec_lo, s8
	v_lshrrev_b32_e32 v2, 24, v2
	v_and_or_b32 v2, 0x80, v2, v3
	global_store_byte v[4:5], v2, off
.LBB11_506:
	s_mov_b32 s8, 0
.LBB11_507:
	s_andn2_b32 vcc_lo, exec_lo, s8
	s_cbranch_vccnz .LBB11_517
; %bb.508:
	v_cvt_f32_f64_e32 v2, v[0:1]
	s_mov_b32 s8, exec_lo
                                        ; implicit-def: $vgpr3
	v_and_b32_e32 v6, 0x7fffffff, v2
	v_cmpx_gt_u32_e32 0x47800000, v6
	s_xor_b32 s8, exec_lo, s8
	s_cbranch_execz .LBB11_514
; %bb.509:
	s_mov_b32 s9, exec_lo
                                        ; implicit-def: $vgpr3
	v_cmpx_lt_u32_e32 0x387fffff, v6
	s_xor_b32 s9, exec_lo, s9
; %bb.510:
	v_bfe_u32 v3, v2, 21, 1
	v_add3_u32 v3, v2, v3, 0x80fffff
	v_lshrrev_b32_e32 v3, 21, v3
; %bb.511:
	s_andn2_saveexec_b32 s9, s9
; %bb.512:
	v_add_f32_e64 v3, 0x43000000, |v2|
; %bb.513:
	s_or_b32 exec_lo, exec_lo, s9
                                        ; implicit-def: $vgpr6
.LBB11_514:
	s_andn2_saveexec_b32 s8, s8
; %bb.515:
	v_mov_b32_e32 v3, 0x7f
	v_cmp_lt_u32_e32 vcc_lo, 0x7f800000, v6
	v_cndmask_b32_e32 v3, 0x7c, v3, vcc_lo
; %bb.516:
	s_or_b32 exec_lo, exec_lo, s8
	v_lshrrev_b32_e32 v2, 24, v2
	v_and_or_b32 v2, 0x80, v2, v3
	global_store_byte v[4:5], v2, off
.LBB11_517:
	s_mov_b32 s8, 0
.LBB11_518:
	s_andn2_b32 vcc_lo, exec_lo, s8
	s_mov_b32 s8, 0
	s_cbranch_vccnz .LBB11_526
; %bb.519:
	s_cmp_gt_i32 s6, 14
	s_mov_b32 s8, -1
	s_cbranch_scc0 .LBB11_523
; %bb.520:
	s_cmp_eq_u32 s6, 15
	s_mov_b32 s4, -1
	s_cbranch_scc0 .LBB11_522
; %bb.521:
	v_cvt_f32_f64_e32 v2, v[0:1]
	s_mov_b32 s4, 0
	v_bfe_u32 v3, v2, 16, 1
	v_cmp_o_f32_e32 vcc_lo, v2, v2
	v_add3_u32 v2, v2, v3, 0x7fff
	v_mov_b32_e32 v3, 0x7fc0
	v_cndmask_b32_sdwa v2, v3, v2, vcc_lo dst_sel:DWORD dst_unused:UNUSED_PAD src0_sel:DWORD src1_sel:WORD_1
	global_store_short v[4:5], v2, off
.LBB11_522:
	s_mov_b32 s8, 0
.LBB11_523:
	s_and_b32 vcc_lo, exec_lo, s8
	s_mov_b32 s8, 0
	s_cbranch_vccz .LBB11_526
; %bb.524:
	s_cmp_lg_u32 s6, 11
	s_mov_b32 s8, -1
	s_cselect_b32 s6, -1, 0
	s_andn2_b32 s4, s4, exec_lo
	s_and_b32 s6, s6, exec_lo
	s_or_b32 s4, s4, s6
	s_branch .LBB11_526
.LBB11_525:
	s_mov_b32 s8, 0
.LBB11_526:
	s_and_b32 s6, s7, exec_lo
	s_andn2_b32 s7, s66, exec_lo
	s_and_b32 s9, s4, exec_lo
	s_and_b32 s4, s8, exec_lo
	s_or_b32 s7, s7, s9
.LBB11_527:
	s_or_b32 exec_lo, exec_lo, s58
	s_andn2_b32 s8, s66, exec_lo
	s_and_b32 s7, s7, exec_lo
	s_and_b32 s6, s6, exec_lo
	;; [unrolled: 1-line block ×3, first 2 shown]
	s_or_b32 s66, s8, s7
.LBB11_528:
	s_or_b32 exec_lo, exec_lo, s65
	s_andn2_b32 s7, s63, exec_lo
	s_and_b32 s8, s66, exec_lo
	s_and_b32 s6, s6, exec_lo
	;; [unrolled: 1-line block ×3, first 2 shown]
	s_or_b32 s63, s7, s8
.LBB11_529:
	s_or_b32 exec_lo, exec_lo, s64
	s_andn2_b32 s7, s61, exec_lo
	s_and_b32 s8, s63, exec_lo
	s_and_b32 s6, s6, exec_lo
	;; [unrolled: 1-line block ×3, first 2 shown]
	s_or_b32 s61, s7, s8
	s_or_b32 exec_lo, exec_lo, s62
	s_mov_b32 s4, 0
	s_and_saveexec_b32 s7, s61
	s_cbranch_execz .LBB11_146
.LBB11_530:
	s_mov_b32 s4, exec_lo
	s_andn2_b32 s63, s63, exec_lo
	s_trap 2
	s_or_b32 exec_lo, exec_lo, s7
	s_and_saveexec_b32 s7, s63
	s_xor_b32 s7, exec_lo, s7
	s_cbranch_execnz .LBB11_147
.LBB11_531:
	s_or_b32 exec_lo, exec_lo, s7
	s_and_saveexec_b32 s7, s6
	s_xor_b32 s6, exec_lo, s7
	s_cbranch_execz .LBB11_569
.LBB11_532:
	s_sext_i32_i16 s8, s5
	s_mov_b32 s7, -1
	s_cmp_lt_i32 s8, 5
	s_cbranch_scc1 .LBB11_553
; %bb.533:
	s_cmp_lt_i32 s8, 8
	s_cbranch_scc1 .LBB11_543
; %bb.534:
	;; [unrolled: 3-line block ×3, first 2 shown]
	s_cmp_gt_i32 s8, 9
	s_cbranch_scc0 .LBB11_537
; %bb.536:
	v_mov_b32_e32 v2, 0
	s_mov_b32 s7, 0
	v_mov_b32_e32 v3, v2
	global_store_dwordx4 v[4:5], v[0:3], off
.LBB11_537:
	s_andn2_b32 vcc_lo, exec_lo, s7
	s_cbranch_vccnz .LBB11_539
; %bb.538:
	v_cvt_f32_f64_e32 v2, v[0:1]
	v_mov_b32_e32 v3, 0
	global_store_dwordx2 v[4:5], v[2:3], off
.LBB11_539:
	s_mov_b32 s7, 0
.LBB11_540:
	s_andn2_b32 vcc_lo, exec_lo, s7
	s_cbranch_vccnz .LBB11_542
; %bb.541:
	v_and_or_b32 v2, 0x1ff, v1, v0
	v_lshrrev_b32_e32 v3, 8, v1
	v_bfe_u32 v6, v1, 20, 11
	v_cmp_ne_u32_e32 vcc_lo, 0, v2
	v_sub_nc_u32_e32 v7, 0x3f1, v6
	v_add_nc_u32_e32 v6, 0xfffffc10, v6
	v_cndmask_b32_e64 v2, 0, 1, vcc_lo
	v_and_or_b32 v2, 0xffe, v3, v2
	v_med3_i32 v3, v7, 0, 13
	v_or_b32_e32 v7, 0x1000, v2
	v_lshrrev_b32_e32 v8, v3, v7
	v_lshlrev_b32_e32 v3, v3, v8
	v_cmp_ne_u32_e32 vcc_lo, v3, v7
	v_lshl_or_b32 v7, v6, 12, v2
	v_cndmask_b32_e64 v3, 0, 1, vcc_lo
	v_cmp_gt_i32_e32 vcc_lo, 1, v6
	v_or_b32_e32 v3, v8, v3
	v_cndmask_b32_e32 v3, v7, v3, vcc_lo
	v_and_b32_e32 v7, 7, v3
	v_lshrrev_b32_e32 v3, 2, v3
	v_cmp_lt_i32_e32 vcc_lo, 5, v7
	v_cndmask_b32_e64 v8, 0, 1, vcc_lo
	v_cmp_eq_u32_e32 vcc_lo, 3, v7
	v_cndmask_b32_e64 v7, 0, 1, vcc_lo
	v_cmp_ne_u32_e32 vcc_lo, 0, v2
	v_or_b32_e32 v7, v7, v8
	v_mov_b32_e32 v8, 0x7e00
	v_add_nc_u32_e32 v3, v3, v7
	v_cndmask_b32_e32 v2, 0x7c00, v8, vcc_lo
	v_cmp_gt_i32_e32 vcc_lo, 31, v6
	v_cndmask_b32_e32 v3, 0x7c00, v3, vcc_lo
	v_cmp_eq_u32_e32 vcc_lo, 0x40f, v6
	v_cndmask_b32_e32 v2, v3, v2, vcc_lo
	v_lshrrev_b32_e32 v3, 16, v1
	v_and_or_b32 v2, 0x8000, v3, v2
	v_and_b32_e32 v2, 0xffff, v2
	global_store_dword v[4:5], v2, off
.LBB11_542:
	s_mov_b32 s7, 0
.LBB11_543:
	s_andn2_b32 vcc_lo, exec_lo, s7
	s_cbranch_vccnz .LBB11_552
; %bb.544:
	s_sext_i32_i16 s8, s5
	s_mov_b32 s7, -1
	s_cmp_lt_i32 s8, 6
	s_cbranch_scc1 .LBB11_550
; %bb.545:
	s_cmp_gt_i32 s8, 6
	s_cbranch_scc0 .LBB11_547
; %bb.546:
	s_mov_b32 s7, 0
	global_store_dwordx2 v[4:5], v[0:1], off
.LBB11_547:
	s_andn2_b32 vcc_lo, exec_lo, s7
	s_cbranch_vccnz .LBB11_549
; %bb.548:
	v_cvt_f32_f64_e32 v2, v[0:1]
	global_store_dword v[4:5], v2, off
.LBB11_549:
	s_mov_b32 s7, 0
.LBB11_550:
	s_andn2_b32 vcc_lo, exec_lo, s7
	s_cbranch_vccnz .LBB11_552
; %bb.551:
	v_and_or_b32 v2, 0x1ff, v1, v0
	v_lshrrev_b32_e32 v3, 8, v1
	v_bfe_u32 v6, v1, 20, 11
	v_cmp_ne_u32_e32 vcc_lo, 0, v2
	v_sub_nc_u32_e32 v7, 0x3f1, v6
	v_add_nc_u32_e32 v6, 0xfffffc10, v6
	v_cndmask_b32_e64 v2, 0, 1, vcc_lo
	v_and_or_b32 v2, 0xffe, v3, v2
	v_med3_i32 v3, v7, 0, 13
	v_or_b32_e32 v7, 0x1000, v2
	v_lshrrev_b32_e32 v8, v3, v7
	v_lshlrev_b32_e32 v3, v3, v8
	v_cmp_ne_u32_e32 vcc_lo, v3, v7
	v_lshl_or_b32 v7, v6, 12, v2
	v_cndmask_b32_e64 v3, 0, 1, vcc_lo
	v_cmp_gt_i32_e32 vcc_lo, 1, v6
	v_or_b32_e32 v3, v8, v3
	v_cndmask_b32_e32 v3, v7, v3, vcc_lo
	v_and_b32_e32 v7, 7, v3
	v_lshrrev_b32_e32 v3, 2, v3
	v_cmp_lt_i32_e32 vcc_lo, 5, v7
	v_cndmask_b32_e64 v8, 0, 1, vcc_lo
	v_cmp_eq_u32_e32 vcc_lo, 3, v7
	v_cndmask_b32_e64 v7, 0, 1, vcc_lo
	v_cmp_ne_u32_e32 vcc_lo, 0, v2
	v_or_b32_e32 v7, v7, v8
	v_mov_b32_e32 v8, 0x7e00
	v_add_nc_u32_e32 v3, v3, v7
	v_cndmask_b32_e32 v2, 0x7c00, v8, vcc_lo
	v_cmp_gt_i32_e32 vcc_lo, 31, v6
	v_cndmask_b32_e32 v3, 0x7c00, v3, vcc_lo
	v_cmp_eq_u32_e32 vcc_lo, 0x40f, v6
	v_cndmask_b32_e32 v2, v3, v2, vcc_lo
	v_lshrrev_b32_e32 v3, 16, v1
	v_and_or_b32 v2, 0x8000, v3, v2
	global_store_short v[4:5], v2, off
.LBB11_552:
	s_mov_b32 s7, 0
.LBB11_553:
	s_andn2_b32 vcc_lo, exec_lo, s7
	s_cbranch_vccnz .LBB11_569
; %bb.554:
	s_sext_i32_i16 s8, s5
	s_mov_b32 s7, -1
	s_cmp_lt_i32 s8, 2
	s_cbranch_scc1 .LBB11_564
; %bb.555:
	s_cmp_lt_i32 s8, 3
	s_cbranch_scc1 .LBB11_561
; %bb.556:
	s_cmp_gt_i32 s8, 3
	s_cbranch_scc0 .LBB11_558
; %bb.557:
	v_trunc_f64_e32 v[2:3], v[0:1]
	s_mov_b32 s7, 0
	v_ldexp_f64 v[6:7], v[2:3], 0xffffffe0
	v_floor_f64_e32 v[6:7], v[6:7]
	v_fma_f64 v[2:3], 0xc1f00000, v[6:7], v[2:3]
	v_cvt_i32_f64_e32 v7, v[6:7]
	v_cvt_u32_f64_e32 v6, v[2:3]
	global_store_dwordx2 v[4:5], v[6:7], off
.LBB11_558:
	s_andn2_b32 vcc_lo, exec_lo, s7
	s_cbranch_vccnz .LBB11_560
; %bb.559:
	v_cvt_i32_f64_e32 v2, v[0:1]
	global_store_dword v[4:5], v2, off
.LBB11_560:
	s_mov_b32 s7, 0
.LBB11_561:
	s_andn2_b32 vcc_lo, exec_lo, s7
	s_cbranch_vccnz .LBB11_563
; %bb.562:
	v_cvt_i32_f64_e32 v2, v[0:1]
	global_store_short v[4:5], v2, off
.LBB11_563:
	s_mov_b32 s7, 0
.LBB11_564:
	s_andn2_b32 vcc_lo, exec_lo, s7
	s_cbranch_vccnz .LBB11_569
; %bb.565:
	s_sext_i32_i16 s5, s5
	s_cmp_gt_i32 s5, 0
	s_mov_b32 s5, -1
	s_cbranch_scc0 .LBB11_567
; %bb.566:
	v_cvt_i32_f64_e32 v2, v[0:1]
	s_mov_b32 s5, 0
	global_store_byte v[4:5], v2, off
.LBB11_567:
	s_andn2_b32 vcc_lo, exec_lo, s5
	s_cbranch_vccnz .LBB11_569
; %bb.568:
	v_trunc_f64_e32 v[0:1], v[0:1]
	v_ldexp_f64 v[2:3], v[0:1], 0xffffffe0
	v_floor_f64_e32 v[2:3], v[2:3]
	v_fma_f64 v[0:1], 0xc1f00000, v[2:3], v[0:1]
	v_cvt_u32_f64_e32 v0, v[0:1]
	global_store_byte v[4:5], v0, off
.LBB11_569:
	s_or_b32 exec_lo, exec_lo, s6
	s_waitcnt lgkmcnt(0)
	s_and_b32 s40, s4, exec_lo
                                        ; implicit-def: $vgpr6
                                        ; implicit-def: $vgpr43
.LBB11_570:
	s_or_saveexec_b32 s41, s55
	s_mov_b32 s4, 0
                                        ; implicit-def: $sgpr5
                                        ; implicit-def: $vgpr4_vgpr5
                                        ; implicit-def: $vgpr0_vgpr1
	s_xor_b32 exec_lo, exec_lo, s41
	s_cbranch_execz .LBB11_1059
; %bb.571:
	v_cndmask_b32_e64 v0, 0, 1, s54
	s_andn2_b32 vcc_lo, exec_lo, s54
	s_cbranch_vccnz .LBB11_577
; %bb.572:
	s_cmp_lg_u32 s33, 0
	s_mov_b32 s8, 0
	s_cbranch_scc0 .LBB11_578
; %bb.573:
	s_min_u32 s10, s52, 15
	s_add_i32 s10, s10, 1
	s_cmp_eq_u32 s52, 2
	s_cbranch_scc1 .LBB11_579
; %bb.574:
	v_mov_b32_e32 v2, 0
	v_mov_b32_e32 v62, 0
	;; [unrolled: 1-line block ×3, first 2 shown]
	s_and_b32 s9, s10, 28
	s_add_u32 s4, s34, 0xc4
	s_addc_u32 s5, s35, 0
	s_mov_b32 s11, 0
	s_mov_b64 s[6:7], s[34:35]
.LBB11_575:                             ; =>This Inner Loop Header: Depth=1
	s_clause 0x1
	s_load_dwordx8 s[12:19], s[6:7], 0x4
	s_load_dwordx4 s[36:39], s[6:7], 0x24
	s_load_dwordx8 s[20:27], s[4:5], 0x0
	s_add_u32 s6, s6, 48
	s_addc_u32 s7, s7, 0
	s_add_i32 s11, s11, 4
	s_add_u32 s4, s4, 32
	s_addc_u32 s5, s5, 0
	s_cmp_lg_u32 s9, s11
	s_waitcnt lgkmcnt(0)
	v_mul_hi_u32 v3, s13, v1
	v_add_nc_u32_e32 v3, v1, v3
	v_lshrrev_b32_e32 v3, s14, v3
	v_mul_hi_u32 v4, s16, v3
	v_mul_lo_u32 v7, v3, s12
	v_add_nc_u32_e32 v4, v3, v4
	v_sub_nc_u32_e32 v1, v1, v7
	v_lshrrev_b32_e32 v4, s17, v4
	v_mul_lo_u32 v7, v1, s20
	v_mul_lo_u32 v9, v1, s21
	v_mul_hi_u32 v5, s19, v4
	v_add_nc_u32_e32 v5, v4, v5
	v_lshrrev_b32_e32 v5, s36, v5
	v_mul_hi_u32 v8, s38, v5
	v_mul_lo_u32 v10, v5, s18
	v_add_nc_u32_e32 v1, v5, v8
	v_mul_lo_u32 v8, v4, s15
	v_sub_nc_u32_e32 v4, v4, v10
	v_lshrrev_b32_e32 v1, s39, v1
	v_mul_lo_u32 v10, v4, s24
	v_mul_lo_u32 v4, v4, s25
	v_sub_nc_u32_e32 v3, v3, v8
	v_mul_lo_u32 v11, v1, s37
	v_mul_lo_u32 v8, v3, s22
	;; [unrolled: 1-line block ×3, first 2 shown]
	v_sub_nc_u32_e32 v5, v5, v11
	v_add3_u32 v7, v7, v62, v8
	v_mul_lo_u32 v11, v5, s26
	v_mul_lo_u32 v5, v5, s27
	v_add3_u32 v2, v9, v2, v3
	v_add3_u32 v62, v10, v7, v11
	;; [unrolled: 1-line block ×3, first 2 shown]
	s_cbranch_scc1 .LBB11_575
; %bb.576:
	s_and_b32 s10, s10, 3
	s_cmp_eq_u32 s10, 0
	s_cbranch_scc0 .LBB11_580
	s_branch .LBB11_582
.LBB11_577:
	s_mov_b32 s8, -1
                                        ; implicit-def: $vgpr62
                                        ; implicit-def: $vgpr2
	s_branch .LBB11_582
.LBB11_578:
	v_mov_b32_e32 v62, 0
	v_mov_b32_e32 v2, 0
	s_branch .LBB11_582
.LBB11_579:
	v_mov_b32_e32 v62, 0
	v_mov_b32_e32 v2, 0
	;; [unrolled: 1-line block ×3, first 2 shown]
	s_mov_b32 s9, 0
	s_and_b32 s10, s10, 3
	s_cmp_eq_u32 s10, 0
	s_cbranch_scc1 .LBB11_582
.LBB11_580:
	s_lshl_b32 s4, s9, 3
	s_mul_i32 s6, s9, 12
	s_add_u32 s4, s34, s4
	s_addc_u32 s5, s35, 0
	s_add_u32 s4, s4, 0xc4
	s_addc_u32 s5, s5, 0
	;; [unrolled: 2-line block ×3, first 2 shown]
	.p2align	6
.LBB11_581:                             ; =>This Inner Loop Header: Depth=1
	s_clause 0x1
	s_load_dwordx2 s[12:13], s[6:7], 0x4
	s_load_dword s9, s[6:7], 0xc
	s_load_dwordx2 s[14:15], s[4:5], 0x0
	s_add_u32 s6, s6, 12
	s_addc_u32 s7, s7, 0
	s_add_u32 s4, s4, 8
	s_addc_u32 s5, s5, 0
	s_add_i32 s10, s10, -1
	s_cmp_lg_u32 s10, 0
	s_waitcnt lgkmcnt(0)
	v_mul_hi_u32 v3, s13, v1
	v_add_nc_u32_e32 v3, v1, v3
	v_lshrrev_b32_e32 v4, s9, v3
	v_mul_lo_u32 v3, v4, s12
	v_sub_nc_u32_e32 v1, v1, v3
	v_mad_u64_u32 v[62:63], null, v1, s14, v[62:63]
	v_mad_u64_u32 v[2:3], null, v1, s15, v[2:3]
	v_mov_b32_e32 v1, v4
	s_cbranch_scc1 .LBB11_581
.LBB11_582:
	s_andn2_b32 vcc_lo, exec_lo, s8
	s_cbranch_vccnz .LBB11_585
; %bb.583:
	s_clause 0x1
	s_load_dwordx4 s[4:7], s[34:35], 0x4
	s_load_dwordx2 s[8:9], s[34:35], 0xc4
	s_cmp_lt_u32 s33, 2
	s_waitcnt lgkmcnt(0)
	v_mul_hi_u32 v1, s5, v43
	v_add_nc_u32_e32 v1, v43, v1
	v_lshrrev_b32_e32 v1, s6, v1
	v_mul_lo_u32 v2, v1, s4
	v_sub_nc_u32_e32 v2, v43, v2
	v_mul_lo_u32 v62, v2, s8
	v_mul_lo_u32 v2, v2, s9
	s_cbranch_scc1 .LBB11_585
; %bb.584:
	s_clause 0x1
	s_load_dwordx4 s[4:7], s[34:35], 0x10
	s_load_dwordx2 s[8:9], s[34:35], 0xcc
	s_waitcnt lgkmcnt(0)
	v_mul_hi_u32 v3, s5, v1
	v_add_nc_u32_e32 v3, v1, v3
	v_lshrrev_b32_e32 v3, s6, v3
	v_mul_lo_u32 v3, v3, s4
	v_sub_nc_u32_e32 v1, v1, v3
	v_mad_u64_u32 v[62:63], null, v1, s8, v[62:63]
	v_mad_u64_u32 v[2:3], null, v1, s9, v[2:3]
.LBB11_585:
	v_cmp_ne_u32_e32 vcc_lo, 1, v0
	v_add_nc_u32_e32 v1, 0x80, v43
	s_cbranch_vccnz .LBB11_591
; %bb.586:
	s_cmp_lg_u32 s33, 0
	s_mov_b32 s8, 0
	s_cbranch_scc0 .LBB11_592
; %bb.587:
	s_min_u32 s10, s52, 15
	s_add_i32 s10, s10, 1
	s_cmp_eq_u32 s52, 2
	s_cbranch_scc1 .LBB11_593
; %bb.588:
	v_mov_b32_e32 v40, 0
	v_mov_b32_e32 v60, 0
	;; [unrolled: 1-line block ×3, first 2 shown]
	s_and_b32 s9, s10, 28
	s_add_u32 s4, s34, 0xc4
	s_addc_u32 s5, s35, 0
	s_mov_b32 s11, 0
	s_mov_b64 s[6:7], s[34:35]
.LBB11_589:                             ; =>This Inner Loop Header: Depth=1
	s_clause 0x1
	s_load_dwordx8 s[12:19], s[6:7], 0x4
	s_load_dwordx4 s[36:39], s[6:7], 0x24
	s_load_dwordx8 s[20:27], s[4:5], 0x0
	s_add_u32 s6, s6, 48
	s_addc_u32 s7, s7, 0
	s_add_i32 s11, s11, 4
	s_add_u32 s4, s4, 32
	s_addc_u32 s5, s5, 0
	s_cmp_lg_u32 s9, s11
	s_waitcnt lgkmcnt(0)
	v_mul_hi_u32 v4, s13, v3
	v_add_nc_u32_e32 v4, v3, v4
	v_lshrrev_b32_e32 v4, s14, v4
	v_mul_hi_u32 v5, s16, v4
	v_mul_lo_u32 v8, v4, s12
	v_add_nc_u32_e32 v5, v4, v5
	v_sub_nc_u32_e32 v3, v3, v8
	v_lshrrev_b32_e32 v5, s17, v5
	v_mul_lo_u32 v8, v3, s20
	v_mul_lo_u32 v10, v3, s21
	v_mul_hi_u32 v7, s19, v5
	v_add_nc_u32_e32 v7, v5, v7
	v_lshrrev_b32_e32 v7, s36, v7
	v_mul_hi_u32 v9, s38, v7
	v_mul_lo_u32 v11, v7, s18
	v_add_nc_u32_e32 v3, v7, v9
	v_mul_lo_u32 v9, v5, s15
	v_sub_nc_u32_e32 v5, v5, v11
	v_lshrrev_b32_e32 v3, s39, v3
	v_mul_lo_u32 v11, v5, s24
	v_mul_lo_u32 v5, v5, s25
	v_sub_nc_u32_e32 v4, v4, v9
	v_mul_lo_u32 v12, v3, s37
	v_mul_lo_u32 v9, v4, s22
	;; [unrolled: 1-line block ×3, first 2 shown]
	v_sub_nc_u32_e32 v7, v7, v12
	v_add3_u32 v8, v8, v60, v9
	v_mul_lo_u32 v12, v7, s26
	v_mul_lo_u32 v7, v7, s27
	v_add3_u32 v4, v10, v40, v4
	v_add3_u32 v60, v11, v8, v12
	v_add3_u32 v40, v5, v4, v7
	s_cbranch_scc1 .LBB11_589
; %bb.590:
	s_and_b32 s10, s10, 3
	s_cmp_eq_u32 s10, 0
	s_cbranch_scc0 .LBB11_594
	s_branch .LBB11_596
.LBB11_591:
	s_mov_b32 s8, -1
                                        ; implicit-def: $vgpr60
                                        ; implicit-def: $vgpr40
	s_branch .LBB11_596
.LBB11_592:
	v_mov_b32_e32 v60, 0
	v_mov_b32_e32 v40, 0
	s_branch .LBB11_596
.LBB11_593:
	v_mov_b32_e32 v60, 0
	v_mov_b32_e32 v40, 0
	;; [unrolled: 1-line block ×3, first 2 shown]
	s_mov_b32 s9, 0
	s_and_b32 s10, s10, 3
	s_cmp_eq_u32 s10, 0
	s_cbranch_scc1 .LBB11_596
.LBB11_594:
	s_lshl_b32 s4, s9, 3
	s_mul_i32 s6, s9, 12
	s_add_u32 s4, s34, s4
	s_addc_u32 s5, s35, 0
	s_add_u32 s4, s4, 0xc4
	s_addc_u32 s5, s5, 0
	;; [unrolled: 2-line block ×3, first 2 shown]
	.p2align	6
.LBB11_595:                             ; =>This Inner Loop Header: Depth=1
	s_clause 0x1
	s_load_dwordx2 s[12:13], s[6:7], 0x4
	s_load_dword s9, s[6:7], 0xc
	s_load_dwordx2 s[14:15], s[4:5], 0x0
	s_add_u32 s6, s6, 12
	s_addc_u32 s7, s7, 0
	s_add_u32 s4, s4, 8
	s_addc_u32 s5, s5, 0
	s_add_i32 s10, s10, -1
	s_cmp_lg_u32 s10, 0
	s_waitcnt lgkmcnt(0)
	v_mul_hi_u32 v4, s13, v3
	v_add_nc_u32_e32 v4, v3, v4
	v_lshrrev_b32_e32 v4, s9, v4
	v_mul_lo_u32 v5, v4, s12
	v_sub_nc_u32_e32 v3, v3, v5
	v_mad_u64_u32 v[60:61], null, v3, s14, v[60:61]
	v_mad_u64_u32 v[40:41], null, v3, s15, v[40:41]
	v_mov_b32_e32 v3, v4
	s_cbranch_scc1 .LBB11_595
.LBB11_596:
	s_andn2_b32 vcc_lo, exec_lo, s8
	s_cbranch_vccnz .LBB11_599
; %bb.597:
	s_clause 0x1
	s_load_dwordx4 s[4:7], s[34:35], 0x4
	s_load_dwordx2 s[8:9], s[34:35], 0xc4
	s_cmp_lt_u32 s33, 2
	s_waitcnt lgkmcnt(0)
	v_mul_hi_u32 v3, s5, v1
	v_add_nc_u32_e32 v3, v1, v3
	v_lshrrev_b32_e32 v3, s6, v3
	v_mul_lo_u32 v4, v3, s4
	v_sub_nc_u32_e32 v1, v1, v4
	v_mul_lo_u32 v60, v1, s8
	v_mul_lo_u32 v40, v1, s9
	s_cbranch_scc1 .LBB11_599
; %bb.598:
	s_clause 0x1
	s_load_dwordx4 s[4:7], s[34:35], 0x10
	s_load_dwordx2 s[8:9], s[34:35], 0xcc
	s_waitcnt lgkmcnt(0)
	v_mul_hi_u32 v1, s5, v3
	v_add_nc_u32_e32 v1, v3, v1
	v_lshrrev_b32_e32 v1, s6, v1
	v_mul_lo_u32 v1, v1, s4
	v_sub_nc_u32_e32 v1, v3, v1
	v_mad_u64_u32 v[60:61], null, v1, s8, v[60:61]
	v_mad_u64_u32 v[40:41], null, v1, s9, v[40:41]
.LBB11_599:
	v_cmp_ne_u32_e32 vcc_lo, 1, v0
	v_add_nc_u32_e32 v1, 0x100, v43
	s_cbranch_vccnz .LBB11_605
; %bb.600:
	s_cmp_lg_u32 s33, 0
	s_mov_b32 s8, 0
	s_cbranch_scc0 .LBB11_606
; %bb.601:
	s_min_u32 s10, s52, 15
	s_add_i32 s10, s10, 1
	s_cmp_eq_u32 s52, 2
	s_cbranch_scc1 .LBB11_607
; %bb.602:
	v_mov_b32_e32 v41, 0
	v_mov_b32_e32 v58, 0
	;; [unrolled: 1-line block ×3, first 2 shown]
	s_and_b32 s9, s10, 28
	s_add_u32 s4, s34, 0xc4
	s_addc_u32 s5, s35, 0
	s_mov_b32 s11, 0
	s_mov_b64 s[6:7], s[34:35]
.LBB11_603:                             ; =>This Inner Loop Header: Depth=1
	s_clause 0x1
	s_load_dwordx8 s[12:19], s[6:7], 0x4
	s_load_dwordx4 s[36:39], s[6:7], 0x24
	s_load_dwordx8 s[20:27], s[4:5], 0x0
	s_add_u32 s6, s6, 48
	s_addc_u32 s7, s7, 0
	s_add_i32 s11, s11, 4
	s_add_u32 s4, s4, 32
	s_addc_u32 s5, s5, 0
	s_cmp_lg_u32 s9, s11
	s_waitcnt lgkmcnt(0)
	v_mul_hi_u32 v4, s13, v3
	v_add_nc_u32_e32 v4, v3, v4
	v_lshrrev_b32_e32 v4, s14, v4
	v_mul_hi_u32 v5, s16, v4
	v_mul_lo_u32 v8, v4, s12
	v_add_nc_u32_e32 v5, v4, v5
	v_sub_nc_u32_e32 v3, v3, v8
	v_lshrrev_b32_e32 v5, s17, v5
	v_mul_lo_u32 v8, v3, s20
	v_mul_lo_u32 v10, v3, s21
	v_mul_hi_u32 v7, s19, v5
	v_add_nc_u32_e32 v7, v5, v7
	v_lshrrev_b32_e32 v7, s36, v7
	v_mul_hi_u32 v9, s38, v7
	v_mul_lo_u32 v11, v7, s18
	v_add_nc_u32_e32 v3, v7, v9
	v_mul_lo_u32 v9, v5, s15
	v_sub_nc_u32_e32 v5, v5, v11
	v_lshrrev_b32_e32 v3, s39, v3
	v_mul_lo_u32 v11, v5, s24
	v_mul_lo_u32 v5, v5, s25
	v_sub_nc_u32_e32 v4, v4, v9
	v_mul_lo_u32 v12, v3, s37
	v_mul_lo_u32 v9, v4, s22
	;; [unrolled: 1-line block ×3, first 2 shown]
	v_sub_nc_u32_e32 v7, v7, v12
	v_add3_u32 v8, v8, v58, v9
	v_mul_lo_u32 v12, v7, s26
	v_mul_lo_u32 v7, v7, s27
	v_add3_u32 v4, v10, v41, v4
	v_add3_u32 v58, v11, v8, v12
	;; [unrolled: 1-line block ×3, first 2 shown]
	s_cbranch_scc1 .LBB11_603
; %bb.604:
	s_and_b32 s10, s10, 3
	s_cmp_eq_u32 s10, 0
	s_cbranch_scc0 .LBB11_608
	s_branch .LBB11_610
.LBB11_605:
	s_mov_b32 s8, -1
                                        ; implicit-def: $vgpr58
                                        ; implicit-def: $vgpr41
	s_branch .LBB11_610
.LBB11_606:
	v_mov_b32_e32 v58, 0
	v_mov_b32_e32 v41, 0
	s_branch .LBB11_610
.LBB11_607:
	v_mov_b32_e32 v58, 0
	v_mov_b32_e32 v41, 0
	;; [unrolled: 1-line block ×3, first 2 shown]
	s_mov_b32 s9, 0
	s_and_b32 s10, s10, 3
	s_cmp_eq_u32 s10, 0
	s_cbranch_scc1 .LBB11_610
.LBB11_608:
	s_lshl_b32 s4, s9, 3
	s_mul_i32 s6, s9, 12
	s_add_u32 s4, s34, s4
	s_addc_u32 s5, s35, 0
	s_add_u32 s4, s4, 0xc4
	s_addc_u32 s5, s5, 0
	;; [unrolled: 2-line block ×3, first 2 shown]
	.p2align	6
.LBB11_609:                             ; =>This Inner Loop Header: Depth=1
	s_clause 0x1
	s_load_dwordx2 s[12:13], s[6:7], 0x4
	s_load_dword s9, s[6:7], 0xc
	s_load_dwordx2 s[14:15], s[4:5], 0x0
	s_add_u32 s6, s6, 12
	s_addc_u32 s7, s7, 0
	s_add_u32 s4, s4, 8
	s_addc_u32 s5, s5, 0
	s_add_i32 s10, s10, -1
	s_cmp_lg_u32 s10, 0
	s_waitcnt lgkmcnt(0)
	v_mul_hi_u32 v4, s13, v3
	v_add_nc_u32_e32 v4, v3, v4
	v_lshrrev_b32_e32 v4, s9, v4
	v_mul_lo_u32 v5, v4, s12
	v_sub_nc_u32_e32 v3, v3, v5
	v_mad_u64_u32 v[58:59], null, v3, s14, v[58:59]
	v_mad_u64_u32 v[41:42], null, v3, s15, v[41:42]
	v_mov_b32_e32 v3, v4
	s_cbranch_scc1 .LBB11_609
.LBB11_610:
	s_andn2_b32 vcc_lo, exec_lo, s8
	s_cbranch_vccnz .LBB11_613
; %bb.611:
	s_clause 0x1
	s_load_dwordx4 s[4:7], s[34:35], 0x4
	s_load_dwordx2 s[8:9], s[34:35], 0xc4
	s_cmp_lt_u32 s33, 2
	s_waitcnt lgkmcnt(0)
	v_mul_hi_u32 v3, s5, v1
	v_add_nc_u32_e32 v3, v1, v3
	v_lshrrev_b32_e32 v3, s6, v3
	v_mul_lo_u32 v4, v3, s4
	v_sub_nc_u32_e32 v1, v1, v4
	v_mul_lo_u32 v58, v1, s8
	v_mul_lo_u32 v41, v1, s9
	s_cbranch_scc1 .LBB11_613
; %bb.612:
	s_clause 0x1
	s_load_dwordx4 s[4:7], s[34:35], 0x10
	s_load_dwordx2 s[8:9], s[34:35], 0xcc
	s_waitcnt lgkmcnt(0)
	v_mul_hi_u32 v1, s5, v3
	v_add_nc_u32_e32 v1, v3, v1
	v_lshrrev_b32_e32 v1, s6, v1
	v_mul_lo_u32 v1, v1, s4
	v_sub_nc_u32_e32 v1, v3, v1
	v_mad_u64_u32 v[58:59], null, v1, s8, v[58:59]
	v_mad_u64_u32 v[41:42], null, v1, s9, v[41:42]
.LBB11_613:
	v_cmp_ne_u32_e32 vcc_lo, 1, v0
	s_cbranch_vccnz .LBB11_619
; %bb.614:
	s_cmp_lg_u32 s33, 0
	s_mov_b32 s8, 0
	s_cbranch_scc0 .LBB11_620
; %bb.615:
	s_min_u32 s10, s52, 15
	s_add_i32 s10, s10, 1
	s_cmp_eq_u32 s52, 2
	s_cbranch_scc1 .LBB11_621
; %bb.616:
	v_mov_b32_e32 v46, 0
	v_mov_b32_e32 v56, 0
	v_mov_b32_e32 v0, v6
	s_and_b32 s9, s10, 28
	s_add_u32 s4, s34, 0xc4
	s_addc_u32 s5, s35, 0
	s_mov_b32 s11, 0
	s_mov_b64 s[6:7], s[34:35]
.LBB11_617:                             ; =>This Inner Loop Header: Depth=1
	s_clause 0x1
	s_load_dwordx8 s[12:19], s[6:7], 0x4
	s_load_dwordx4 s[36:39], s[6:7], 0x24
	s_load_dwordx8 s[20:27], s[4:5], 0x0
	s_add_u32 s6, s6, 48
	s_addc_u32 s7, s7, 0
	s_add_i32 s11, s11, 4
	s_add_u32 s4, s4, 32
	s_addc_u32 s5, s5, 0
	s_cmp_lg_u32 s9, s11
	s_waitcnt lgkmcnt(0)
	v_mul_hi_u32 v1, s13, v0
	v_add_nc_u32_e32 v1, v0, v1
	v_lshrrev_b32_e32 v1, s14, v1
	v_mul_hi_u32 v3, s16, v1
	v_mul_lo_u32 v5, v1, s12
	v_add_nc_u32_e32 v3, v1, v3
	v_sub_nc_u32_e32 v0, v0, v5
	v_lshrrev_b32_e32 v3, s17, v3
	v_mul_lo_u32 v5, v0, s20
	v_mul_lo_u32 v8, v0, s21
	v_mul_hi_u32 v4, s19, v3
	v_add_nc_u32_e32 v4, v3, v4
	v_lshrrev_b32_e32 v4, s36, v4
	v_mul_hi_u32 v7, s38, v4
	v_mul_lo_u32 v9, v4, s18
	v_add_nc_u32_e32 v0, v4, v7
	v_mul_lo_u32 v7, v3, s15
	v_sub_nc_u32_e32 v3, v3, v9
	v_lshrrev_b32_e32 v0, s39, v0
	v_mul_lo_u32 v9, v3, s24
	v_mul_lo_u32 v3, v3, s25
	v_sub_nc_u32_e32 v1, v1, v7
	v_mul_lo_u32 v10, v0, s37
	v_mul_lo_u32 v7, v1, s22
	;; [unrolled: 1-line block ×3, first 2 shown]
	v_sub_nc_u32_e32 v4, v4, v10
	v_add3_u32 v5, v5, v56, v7
	v_mul_lo_u32 v10, v4, s26
	v_mul_lo_u32 v4, v4, s27
	v_add3_u32 v1, v8, v46, v1
	v_add3_u32 v56, v9, v5, v10
	v_add3_u32 v46, v3, v1, v4
	s_cbranch_scc1 .LBB11_617
; %bb.618:
	s_and_b32 s10, s10, 3
	s_cmp_eq_u32 s10, 0
	s_cbranch_scc0 .LBB11_622
	s_branch .LBB11_624
.LBB11_619:
	s_mov_b32 s8, -1
                                        ; implicit-def: $vgpr56
                                        ; implicit-def: $vgpr46
	s_branch .LBB11_624
.LBB11_620:
	v_mov_b32_e32 v56, 0
	v_mov_b32_e32 v46, 0
	s_branch .LBB11_624
.LBB11_621:
	v_mov_b32_e32 v56, 0
	v_mov_b32_e32 v46, 0
	;; [unrolled: 1-line block ×3, first 2 shown]
	s_mov_b32 s9, 0
	s_and_b32 s10, s10, 3
	s_cmp_eq_u32 s10, 0
	s_cbranch_scc1 .LBB11_624
.LBB11_622:
	s_lshl_b32 s4, s9, 3
	s_mul_i32 s6, s9, 12
	s_add_u32 s4, s34, s4
	s_addc_u32 s5, s35, 0
	s_add_u32 s4, s4, 0xc4
	s_addc_u32 s5, s5, 0
	;; [unrolled: 2-line block ×3, first 2 shown]
	.p2align	6
.LBB11_623:                             ; =>This Inner Loop Header: Depth=1
	s_clause 0x1
	s_load_dwordx2 s[12:13], s[6:7], 0x4
	s_load_dword s9, s[6:7], 0xc
	s_load_dwordx2 s[14:15], s[4:5], 0x0
	s_add_u32 s6, s6, 12
	s_addc_u32 s7, s7, 0
	s_add_u32 s4, s4, 8
	s_addc_u32 s5, s5, 0
	s_add_i32 s10, s10, -1
	s_cmp_lg_u32 s10, 0
	s_waitcnt lgkmcnt(0)
	v_mul_hi_u32 v1, s13, v0
	v_add_nc_u32_e32 v1, v0, v1
	v_lshrrev_b32_e32 v1, s9, v1
	v_mul_lo_u32 v3, v1, s12
	v_sub_nc_u32_e32 v0, v0, v3
	v_mad_u64_u32 v[56:57], null, v0, s14, v[56:57]
	v_mad_u64_u32 v[46:47], null, v0, s15, v[46:47]
	v_mov_b32_e32 v0, v1
	s_cbranch_scc1 .LBB11_623
.LBB11_624:
	s_andn2_b32 vcc_lo, exec_lo, s8
	s_cbranch_vccnz .LBB11_627
; %bb.625:
	s_clause 0x1
	s_load_dwordx4 s[4:7], s[34:35], 0x4
	s_load_dwordx2 s[8:9], s[34:35], 0xc4
	s_cmp_lt_u32 s33, 2
	s_waitcnt lgkmcnt(0)
	v_mul_hi_u32 v0, s5, v6
	v_add_nc_u32_e32 v0, v6, v0
	v_lshrrev_b32_e32 v0, s6, v0
	v_mul_lo_u32 v1, v0, s4
	v_sub_nc_u32_e32 v1, v6, v1
	v_mul_lo_u32 v56, v1, s8
	v_mul_lo_u32 v46, v1, s9
	s_cbranch_scc1 .LBB11_627
; %bb.626:
	s_clause 0x1
	s_load_dwordx4 s[4:7], s[34:35], 0x10
	s_load_dwordx2 s[8:9], s[34:35], 0xcc
	s_waitcnt lgkmcnt(0)
	v_mul_hi_u32 v1, s5, v0
	v_add_nc_u32_e32 v1, v0, v1
	v_lshrrev_b32_e32 v1, s6, v1
	v_mul_lo_u32 v1, v1, s4
	v_sub_nc_u32_e32 v0, v0, v1
	v_mad_u64_u32 v[56:57], null, v0, s8, v[56:57]
	v_mad_u64_u32 v[46:47], null, v0, s9, v[46:47]
.LBB11_627:
	s_clause 0x1
	s_load_dword s28, s[28:29], 0x160
	s_load_dwordx4 s[36:39], s[34:35], 0x148
	s_getpc_b64 s[34:35]
	s_add_u32 s34, s34, _ZN2at6native6invokeIZZZNS0_12_GLOBAL__N_119airy_ai_kernel_cudaERNS_18TensorIteratorBaseEENKUlvE_clEvENKUlvE_clEvEUldE_j15function_traitsIS7_EEENT1_11result_typeERKT_PrKPcPKT0_PKN3c1010ScalarTypeEi@rel32@lo+4
	s_addc_u32 s35, s35, _ZN2at6native6invokeIZZZNS0_12_GLOBAL__N_119airy_ai_kernel_cudaERNS_18TensorIteratorBaseEENKUlvE_clEvENKUlvE_clEvEUldE_j15function_traitsIS7_EEENT1_11result_typeERKT_PrKPcPKT0_PKN3c1010ScalarTypeEi@rel32@hi+12
	s_waitcnt lgkmcnt(0)
	s_lshr_b32 s29, s28, 16
	v_mov_b32_e32 v0, s38
	v_mov_b32_e32 v1, s39
	v_mov_b32_e32 v3, s29
	s_swappc_b64 s[30:31], s[34:35]
	v_mov_b32_e32 v44, v0
	v_mov_b32_e32 v45, v1
	v_mov_b32_e32 v0, s38
	v_mov_b32_e32 v1, s39
	v_mov_b32_e32 v2, v40
	v_mov_b32_e32 v3, s29
	s_swappc_b64 s[30:31], s[34:35]
	v_mov_b32_e32 v42, v0
	v_mov_b32_e32 v43, v1
	v_mov_b32_e32 v0, s38
	;; [unrolled: 7-line block ×3, first 2 shown]
	v_mov_b32_e32 v1, s39
	v_mov_b32_e32 v2, v46
	v_mov_b32_e32 v3, s29
	s_swappc_b64 s[30:31], s[34:35]
	v_add_co_u32 v2, s4, s36, v62
	v_add_co_ci_u32_e64 v3, null, s37, 0, s4
	s_bfe_u32 s5, s28, 0x80008
	s_cmp_lt_i32 s5, 11
	s_cbranch_scc1 .LBB11_706
; %bb.628:
	s_and_b32 s6, 0xffff, s5
	s_mov_b32 s9, -1
	s_mov_b32 s7, 0
	s_cmp_gt_i32 s6, 25
	s_mov_b32 s8, 0
	s_mov_b32 s4, 0
	s_cbranch_scc0 .LBB11_661
; %bb.629:
	s_cmp_gt_i32 s6, 28
	s_cbranch_scc0 .LBB11_644
; %bb.630:
	s_cmp_gt_i32 s6, 43
	;; [unrolled: 3-line block ×3, first 2 shown]
	s_cbranch_scc0 .LBB11_634
; %bb.632:
	s_mov_b32 s4, -1
	s_mov_b32 s9, 0
	s_cmp_eq_u32 s6, 46
	s_cbranch_scc0 .LBB11_634
; %bb.633:
	v_cvt_f32_f64_e32 v4, v[44:45]
	s_mov_b32 s4, 0
	s_mov_b32 s8, -1
	v_bfe_u32 v5, v4, 16, 1
	v_cmp_o_f32_e32 vcc_lo, v4, v4
	v_add3_u32 v4, v4, v5, 0x7fff
	v_mov_b32_e32 v5, 0x7fc0
	v_cndmask_b32_sdwa v4, v5, v4, vcc_lo dst_sel:DWORD dst_unused:UNUSED_PAD src0_sel:DWORD src1_sel:WORD_1
	global_store_dword v[2:3], v4, off
.LBB11_634:
	s_and_b32 vcc_lo, exec_lo, s9
	s_cbranch_vccz .LBB11_639
; %bb.635:
	s_cmp_eq_u32 s6, 44
	s_mov_b32 s4, -1
	s_cbranch_scc0 .LBB11_639
; %bb.636:
	v_cvt_f32_f64_e32 v4, v[44:45]
	v_mov_b32_e32 v5, 0xff
	s_mov_b32 s8, exec_lo
	v_bfe_u32 v6, v4, 23, 8
	v_cmpx_ne_u32_e32 0xff, v6
	s_cbranch_execz .LBB11_638
; %bb.637:
	v_and_b32_e32 v5, 0x400000, v4
	v_and_or_b32 v6, 0x3fffff, v4, v6
	v_lshrrev_b32_e32 v4, 23, v4
	v_cmp_ne_u32_e32 vcc_lo, 0, v5
	v_cmp_ne_u32_e64 s4, 0, v6
	s_and_b32 s4, vcc_lo, s4
	v_cndmask_b32_e64 v5, 0, 1, s4
	v_add_nc_u32_e32 v5, v4, v5
.LBB11_638:
	s_or_b32 exec_lo, exec_lo, s8
	s_mov_b32 s4, 0
	s_mov_b32 s8, -1
	global_store_byte v[2:3], v5, off
.LBB11_639:
	s_mov_b32 s9, 0
.LBB11_640:
	s_and_b32 vcc_lo, exec_lo, s9
	s_cbranch_vccz .LBB11_643
; %bb.641:
	s_cmp_eq_u32 s6, 29
	s_mov_b32 s4, -1
	s_cbranch_scc0 .LBB11_643
; %bb.642:
	v_trunc_f64_e32 v[4:5], v[44:45]
	s_mov_b32 s4, 0
	s_mov_b32 s8, -1
	v_ldexp_f64 v[6:7], v[4:5], 0xffffffe0
	v_floor_f64_e32 v[6:7], v[6:7]
	v_fma_f64 v[4:5], 0xc1f00000, v[6:7], v[4:5]
	v_cvt_u32_f64_e32 v6, v[6:7]
	v_cvt_u32_f64_e32 v5, v[4:5]
	global_store_dwordx2 v[2:3], v[5:6], off
.LBB11_643:
	s_mov_b32 s9, 0
.LBB11_644:
	s_and_b32 vcc_lo, exec_lo, s9
	s_cbranch_vccz .LBB11_660
; %bb.645:
	s_cmp_lt_i32 s6, 27
	s_mov_b32 s8, -1
	s_cbranch_scc1 .LBB11_651
; %bb.646:
	s_cmp_gt_i32 s6, 27
	s_cbranch_scc0 .LBB11_648
; %bb.647:
	v_cvt_u32_f64_e32 v4, v[44:45]
	s_mov_b32 s8, 0
	global_store_dword v[2:3], v4, off
.LBB11_648:
	s_andn2_b32 vcc_lo, exec_lo, s8
	s_cbranch_vccnz .LBB11_650
; %bb.649:
	v_cvt_u32_f64_e32 v4, v[44:45]
	global_store_short v[2:3], v4, off
.LBB11_650:
	s_mov_b32 s8, 0
.LBB11_651:
	s_andn2_b32 vcc_lo, exec_lo, s8
	s_cbranch_vccnz .LBB11_659
; %bb.652:
	v_cvt_f32_f64_e32 v4, v[44:45]
	v_mov_b32_e32 v6, 0x80
	s_mov_b32 s8, exec_lo
	v_and_b32_e32 v5, 0x7fffffff, v4
	v_cmpx_gt_u32_e32 0x43800000, v5
	s_cbranch_execz .LBB11_658
; %bb.653:
	v_cmp_lt_u32_e32 vcc_lo, 0x3bffffff, v5
	s_mov_b32 s9, 0
                                        ; implicit-def: $vgpr5
	s_and_saveexec_b32 s10, vcc_lo
	s_xor_b32 s10, exec_lo, s10
	s_cbranch_execz .LBB11_1103
; %bb.654:
	v_bfe_u32 v5, v4, 20, 1
	s_mov_b32 s9, exec_lo
	v_add3_u32 v5, v4, v5, 0x487ffff
	v_lshrrev_b32_e32 v5, 20, v5
	s_andn2_saveexec_b32 s10, s10
	s_cbranch_execnz .LBB11_1104
.LBB11_655:
	s_or_b32 exec_lo, exec_lo, s10
	v_mov_b32_e32 v6, 0
	s_and_saveexec_b32 s10, s9
.LBB11_656:
	v_lshrrev_b32_e32 v4, 24, v4
	v_and_or_b32 v6, 0x80, v4, v5
.LBB11_657:
	s_or_b32 exec_lo, exec_lo, s10
.LBB11_658:
	s_or_b32 exec_lo, exec_lo, s8
	global_store_byte v[2:3], v6, off
.LBB11_659:
	s_mov_b32 s8, -1
.LBB11_660:
	s_mov_b32 s9, 0
.LBB11_661:
	s_and_b32 vcc_lo, exec_lo, s9
	s_cbranch_vccz .LBB11_701
; %bb.662:
	s_cmp_gt_i32 s6, 22
	s_mov_b32 s7, -1
	s_cbranch_scc0 .LBB11_694
; %bb.663:
	s_cmp_lt_i32 s6, 24
	s_cbranch_scc1 .LBB11_683
; %bb.664:
	s_cmp_gt_i32 s6, 24
	s_cbranch_scc0 .LBB11_672
; %bb.665:
	v_cvt_f32_f64_e32 v4, v[44:45]
	v_mov_b32_e32 v6, 0x80
	s_mov_b32 s7, exec_lo
	v_and_b32_e32 v5, 0x7fffffff, v4
	v_cmpx_gt_u32_e32 0x47800000, v5
	s_cbranch_execz .LBB11_671
; %bb.666:
	v_cmp_lt_u32_e32 vcc_lo, 0x37ffffff, v5
	s_mov_b32 s8, 0
                                        ; implicit-def: $vgpr5
	s_and_saveexec_b32 s9, vcc_lo
	s_xor_b32 s9, exec_lo, s9
	s_cbranch_execz .LBB11_1106
; %bb.667:
	v_bfe_u32 v5, v4, 21, 1
	s_mov_b32 s8, exec_lo
	v_add3_u32 v5, v4, v5, 0x88fffff
	v_lshrrev_b32_e32 v5, 21, v5
	s_andn2_saveexec_b32 s9, s9
	s_cbranch_execnz .LBB11_1107
.LBB11_668:
	s_or_b32 exec_lo, exec_lo, s9
	v_mov_b32_e32 v6, 0
	s_and_saveexec_b32 s9, s8
.LBB11_669:
	v_lshrrev_b32_e32 v4, 24, v4
	v_and_or_b32 v6, 0x80, v4, v5
.LBB11_670:
	s_or_b32 exec_lo, exec_lo, s9
.LBB11_671:
	s_or_b32 exec_lo, exec_lo, s7
	s_mov_b32 s7, 0
	global_store_byte v[2:3], v6, off
.LBB11_672:
	s_and_b32 vcc_lo, exec_lo, s7
	s_cbranch_vccz .LBB11_682
; %bb.673:
	v_cvt_f32_f64_e32 v4, v[44:45]
	s_mov_b32 s7, exec_lo
                                        ; implicit-def: $vgpr5
	v_and_b32_e32 v6, 0x7fffffff, v4
	v_cmpx_gt_u32_e32 0x43f00000, v6
	s_xor_b32 s7, exec_lo, s7
	s_cbranch_execz .LBB11_679
; %bb.674:
	s_mov_b32 s8, exec_lo
                                        ; implicit-def: $vgpr5
	v_cmpx_lt_u32_e32 0x3c7fffff, v6
	s_xor_b32 s8, exec_lo, s8
; %bb.675:
	v_bfe_u32 v5, v4, 20, 1
	v_add3_u32 v5, v4, v5, 0x407ffff
	v_and_b32_e32 v6, 0xff00000, v5
	v_lshrrev_b32_e32 v5, 20, v5
	v_cmp_ne_u32_e32 vcc_lo, 0x7f00000, v6
	v_cndmask_b32_e32 v5, 0x7e, v5, vcc_lo
; %bb.676:
	s_andn2_saveexec_b32 s8, s8
; %bb.677:
	v_add_f32_e64 v5, 0x46800000, |v4|
; %bb.678:
	s_or_b32 exec_lo, exec_lo, s8
                                        ; implicit-def: $vgpr6
.LBB11_679:
	s_andn2_saveexec_b32 s7, s7
; %bb.680:
	v_mov_b32_e32 v5, 0x7f
	v_cmp_lt_u32_e32 vcc_lo, 0x7f800000, v6
	v_cndmask_b32_e32 v5, 0x7e, v5, vcc_lo
; %bb.681:
	s_or_b32 exec_lo, exec_lo, s7
	v_lshrrev_b32_e32 v4, 24, v4
	v_and_or_b32 v4, 0x80, v4, v5
	global_store_byte v[2:3], v4, off
.LBB11_682:
	s_mov_b32 s7, 0
.LBB11_683:
	s_andn2_b32 vcc_lo, exec_lo, s7
	s_cbranch_vccnz .LBB11_693
; %bb.684:
	v_cvt_f32_f64_e32 v4, v[44:45]
	s_mov_b32 s7, exec_lo
                                        ; implicit-def: $vgpr5
	v_and_b32_e32 v6, 0x7fffffff, v4
	v_cmpx_gt_u32_e32 0x47800000, v6
	s_xor_b32 s7, exec_lo, s7
	s_cbranch_execz .LBB11_690
; %bb.685:
	s_mov_b32 s8, exec_lo
                                        ; implicit-def: $vgpr5
	v_cmpx_lt_u32_e32 0x387fffff, v6
	s_xor_b32 s8, exec_lo, s8
; %bb.686:
	v_bfe_u32 v5, v4, 21, 1
	v_add3_u32 v5, v4, v5, 0x80fffff
	v_lshrrev_b32_e32 v5, 21, v5
; %bb.687:
	s_andn2_saveexec_b32 s8, s8
; %bb.688:
	v_add_f32_e64 v5, 0x43000000, |v4|
; %bb.689:
	s_or_b32 exec_lo, exec_lo, s8
                                        ; implicit-def: $vgpr6
.LBB11_690:
	s_andn2_saveexec_b32 s7, s7
; %bb.691:
	v_mov_b32_e32 v5, 0x7f
	v_cmp_lt_u32_e32 vcc_lo, 0x7f800000, v6
	v_cndmask_b32_e32 v5, 0x7c, v5, vcc_lo
; %bb.692:
	s_or_b32 exec_lo, exec_lo, s7
	v_lshrrev_b32_e32 v4, 24, v4
	v_and_or_b32 v4, 0x80, v4, v5
	global_store_byte v[2:3], v4, off
.LBB11_693:
	s_mov_b32 s7, 0
	s_mov_b32 s8, -1
.LBB11_694:
	s_andn2_b32 vcc_lo, exec_lo, s7
	s_mov_b32 s7, 0
	s_cbranch_vccnz .LBB11_701
; %bb.695:
	s_cmp_gt_i32 s6, 14
	s_mov_b32 s7, -1
	s_cbranch_scc0 .LBB11_699
; %bb.696:
	s_cmp_eq_u32 s6, 15
	s_mov_b32 s4, -1
	s_cbranch_scc0 .LBB11_698
; %bb.697:
	v_cvt_f32_f64_e32 v4, v[44:45]
	s_mov_b32 s4, 0
	s_mov_b32 s8, -1
	v_bfe_u32 v5, v4, 16, 1
	v_cmp_o_f32_e32 vcc_lo, v4, v4
	v_add3_u32 v4, v4, v5, 0x7fff
	v_mov_b32_e32 v5, 0x7fc0
	v_cndmask_b32_sdwa v4, v5, v4, vcc_lo dst_sel:DWORD dst_unused:UNUSED_PAD src0_sel:DWORD src1_sel:WORD_1
	global_store_short v[2:3], v4, off
.LBB11_698:
	s_mov_b32 s7, 0
.LBB11_699:
	s_and_b32 vcc_lo, exec_lo, s7
	s_mov_b32 s7, 0
	s_cbranch_vccz .LBB11_701
; %bb.700:
	s_cmp_lg_u32 s6, 11
	s_mov_b32 s7, -1
	s_cselect_b32 s4, -1, 0
.LBB11_701:
	s_and_b32 vcc_lo, exec_lo, s4
	s_mov_b32 s6, s40
	s_cbranch_vccnz .LBB11_1105
; %bb.702:
	s_andn2_b32 vcc_lo, exec_lo, s7
	s_cbranch_vccnz .LBB11_704
.LBB11_703:
	v_cmp_neq_f64_e32 vcc_lo, 0, v[44:45]
	s_mov_b32 s8, -1
	v_cndmask_b32_e64 v4, 0, 1, vcc_lo
	global_store_byte v[2:3], v4, off
.LBB11_704:
.LBB11_705:
	s_andn2_b32 vcc_lo, exec_lo, s8
	s_cbranch_vccz .LBB11_745
	s_branch .LBB11_1057
.LBB11_706:
	s_mov_b32 s8, 0
	s_mov_b32 s6, s40
	s_cbranch_execz .LBB11_705
; %bb.707:
	s_and_b32 s4, 0xffff, s5
	s_mov_b32 s5, -1
	s_cmp_lt_i32 s4, 5
	s_cbranch_scc1 .LBB11_728
; %bb.708:
	s_cmp_lt_i32 s4, 8
	s_cbranch_scc1 .LBB11_718
; %bb.709:
	;; [unrolled: 3-line block ×3, first 2 shown]
	s_cmp_gt_i32 s4, 9
	s_cbranch_scc0 .LBB11_712
; %bb.711:
	v_mov_b32_e32 v46, 0
	s_mov_b32 s5, 0
	v_mov_b32_e32 v47, v46
	global_store_dwordx4 v[2:3], v[44:47], off
.LBB11_712:
	s_andn2_b32 vcc_lo, exec_lo, s5
	s_cbranch_vccnz .LBB11_714
; %bb.713:
	v_cvt_f32_f64_e32 v4, v[44:45]
	v_mov_b32_e32 v5, 0
	global_store_dwordx2 v[2:3], v[4:5], off
.LBB11_714:
	s_mov_b32 s5, 0
.LBB11_715:
	s_andn2_b32 vcc_lo, exec_lo, s5
	s_cbranch_vccnz .LBB11_717
; %bb.716:
	v_and_or_b32 v4, 0x1ff, v45, v44
	v_lshrrev_b32_e32 v5, 8, v45
	v_bfe_u32 v6, v45, 20, 11
	v_cmp_ne_u32_e32 vcc_lo, 0, v4
	v_sub_nc_u32_e32 v7, 0x3f1, v6
	v_add_nc_u32_e32 v6, 0xfffffc10, v6
	v_cndmask_b32_e64 v4, 0, 1, vcc_lo
	v_and_or_b32 v4, 0xffe, v5, v4
	v_med3_i32 v5, v7, 0, 13
	v_or_b32_e32 v7, 0x1000, v4
	v_lshrrev_b32_e32 v8, v5, v7
	v_lshlrev_b32_e32 v5, v5, v8
	v_cmp_ne_u32_e32 vcc_lo, v5, v7
	v_lshl_or_b32 v7, v6, 12, v4
	v_cndmask_b32_e64 v5, 0, 1, vcc_lo
	v_cmp_gt_i32_e32 vcc_lo, 1, v6
	v_or_b32_e32 v5, v8, v5
	v_cndmask_b32_e32 v5, v7, v5, vcc_lo
	v_and_b32_e32 v7, 7, v5
	v_lshrrev_b32_e32 v5, 2, v5
	v_cmp_lt_i32_e32 vcc_lo, 5, v7
	v_cndmask_b32_e64 v8, 0, 1, vcc_lo
	v_cmp_eq_u32_e32 vcc_lo, 3, v7
	v_cndmask_b32_e64 v7, 0, 1, vcc_lo
	v_cmp_ne_u32_e32 vcc_lo, 0, v4
	v_or_b32_e32 v7, v7, v8
	v_mov_b32_e32 v8, 0x7e00
	v_add_nc_u32_e32 v5, v5, v7
	v_cndmask_b32_e32 v4, 0x7c00, v8, vcc_lo
	v_cmp_gt_i32_e32 vcc_lo, 31, v6
	v_cndmask_b32_e32 v5, 0x7c00, v5, vcc_lo
	v_cmp_eq_u32_e32 vcc_lo, 0x40f, v6
	v_cndmask_b32_e32 v4, v5, v4, vcc_lo
	v_lshrrev_b32_e32 v5, 16, v45
	v_and_or_b32 v4, 0x8000, v5, v4
	v_and_b32_e32 v4, 0xffff, v4
	global_store_dword v[2:3], v4, off
.LBB11_717:
	s_mov_b32 s5, 0
.LBB11_718:
	s_andn2_b32 vcc_lo, exec_lo, s5
	s_cbranch_vccnz .LBB11_727
; %bb.719:
	s_cmp_lt_i32 s4, 6
	s_mov_b32 s5, -1
	s_cbranch_scc1 .LBB11_725
; %bb.720:
	s_cmp_gt_i32 s4, 6
	s_cbranch_scc0 .LBB11_722
; %bb.721:
	s_mov_b32 s5, 0
	global_store_dwordx2 v[2:3], v[44:45], off
.LBB11_722:
	s_andn2_b32 vcc_lo, exec_lo, s5
	s_cbranch_vccnz .LBB11_724
; %bb.723:
	v_cvt_f32_f64_e32 v4, v[44:45]
	global_store_dword v[2:3], v4, off
.LBB11_724:
	s_mov_b32 s5, 0
.LBB11_725:
	s_andn2_b32 vcc_lo, exec_lo, s5
	s_cbranch_vccnz .LBB11_727
; %bb.726:
	v_and_or_b32 v4, 0x1ff, v45, v44
	v_lshrrev_b32_e32 v5, 8, v45
	v_bfe_u32 v6, v45, 20, 11
	v_cmp_ne_u32_e32 vcc_lo, 0, v4
	v_sub_nc_u32_e32 v7, 0x3f1, v6
	v_add_nc_u32_e32 v6, 0xfffffc10, v6
	v_cndmask_b32_e64 v4, 0, 1, vcc_lo
	v_and_or_b32 v4, 0xffe, v5, v4
	v_med3_i32 v5, v7, 0, 13
	v_or_b32_e32 v7, 0x1000, v4
	v_lshrrev_b32_e32 v8, v5, v7
	v_lshlrev_b32_e32 v5, v5, v8
	v_cmp_ne_u32_e32 vcc_lo, v5, v7
	v_lshl_or_b32 v7, v6, 12, v4
	v_cndmask_b32_e64 v5, 0, 1, vcc_lo
	v_cmp_gt_i32_e32 vcc_lo, 1, v6
	v_or_b32_e32 v5, v8, v5
	v_cndmask_b32_e32 v5, v7, v5, vcc_lo
	v_and_b32_e32 v7, 7, v5
	v_lshrrev_b32_e32 v5, 2, v5
	v_cmp_lt_i32_e32 vcc_lo, 5, v7
	v_cndmask_b32_e64 v8, 0, 1, vcc_lo
	v_cmp_eq_u32_e32 vcc_lo, 3, v7
	v_cndmask_b32_e64 v7, 0, 1, vcc_lo
	v_cmp_ne_u32_e32 vcc_lo, 0, v4
	v_or_b32_e32 v7, v7, v8
	v_mov_b32_e32 v8, 0x7e00
	v_add_nc_u32_e32 v5, v5, v7
	v_cndmask_b32_e32 v4, 0x7c00, v8, vcc_lo
	v_cmp_gt_i32_e32 vcc_lo, 31, v6
	v_cndmask_b32_e32 v5, 0x7c00, v5, vcc_lo
	v_cmp_eq_u32_e32 vcc_lo, 0x40f, v6
	v_cndmask_b32_e32 v4, v5, v4, vcc_lo
	v_lshrrev_b32_e32 v5, 16, v45
	v_and_or_b32 v4, 0x8000, v5, v4
	global_store_short v[2:3], v4, off
.LBB11_727:
	s_mov_b32 s5, 0
.LBB11_728:
	s_andn2_b32 vcc_lo, exec_lo, s5
	s_cbranch_vccnz .LBB11_744
; %bb.729:
	s_cmp_lt_i32 s4, 2
	s_mov_b32 s5, -1
	s_cbranch_scc1 .LBB11_739
; %bb.730:
	s_cmp_lt_i32 s4, 3
	s_cbranch_scc1 .LBB11_736
; %bb.731:
	s_cmp_gt_i32 s4, 3
	s_cbranch_scc0 .LBB11_733
; %bb.732:
	v_trunc_f64_e32 v[4:5], v[44:45]
	s_mov_b32 s5, 0
	v_ldexp_f64 v[6:7], v[4:5], 0xffffffe0
	v_floor_f64_e32 v[6:7], v[6:7]
	v_fma_f64 v[4:5], 0xc1f00000, v[6:7], v[4:5]
	v_cvt_i32_f64_e32 v6, v[6:7]
	v_cvt_u32_f64_e32 v5, v[4:5]
	global_store_dwordx2 v[2:3], v[5:6], off
.LBB11_733:
	s_andn2_b32 vcc_lo, exec_lo, s5
	s_cbranch_vccnz .LBB11_735
; %bb.734:
	v_cvt_i32_f64_e32 v4, v[44:45]
	global_store_dword v[2:3], v4, off
.LBB11_735:
	s_mov_b32 s5, 0
.LBB11_736:
	s_andn2_b32 vcc_lo, exec_lo, s5
	s_cbranch_vccnz .LBB11_738
; %bb.737:
	v_cvt_i32_f64_e32 v4, v[44:45]
	global_store_short v[2:3], v4, off
.LBB11_738:
	s_mov_b32 s5, 0
.LBB11_739:
	s_andn2_b32 vcc_lo, exec_lo, s5
	s_cbranch_vccnz .LBB11_744
; %bb.740:
	s_cmp_gt_i32 s4, 0
	s_mov_b32 s4, -1
	s_cbranch_scc0 .LBB11_742
; %bb.741:
	v_cvt_i32_f64_e32 v4, v[44:45]
	s_mov_b32 s4, 0
	global_store_byte v[2:3], v4, off
.LBB11_742:
	s_andn2_b32 vcc_lo, exec_lo, s4
	s_cbranch_vccnz .LBB11_744
; %bb.743:
	v_trunc_f64_e32 v[4:5], v[44:45]
	v_ldexp_f64 v[6:7], v[4:5], 0xffffffe0
	v_floor_f64_e32 v[6:7], v[6:7]
	v_fma_f64 v[4:5], 0xc1f00000, v[6:7], v[4:5]
	v_cvt_u32_f64_e32 v4, v[4:5]
	global_store_byte v[2:3], v4, off
.LBB11_744:
.LBB11_745:
	v_add_co_u32 v2, s5, s36, v60
	s_lshr_b32 s4, s28, 8
	v_add_co_ci_u32_e64 v3, null, s37, 0, s5
	s_and_b32 s5, s4, 0xff
	s_cmp_lt_i32 s5, 11
	s_cbranch_scc1 .LBB11_824
; %bb.746:
	s_and_b32 s7, 0xffff, s5
	s_mov_b32 s10, -1
	s_mov_b32 s8, 0
	s_cmp_gt_i32 s7, 25
	s_mov_b32 s9, 0
	s_mov_b32 s4, 0
	s_cbranch_scc0 .LBB11_779
; %bb.747:
	s_cmp_gt_i32 s7, 28
	s_cbranch_scc0 .LBB11_762
; %bb.748:
	s_cmp_gt_i32 s7, 43
	;; [unrolled: 3-line block ×3, first 2 shown]
	s_cbranch_scc0 .LBB11_752
; %bb.750:
	s_mov_b32 s4, -1
	s_mov_b32 s10, 0
	s_cmp_eq_u32 s7, 46
	s_cbranch_scc0 .LBB11_752
; %bb.751:
	v_cvt_f32_f64_e32 v4, v[42:43]
	s_mov_b32 s4, 0
	s_mov_b32 s9, -1
	v_bfe_u32 v5, v4, 16, 1
	v_cmp_o_f32_e32 vcc_lo, v4, v4
	v_add3_u32 v4, v4, v5, 0x7fff
	v_mov_b32_e32 v5, 0x7fc0
	v_cndmask_b32_sdwa v4, v5, v4, vcc_lo dst_sel:DWORD dst_unused:UNUSED_PAD src0_sel:DWORD src1_sel:WORD_1
	global_store_dword v[2:3], v4, off
.LBB11_752:
	s_and_b32 vcc_lo, exec_lo, s10
	s_cbranch_vccz .LBB11_757
; %bb.753:
	s_cmp_eq_u32 s7, 44
	s_mov_b32 s4, -1
	s_cbranch_scc0 .LBB11_757
; %bb.754:
	v_cvt_f32_f64_e32 v4, v[42:43]
	v_mov_b32_e32 v5, 0xff
	s_mov_b32 s9, exec_lo
	v_bfe_u32 v6, v4, 23, 8
	v_cmpx_ne_u32_e32 0xff, v6
	s_cbranch_execz .LBB11_756
; %bb.755:
	v_and_b32_e32 v5, 0x400000, v4
	v_and_or_b32 v6, 0x3fffff, v4, v6
	v_lshrrev_b32_e32 v4, 23, v4
	v_cmp_ne_u32_e32 vcc_lo, 0, v5
	v_cmp_ne_u32_e64 s4, 0, v6
	s_and_b32 s4, vcc_lo, s4
	v_cndmask_b32_e64 v5, 0, 1, s4
	v_add_nc_u32_e32 v5, v4, v5
.LBB11_756:
	s_or_b32 exec_lo, exec_lo, s9
	s_mov_b32 s4, 0
	s_mov_b32 s9, -1
	global_store_byte v[2:3], v5, off
.LBB11_757:
	s_mov_b32 s10, 0
.LBB11_758:
	s_and_b32 vcc_lo, exec_lo, s10
	s_cbranch_vccz .LBB11_761
; %bb.759:
	s_cmp_eq_u32 s7, 29
	s_mov_b32 s4, -1
	s_cbranch_scc0 .LBB11_761
; %bb.760:
	v_trunc_f64_e32 v[4:5], v[42:43]
	s_mov_b32 s4, 0
	s_mov_b32 s9, -1
	v_ldexp_f64 v[6:7], v[4:5], 0xffffffe0
	v_floor_f64_e32 v[6:7], v[6:7]
	v_fma_f64 v[4:5], 0xc1f00000, v[6:7], v[4:5]
	v_cvt_u32_f64_e32 v6, v[6:7]
	v_cvt_u32_f64_e32 v5, v[4:5]
	global_store_dwordx2 v[2:3], v[5:6], off
.LBB11_761:
	s_mov_b32 s10, 0
.LBB11_762:
	s_and_b32 vcc_lo, exec_lo, s10
	s_cbranch_vccz .LBB11_778
; %bb.763:
	s_cmp_lt_i32 s7, 27
	s_mov_b32 s9, -1
	s_cbranch_scc1 .LBB11_769
; %bb.764:
	s_cmp_gt_i32 s7, 27
	s_cbranch_scc0 .LBB11_766
; %bb.765:
	v_cvt_u32_f64_e32 v4, v[42:43]
	s_mov_b32 s9, 0
	global_store_dword v[2:3], v4, off
.LBB11_766:
	s_andn2_b32 vcc_lo, exec_lo, s9
	s_cbranch_vccnz .LBB11_768
; %bb.767:
	v_cvt_u32_f64_e32 v4, v[42:43]
	global_store_short v[2:3], v4, off
.LBB11_768:
	s_mov_b32 s9, 0
.LBB11_769:
	s_andn2_b32 vcc_lo, exec_lo, s9
	s_cbranch_vccnz .LBB11_777
; %bb.770:
	v_cvt_f32_f64_e32 v4, v[42:43]
	v_mov_b32_e32 v6, 0x80
	s_mov_b32 s9, exec_lo
	v_and_b32_e32 v5, 0x7fffffff, v4
	v_cmpx_gt_u32_e32 0x43800000, v5
	s_cbranch_execz .LBB11_776
; %bb.771:
	v_cmp_lt_u32_e32 vcc_lo, 0x3bffffff, v5
	s_mov_b32 s10, 0
                                        ; implicit-def: $vgpr5
	s_and_saveexec_b32 s11, vcc_lo
	s_xor_b32 s11, exec_lo, s11
	s_cbranch_execz .LBB11_1108
; %bb.772:
	v_bfe_u32 v5, v4, 20, 1
	s_mov_b32 s10, exec_lo
	v_add3_u32 v5, v4, v5, 0x487ffff
	v_lshrrev_b32_e32 v5, 20, v5
	s_andn2_saveexec_b32 s11, s11
	s_cbranch_execnz .LBB11_1109
.LBB11_773:
	s_or_b32 exec_lo, exec_lo, s11
	v_mov_b32_e32 v6, 0
	s_and_saveexec_b32 s11, s10
.LBB11_774:
	v_lshrrev_b32_e32 v4, 24, v4
	v_and_or_b32 v6, 0x80, v4, v5
.LBB11_775:
	s_or_b32 exec_lo, exec_lo, s11
.LBB11_776:
	s_or_b32 exec_lo, exec_lo, s9
	global_store_byte v[2:3], v6, off
.LBB11_777:
	s_mov_b32 s9, -1
.LBB11_778:
	s_mov_b32 s10, 0
.LBB11_779:
	s_and_b32 vcc_lo, exec_lo, s10
	s_cbranch_vccz .LBB11_819
; %bb.780:
	s_cmp_gt_i32 s7, 22
	s_mov_b32 s8, -1
	s_cbranch_scc0 .LBB11_812
; %bb.781:
	s_cmp_lt_i32 s7, 24
	s_cbranch_scc1 .LBB11_801
; %bb.782:
	s_cmp_gt_i32 s7, 24
	s_cbranch_scc0 .LBB11_790
; %bb.783:
	v_cvt_f32_f64_e32 v4, v[42:43]
	v_mov_b32_e32 v6, 0x80
	s_mov_b32 s8, exec_lo
	v_and_b32_e32 v5, 0x7fffffff, v4
	v_cmpx_gt_u32_e32 0x47800000, v5
	s_cbranch_execz .LBB11_789
; %bb.784:
	v_cmp_lt_u32_e32 vcc_lo, 0x37ffffff, v5
	s_mov_b32 s9, 0
                                        ; implicit-def: $vgpr5
	s_and_saveexec_b32 s10, vcc_lo
	s_xor_b32 s10, exec_lo, s10
	s_cbranch_execz .LBB11_1111
; %bb.785:
	v_bfe_u32 v5, v4, 21, 1
	s_mov_b32 s9, exec_lo
	v_add3_u32 v5, v4, v5, 0x88fffff
	v_lshrrev_b32_e32 v5, 21, v5
	s_andn2_saveexec_b32 s10, s10
	s_cbranch_execnz .LBB11_1112
.LBB11_786:
	s_or_b32 exec_lo, exec_lo, s10
	v_mov_b32_e32 v6, 0
	s_and_saveexec_b32 s10, s9
.LBB11_787:
	v_lshrrev_b32_e32 v4, 24, v4
	v_and_or_b32 v6, 0x80, v4, v5
.LBB11_788:
	s_or_b32 exec_lo, exec_lo, s10
.LBB11_789:
	s_or_b32 exec_lo, exec_lo, s8
	s_mov_b32 s8, 0
	global_store_byte v[2:3], v6, off
.LBB11_790:
	s_and_b32 vcc_lo, exec_lo, s8
	s_cbranch_vccz .LBB11_800
; %bb.791:
	v_cvt_f32_f64_e32 v4, v[42:43]
	s_mov_b32 s8, exec_lo
                                        ; implicit-def: $vgpr5
	v_and_b32_e32 v6, 0x7fffffff, v4
	v_cmpx_gt_u32_e32 0x43f00000, v6
	s_xor_b32 s8, exec_lo, s8
	s_cbranch_execz .LBB11_797
; %bb.792:
	s_mov_b32 s9, exec_lo
                                        ; implicit-def: $vgpr5
	v_cmpx_lt_u32_e32 0x3c7fffff, v6
	s_xor_b32 s9, exec_lo, s9
; %bb.793:
	v_bfe_u32 v5, v4, 20, 1
	v_add3_u32 v5, v4, v5, 0x407ffff
	v_and_b32_e32 v6, 0xff00000, v5
	v_lshrrev_b32_e32 v5, 20, v5
	v_cmp_ne_u32_e32 vcc_lo, 0x7f00000, v6
	v_cndmask_b32_e32 v5, 0x7e, v5, vcc_lo
; %bb.794:
	s_andn2_saveexec_b32 s9, s9
; %bb.795:
	v_add_f32_e64 v5, 0x46800000, |v4|
; %bb.796:
	s_or_b32 exec_lo, exec_lo, s9
                                        ; implicit-def: $vgpr6
.LBB11_797:
	s_andn2_saveexec_b32 s8, s8
; %bb.798:
	v_mov_b32_e32 v5, 0x7f
	v_cmp_lt_u32_e32 vcc_lo, 0x7f800000, v6
	v_cndmask_b32_e32 v5, 0x7e, v5, vcc_lo
; %bb.799:
	s_or_b32 exec_lo, exec_lo, s8
	v_lshrrev_b32_e32 v4, 24, v4
	v_and_or_b32 v4, 0x80, v4, v5
	global_store_byte v[2:3], v4, off
.LBB11_800:
	s_mov_b32 s8, 0
.LBB11_801:
	s_andn2_b32 vcc_lo, exec_lo, s8
	s_cbranch_vccnz .LBB11_811
; %bb.802:
	v_cvt_f32_f64_e32 v4, v[42:43]
	s_mov_b32 s8, exec_lo
                                        ; implicit-def: $vgpr5
	v_and_b32_e32 v6, 0x7fffffff, v4
	v_cmpx_gt_u32_e32 0x47800000, v6
	s_xor_b32 s8, exec_lo, s8
	s_cbranch_execz .LBB11_808
; %bb.803:
	s_mov_b32 s9, exec_lo
                                        ; implicit-def: $vgpr5
	v_cmpx_lt_u32_e32 0x387fffff, v6
	s_xor_b32 s9, exec_lo, s9
; %bb.804:
	v_bfe_u32 v5, v4, 21, 1
	v_add3_u32 v5, v4, v5, 0x80fffff
	v_lshrrev_b32_e32 v5, 21, v5
; %bb.805:
	s_andn2_saveexec_b32 s9, s9
; %bb.806:
	v_add_f32_e64 v5, 0x43000000, |v4|
; %bb.807:
	s_or_b32 exec_lo, exec_lo, s9
                                        ; implicit-def: $vgpr6
.LBB11_808:
	s_andn2_saveexec_b32 s8, s8
; %bb.809:
	v_mov_b32_e32 v5, 0x7f
	v_cmp_lt_u32_e32 vcc_lo, 0x7f800000, v6
	v_cndmask_b32_e32 v5, 0x7c, v5, vcc_lo
; %bb.810:
	s_or_b32 exec_lo, exec_lo, s8
	v_lshrrev_b32_e32 v4, 24, v4
	v_and_or_b32 v4, 0x80, v4, v5
	global_store_byte v[2:3], v4, off
.LBB11_811:
	s_mov_b32 s8, 0
	s_mov_b32 s9, -1
.LBB11_812:
	s_andn2_b32 vcc_lo, exec_lo, s8
	s_mov_b32 s8, 0
	s_cbranch_vccnz .LBB11_819
; %bb.813:
	s_cmp_gt_i32 s7, 14
	s_mov_b32 s8, -1
	s_cbranch_scc0 .LBB11_817
; %bb.814:
	s_cmp_eq_u32 s7, 15
	s_mov_b32 s4, -1
	s_cbranch_scc0 .LBB11_816
; %bb.815:
	v_cvt_f32_f64_e32 v4, v[42:43]
	s_mov_b32 s4, 0
	s_mov_b32 s9, -1
	v_bfe_u32 v5, v4, 16, 1
	v_cmp_o_f32_e32 vcc_lo, v4, v4
	v_add3_u32 v4, v4, v5, 0x7fff
	v_mov_b32_e32 v5, 0x7fc0
	v_cndmask_b32_sdwa v4, v5, v4, vcc_lo dst_sel:DWORD dst_unused:UNUSED_PAD src0_sel:DWORD src1_sel:WORD_1
	global_store_short v[2:3], v4, off
.LBB11_816:
	s_mov_b32 s8, 0
.LBB11_817:
	s_and_b32 vcc_lo, exec_lo, s8
	s_mov_b32 s8, 0
	s_cbranch_vccz .LBB11_819
; %bb.818:
	s_cmp_lg_u32 s7, 11
	s_mov_b32 s8, -1
	s_cselect_b32 s4, -1, 0
.LBB11_819:
	s_and_b32 vcc_lo, exec_lo, s4
	s_cbranch_vccnz .LBB11_1110
; %bb.820:
	s_andn2_b32 vcc_lo, exec_lo, s8
	s_cbranch_vccnz .LBB11_822
.LBB11_821:
	v_cmp_neq_f64_e32 vcc_lo, 0, v[42:43]
	s_mov_b32 s9, -1
	v_cndmask_b32_e64 v4, 0, 1, vcc_lo
	global_store_byte v[2:3], v4, off
.LBB11_822:
.LBB11_823:
	s_andn2_b32 vcc_lo, exec_lo, s9
	s_cbranch_vccz .LBB11_863
	s_branch .LBB11_1057
.LBB11_824:
	s_mov_b32 s9, 0
	s_cbranch_execz .LBB11_823
; %bb.825:
	s_and_b32 s4, 0xffff, s5
	s_mov_b32 s7, -1
	s_cmp_lt_i32 s4, 5
	s_cbranch_scc1 .LBB11_846
; %bb.826:
	s_cmp_lt_i32 s4, 8
	s_cbranch_scc1 .LBB11_836
; %bb.827:
	s_cmp_lt_i32 s4, 9
	s_cbranch_scc1 .LBB11_833
; %bb.828:
	s_cmp_gt_i32 s4, 9
	s_cbranch_scc0 .LBB11_830
; %bb.829:
	v_mov_b32_e32 v44, 0
	s_mov_b32 s7, 0
	v_mov_b32_e32 v45, v44
	global_store_dwordx4 v[2:3], v[42:45], off
.LBB11_830:
	s_andn2_b32 vcc_lo, exec_lo, s7
	s_cbranch_vccnz .LBB11_832
; %bb.831:
	v_cvt_f32_f64_e32 v4, v[42:43]
	v_mov_b32_e32 v5, 0
	global_store_dwordx2 v[2:3], v[4:5], off
.LBB11_832:
	s_mov_b32 s7, 0
.LBB11_833:
	s_andn2_b32 vcc_lo, exec_lo, s7
	s_cbranch_vccnz .LBB11_835
; %bb.834:
	v_and_or_b32 v4, 0x1ff, v43, v42
	v_lshrrev_b32_e32 v5, 8, v43
	v_bfe_u32 v6, v43, 20, 11
	v_cmp_ne_u32_e32 vcc_lo, 0, v4
	v_sub_nc_u32_e32 v7, 0x3f1, v6
	v_add_nc_u32_e32 v6, 0xfffffc10, v6
	v_cndmask_b32_e64 v4, 0, 1, vcc_lo
	v_and_or_b32 v4, 0xffe, v5, v4
	v_med3_i32 v5, v7, 0, 13
	v_or_b32_e32 v7, 0x1000, v4
	v_lshrrev_b32_e32 v8, v5, v7
	v_lshlrev_b32_e32 v5, v5, v8
	v_cmp_ne_u32_e32 vcc_lo, v5, v7
	v_lshl_or_b32 v7, v6, 12, v4
	v_cndmask_b32_e64 v5, 0, 1, vcc_lo
	v_cmp_gt_i32_e32 vcc_lo, 1, v6
	v_or_b32_e32 v5, v8, v5
	v_cndmask_b32_e32 v5, v7, v5, vcc_lo
	v_and_b32_e32 v7, 7, v5
	v_lshrrev_b32_e32 v5, 2, v5
	v_cmp_lt_i32_e32 vcc_lo, 5, v7
	v_cndmask_b32_e64 v8, 0, 1, vcc_lo
	v_cmp_eq_u32_e32 vcc_lo, 3, v7
	v_cndmask_b32_e64 v7, 0, 1, vcc_lo
	v_cmp_ne_u32_e32 vcc_lo, 0, v4
	v_or_b32_e32 v7, v7, v8
	v_mov_b32_e32 v8, 0x7e00
	v_add_nc_u32_e32 v5, v5, v7
	v_cndmask_b32_e32 v4, 0x7c00, v8, vcc_lo
	v_cmp_gt_i32_e32 vcc_lo, 31, v6
	v_cndmask_b32_e32 v5, 0x7c00, v5, vcc_lo
	v_cmp_eq_u32_e32 vcc_lo, 0x40f, v6
	v_cndmask_b32_e32 v4, v5, v4, vcc_lo
	v_lshrrev_b32_e32 v5, 16, v43
	v_and_or_b32 v4, 0x8000, v5, v4
	v_and_b32_e32 v4, 0xffff, v4
	global_store_dword v[2:3], v4, off
.LBB11_835:
	s_mov_b32 s7, 0
.LBB11_836:
	s_andn2_b32 vcc_lo, exec_lo, s7
	s_cbranch_vccnz .LBB11_845
; %bb.837:
	s_cmp_lt_i32 s4, 6
	s_mov_b32 s7, -1
	s_cbranch_scc1 .LBB11_843
; %bb.838:
	s_cmp_gt_i32 s4, 6
	s_cbranch_scc0 .LBB11_840
; %bb.839:
	s_mov_b32 s7, 0
	global_store_dwordx2 v[2:3], v[42:43], off
.LBB11_840:
	s_andn2_b32 vcc_lo, exec_lo, s7
	s_cbranch_vccnz .LBB11_842
; %bb.841:
	v_cvt_f32_f64_e32 v4, v[42:43]
	global_store_dword v[2:3], v4, off
.LBB11_842:
	s_mov_b32 s7, 0
.LBB11_843:
	s_andn2_b32 vcc_lo, exec_lo, s7
	s_cbranch_vccnz .LBB11_845
; %bb.844:
	v_and_or_b32 v4, 0x1ff, v43, v42
	v_lshrrev_b32_e32 v5, 8, v43
	v_bfe_u32 v6, v43, 20, 11
	v_cmp_ne_u32_e32 vcc_lo, 0, v4
	v_sub_nc_u32_e32 v7, 0x3f1, v6
	v_add_nc_u32_e32 v6, 0xfffffc10, v6
	v_cndmask_b32_e64 v4, 0, 1, vcc_lo
	v_and_or_b32 v4, 0xffe, v5, v4
	v_med3_i32 v5, v7, 0, 13
	v_or_b32_e32 v7, 0x1000, v4
	v_lshrrev_b32_e32 v8, v5, v7
	v_lshlrev_b32_e32 v5, v5, v8
	v_cmp_ne_u32_e32 vcc_lo, v5, v7
	v_lshl_or_b32 v7, v6, 12, v4
	v_cndmask_b32_e64 v5, 0, 1, vcc_lo
	v_cmp_gt_i32_e32 vcc_lo, 1, v6
	v_or_b32_e32 v5, v8, v5
	v_cndmask_b32_e32 v5, v7, v5, vcc_lo
	v_and_b32_e32 v7, 7, v5
	v_lshrrev_b32_e32 v5, 2, v5
	v_cmp_lt_i32_e32 vcc_lo, 5, v7
	v_cndmask_b32_e64 v8, 0, 1, vcc_lo
	v_cmp_eq_u32_e32 vcc_lo, 3, v7
	v_cndmask_b32_e64 v7, 0, 1, vcc_lo
	v_cmp_ne_u32_e32 vcc_lo, 0, v4
	v_or_b32_e32 v7, v7, v8
	v_mov_b32_e32 v8, 0x7e00
	v_add_nc_u32_e32 v5, v5, v7
	v_cndmask_b32_e32 v4, 0x7c00, v8, vcc_lo
	v_cmp_gt_i32_e32 vcc_lo, 31, v6
	v_cndmask_b32_e32 v5, 0x7c00, v5, vcc_lo
	v_cmp_eq_u32_e32 vcc_lo, 0x40f, v6
	v_cndmask_b32_e32 v4, v5, v4, vcc_lo
	v_lshrrev_b32_e32 v5, 16, v43
	v_and_or_b32 v4, 0x8000, v5, v4
	global_store_short v[2:3], v4, off
.LBB11_845:
	s_mov_b32 s7, 0
.LBB11_846:
	s_andn2_b32 vcc_lo, exec_lo, s7
	s_cbranch_vccnz .LBB11_862
; %bb.847:
	s_cmp_lt_i32 s4, 2
	s_mov_b32 s7, -1
	s_cbranch_scc1 .LBB11_857
; %bb.848:
	s_cmp_lt_i32 s4, 3
	s_cbranch_scc1 .LBB11_854
; %bb.849:
	s_cmp_gt_i32 s4, 3
	s_cbranch_scc0 .LBB11_851
; %bb.850:
	v_trunc_f64_e32 v[4:5], v[42:43]
	s_mov_b32 s7, 0
	v_ldexp_f64 v[6:7], v[4:5], 0xffffffe0
	v_floor_f64_e32 v[6:7], v[6:7]
	v_fma_f64 v[4:5], 0xc1f00000, v[6:7], v[4:5]
	v_cvt_i32_f64_e32 v6, v[6:7]
	v_cvt_u32_f64_e32 v5, v[4:5]
	global_store_dwordx2 v[2:3], v[5:6], off
.LBB11_851:
	s_andn2_b32 vcc_lo, exec_lo, s7
	s_cbranch_vccnz .LBB11_853
; %bb.852:
	v_cvt_i32_f64_e32 v4, v[42:43]
	global_store_dword v[2:3], v4, off
.LBB11_853:
	s_mov_b32 s7, 0
.LBB11_854:
	s_andn2_b32 vcc_lo, exec_lo, s7
	s_cbranch_vccnz .LBB11_856
; %bb.855:
	v_cvt_i32_f64_e32 v4, v[42:43]
	global_store_short v[2:3], v4, off
.LBB11_856:
	s_mov_b32 s7, 0
.LBB11_857:
	s_andn2_b32 vcc_lo, exec_lo, s7
	s_cbranch_vccnz .LBB11_862
; %bb.858:
	s_cmp_gt_i32 s4, 0
	s_mov_b32 s4, -1
	s_cbranch_scc0 .LBB11_860
; %bb.859:
	v_cvt_i32_f64_e32 v4, v[42:43]
	s_mov_b32 s4, 0
	global_store_byte v[2:3], v4, off
.LBB11_860:
	s_andn2_b32 vcc_lo, exec_lo, s4
	s_cbranch_vccnz .LBB11_862
; %bb.861:
	v_trunc_f64_e32 v[4:5], v[42:43]
	v_ldexp_f64 v[6:7], v[4:5], 0xffffffe0
	v_floor_f64_e32 v[6:7], v[6:7]
	v_fma_f64 v[4:5], 0xc1f00000, v[6:7], v[4:5]
	v_cvt_u32_f64_e32 v4, v[4:5]
	global_store_byte v[2:3], v4, off
.LBB11_862:
.LBB11_863:
	v_add_co_u32 v2, s4, s36, v58
	v_add_co_ci_u32_e64 v3, null, s37, 0, s4
	s_cmp_lt_i32 s5, 11
	s_cbranch_scc1 .LBB11_1018
; %bb.864:
	s_and_b32 s7, 0xffff, s5
	s_mov_b32 s10, -1
	s_mov_b32 s8, 0
	s_cmp_gt_i32 s7, 25
	s_mov_b32 s9, 0
	s_mov_b32 s4, 0
	s_cbranch_scc0 .LBB11_897
; %bb.865:
	s_cmp_gt_i32 s7, 28
	s_cbranch_scc0 .LBB11_880
; %bb.866:
	s_cmp_gt_i32 s7, 43
	;; [unrolled: 3-line block ×3, first 2 shown]
	s_cbranch_scc0 .LBB11_870
; %bb.868:
	s_mov_b32 s4, -1
	s_mov_b32 s10, 0
	s_cmp_eq_u32 s7, 46
	s_cbranch_scc0 .LBB11_870
; %bb.869:
	v_cvt_f32_f64_e32 v4, v[40:41]
	s_mov_b32 s4, 0
	s_mov_b32 s9, -1
	v_bfe_u32 v5, v4, 16, 1
	v_cmp_o_f32_e32 vcc_lo, v4, v4
	v_add3_u32 v4, v4, v5, 0x7fff
	v_mov_b32_e32 v5, 0x7fc0
	v_cndmask_b32_sdwa v4, v5, v4, vcc_lo dst_sel:DWORD dst_unused:UNUSED_PAD src0_sel:DWORD src1_sel:WORD_1
	global_store_dword v[2:3], v4, off
.LBB11_870:
	s_and_b32 vcc_lo, exec_lo, s10
	s_cbranch_vccz .LBB11_875
; %bb.871:
	s_cmp_eq_u32 s7, 44
	s_mov_b32 s4, -1
	s_cbranch_scc0 .LBB11_875
; %bb.872:
	v_cvt_f32_f64_e32 v4, v[40:41]
	v_mov_b32_e32 v5, 0xff
	s_mov_b32 s9, exec_lo
	v_bfe_u32 v6, v4, 23, 8
	v_cmpx_ne_u32_e32 0xff, v6
	s_cbranch_execz .LBB11_874
; %bb.873:
	v_and_b32_e32 v5, 0x400000, v4
	v_and_or_b32 v6, 0x3fffff, v4, v6
	v_lshrrev_b32_e32 v4, 23, v4
	v_cmp_ne_u32_e32 vcc_lo, 0, v5
	v_cmp_ne_u32_e64 s4, 0, v6
	s_and_b32 s4, vcc_lo, s4
	v_cndmask_b32_e64 v5, 0, 1, s4
	v_add_nc_u32_e32 v5, v4, v5
.LBB11_874:
	s_or_b32 exec_lo, exec_lo, s9
	s_mov_b32 s4, 0
	s_mov_b32 s9, -1
	global_store_byte v[2:3], v5, off
.LBB11_875:
	s_mov_b32 s10, 0
.LBB11_876:
	s_and_b32 vcc_lo, exec_lo, s10
	s_cbranch_vccz .LBB11_879
; %bb.877:
	s_cmp_eq_u32 s7, 29
	s_mov_b32 s4, -1
	s_cbranch_scc0 .LBB11_879
; %bb.878:
	v_trunc_f64_e32 v[4:5], v[40:41]
	s_mov_b32 s4, 0
	s_mov_b32 s9, -1
	v_ldexp_f64 v[6:7], v[4:5], 0xffffffe0
	v_floor_f64_e32 v[6:7], v[6:7]
	v_fma_f64 v[4:5], 0xc1f00000, v[6:7], v[4:5]
	v_cvt_u32_f64_e32 v6, v[6:7]
	v_cvt_u32_f64_e32 v5, v[4:5]
	global_store_dwordx2 v[2:3], v[5:6], off
.LBB11_879:
	s_mov_b32 s10, 0
.LBB11_880:
	s_and_b32 vcc_lo, exec_lo, s10
	s_cbranch_vccz .LBB11_896
; %bb.881:
	s_cmp_lt_i32 s7, 27
	s_mov_b32 s9, -1
	s_cbranch_scc1 .LBB11_887
; %bb.882:
	v_cvt_u32_f64_e32 v4, v[40:41]
	s_cmp_gt_i32 s7, 27
	s_cbranch_scc0 .LBB11_884
; %bb.883:
	s_mov_b32 s9, 0
	global_store_dword v[2:3], v4, off
.LBB11_884:
	s_andn2_b32 vcc_lo, exec_lo, s9
	s_cbranch_vccnz .LBB11_886
; %bb.885:
	global_store_short v[2:3], v4, off
.LBB11_886:
	s_mov_b32 s9, 0
.LBB11_887:
	s_andn2_b32 vcc_lo, exec_lo, s9
	s_cbranch_vccnz .LBB11_895
; %bb.888:
	v_cvt_f32_f64_e32 v4, v[40:41]
	v_mov_b32_e32 v6, 0x80
	s_mov_b32 s9, exec_lo
	v_and_b32_e32 v5, 0x7fffffff, v4
	v_cmpx_gt_u32_e32 0x43800000, v5
	s_cbranch_execz .LBB11_894
; %bb.889:
	v_cmp_lt_u32_e32 vcc_lo, 0x3bffffff, v5
	s_mov_b32 s10, 0
                                        ; implicit-def: $vgpr5
	s_and_saveexec_b32 s11, vcc_lo
	s_xor_b32 s11, exec_lo, s11
	s_cbranch_execz .LBB11_1113
; %bb.890:
	v_bfe_u32 v5, v4, 20, 1
	s_mov_b32 s10, exec_lo
	v_add3_u32 v5, v4, v5, 0x487ffff
	v_lshrrev_b32_e32 v5, 20, v5
	s_andn2_saveexec_b32 s11, s11
	s_cbranch_execnz .LBB11_1114
.LBB11_891:
	s_or_b32 exec_lo, exec_lo, s11
	v_mov_b32_e32 v6, 0
	s_and_saveexec_b32 s11, s10
.LBB11_892:
	v_lshrrev_b32_e32 v4, 24, v4
	v_and_or_b32 v6, 0x80, v4, v5
.LBB11_893:
	s_or_b32 exec_lo, exec_lo, s11
.LBB11_894:
	s_or_b32 exec_lo, exec_lo, s9
	global_store_byte v[2:3], v6, off
.LBB11_895:
	s_mov_b32 s9, -1
.LBB11_896:
	s_mov_b32 s10, 0
.LBB11_897:
	s_and_b32 vcc_lo, exec_lo, s10
	s_cbranch_vccz .LBB11_937
; %bb.898:
	s_cmp_gt_i32 s7, 22
	s_mov_b32 s8, -1
	s_cbranch_scc0 .LBB11_930
; %bb.899:
	s_cmp_lt_i32 s7, 24
	s_cbranch_scc1 .LBB11_919
; %bb.900:
	s_cmp_gt_i32 s7, 24
	s_cbranch_scc0 .LBB11_908
; %bb.901:
	v_cvt_f32_f64_e32 v4, v[40:41]
	v_mov_b32_e32 v6, 0x80
	s_mov_b32 s8, exec_lo
	v_and_b32_e32 v5, 0x7fffffff, v4
	v_cmpx_gt_u32_e32 0x47800000, v5
	s_cbranch_execz .LBB11_907
; %bb.902:
	v_cmp_lt_u32_e32 vcc_lo, 0x37ffffff, v5
	s_mov_b32 s9, 0
                                        ; implicit-def: $vgpr5
	s_and_saveexec_b32 s10, vcc_lo
	s_xor_b32 s10, exec_lo, s10
	s_cbranch_execz .LBB11_1116
; %bb.903:
	v_bfe_u32 v5, v4, 21, 1
	s_mov_b32 s9, exec_lo
	v_add3_u32 v5, v4, v5, 0x88fffff
	v_lshrrev_b32_e32 v5, 21, v5
	s_andn2_saveexec_b32 s10, s10
	s_cbranch_execnz .LBB11_1117
.LBB11_904:
	s_or_b32 exec_lo, exec_lo, s10
	v_mov_b32_e32 v6, 0
	s_and_saveexec_b32 s10, s9
.LBB11_905:
	v_lshrrev_b32_e32 v4, 24, v4
	v_and_or_b32 v6, 0x80, v4, v5
.LBB11_906:
	s_or_b32 exec_lo, exec_lo, s10
.LBB11_907:
	s_or_b32 exec_lo, exec_lo, s8
	s_mov_b32 s8, 0
	global_store_byte v[2:3], v6, off
.LBB11_908:
	s_and_b32 vcc_lo, exec_lo, s8
	s_cbranch_vccz .LBB11_918
; %bb.909:
	v_cvt_f32_f64_e32 v4, v[40:41]
	s_mov_b32 s8, exec_lo
                                        ; implicit-def: $vgpr5
	v_and_b32_e32 v6, 0x7fffffff, v4
	v_cmpx_gt_u32_e32 0x43f00000, v6
	s_xor_b32 s8, exec_lo, s8
	s_cbranch_execz .LBB11_915
; %bb.910:
	s_mov_b32 s9, exec_lo
                                        ; implicit-def: $vgpr5
	v_cmpx_lt_u32_e32 0x3c7fffff, v6
	s_xor_b32 s9, exec_lo, s9
; %bb.911:
	v_bfe_u32 v5, v4, 20, 1
	v_add3_u32 v5, v4, v5, 0x407ffff
	v_and_b32_e32 v6, 0xff00000, v5
	v_lshrrev_b32_e32 v5, 20, v5
	v_cmp_ne_u32_e32 vcc_lo, 0x7f00000, v6
	v_cndmask_b32_e32 v5, 0x7e, v5, vcc_lo
; %bb.912:
	s_andn2_saveexec_b32 s9, s9
; %bb.913:
	v_add_f32_e64 v5, 0x46800000, |v4|
; %bb.914:
	s_or_b32 exec_lo, exec_lo, s9
                                        ; implicit-def: $vgpr6
.LBB11_915:
	s_andn2_saveexec_b32 s8, s8
; %bb.916:
	v_mov_b32_e32 v5, 0x7f
	v_cmp_lt_u32_e32 vcc_lo, 0x7f800000, v6
	v_cndmask_b32_e32 v5, 0x7e, v5, vcc_lo
; %bb.917:
	s_or_b32 exec_lo, exec_lo, s8
	v_lshrrev_b32_e32 v4, 24, v4
	v_and_or_b32 v4, 0x80, v4, v5
	global_store_byte v[2:3], v4, off
.LBB11_918:
	s_mov_b32 s8, 0
.LBB11_919:
	s_andn2_b32 vcc_lo, exec_lo, s8
	s_cbranch_vccnz .LBB11_929
; %bb.920:
	v_cvt_f32_f64_e32 v4, v[40:41]
	s_mov_b32 s8, exec_lo
                                        ; implicit-def: $vgpr5
	v_and_b32_e32 v6, 0x7fffffff, v4
	v_cmpx_gt_u32_e32 0x47800000, v6
	s_xor_b32 s8, exec_lo, s8
	s_cbranch_execz .LBB11_926
; %bb.921:
	s_mov_b32 s9, exec_lo
                                        ; implicit-def: $vgpr5
	v_cmpx_lt_u32_e32 0x387fffff, v6
	s_xor_b32 s9, exec_lo, s9
; %bb.922:
	v_bfe_u32 v5, v4, 21, 1
	v_add3_u32 v5, v4, v5, 0x80fffff
	v_lshrrev_b32_e32 v5, 21, v5
; %bb.923:
	s_andn2_saveexec_b32 s9, s9
; %bb.924:
	v_add_f32_e64 v5, 0x43000000, |v4|
; %bb.925:
	s_or_b32 exec_lo, exec_lo, s9
                                        ; implicit-def: $vgpr6
.LBB11_926:
	s_andn2_saveexec_b32 s8, s8
; %bb.927:
	v_mov_b32_e32 v5, 0x7f
	v_cmp_lt_u32_e32 vcc_lo, 0x7f800000, v6
	v_cndmask_b32_e32 v5, 0x7c, v5, vcc_lo
; %bb.928:
	s_or_b32 exec_lo, exec_lo, s8
	v_lshrrev_b32_e32 v4, 24, v4
	v_and_or_b32 v4, 0x80, v4, v5
	global_store_byte v[2:3], v4, off
.LBB11_929:
	s_mov_b32 s8, 0
	s_mov_b32 s9, -1
.LBB11_930:
	s_andn2_b32 vcc_lo, exec_lo, s8
	s_mov_b32 s8, 0
	s_cbranch_vccnz .LBB11_937
; %bb.931:
	s_cmp_gt_i32 s7, 14
	s_mov_b32 s8, -1
	s_cbranch_scc0 .LBB11_935
; %bb.932:
	s_cmp_eq_u32 s7, 15
	s_mov_b32 s4, -1
	s_cbranch_scc0 .LBB11_934
; %bb.933:
	v_cvt_f32_f64_e32 v4, v[40:41]
	s_mov_b32 s4, 0
	s_mov_b32 s9, -1
	v_bfe_u32 v5, v4, 16, 1
	v_cmp_o_f32_e32 vcc_lo, v4, v4
	v_add3_u32 v4, v4, v5, 0x7fff
	v_mov_b32_e32 v5, 0x7fc0
	v_cndmask_b32_sdwa v4, v5, v4, vcc_lo dst_sel:DWORD dst_unused:UNUSED_PAD src0_sel:DWORD src1_sel:WORD_1
	global_store_short v[2:3], v4, off
.LBB11_934:
	s_mov_b32 s8, 0
.LBB11_935:
	s_and_b32 vcc_lo, exec_lo, s8
	s_mov_b32 s8, 0
	s_cbranch_vccz .LBB11_937
; %bb.936:
	s_cmp_lg_u32 s7, 11
	s_mov_b32 s8, -1
	s_cselect_b32 s4, -1, 0
.LBB11_937:
	s_and_b32 vcc_lo, exec_lo, s4
	s_cbranch_vccnz .LBB11_1115
; %bb.938:
	s_andn2_b32 vcc_lo, exec_lo, s8
	s_cbranch_vccnz .LBB11_940
.LBB11_939:
	v_cmp_neq_f64_e32 vcc_lo, 0, v[40:41]
	s_mov_b32 s9, -1
	v_cndmask_b32_e64 v4, 0, 1, vcc_lo
	global_store_byte v[2:3], v4, off
.LBB11_940:
.LBB11_941:
	s_andn2_b32 vcc_lo, exec_lo, s9
	s_cbranch_vccnz .LBB11_1057
.LBB11_942:
	v_add_co_u32 v4, s4, s36, v56
	v_add_co_ci_u32_e64 v5, null, s37, 0, s4
	s_cmp_lt_i32 s5, 11
	s_cbranch_scc1 .LBB11_1102
; %bb.943:
	s_and_b32 s7, 0xffff, s5
	s_mov_b32 s9, -1
	s_mov_b32 s8, 0
	s_cmp_gt_i32 s7, 25
	s_mov_b32 s4, 0
	s_cbranch_scc0 .LBB11_976
; %bb.944:
	s_cmp_gt_i32 s7, 28
	s_cbranch_scc0 .LBB11_960
; %bb.945:
	s_cmp_gt_i32 s7, 43
	s_cbranch_scc0 .LBB11_956
; %bb.946:
	s_cmp_gt_i32 s7, 45
	s_cbranch_scc0 .LBB11_950
; %bb.947:
	s_cmp_eq_u32 s7, 46
	s_mov_b32 s4, -1
	s_cbranch_scc0 .LBB11_949
; %bb.948:
	v_cvt_f32_f64_e32 v2, v[0:1]
	s_mov_b32 s4, 0
	v_bfe_u32 v3, v2, 16, 1
	v_cmp_o_f32_e32 vcc_lo, v2, v2
	v_add3_u32 v2, v2, v3, 0x7fff
	v_mov_b32_e32 v3, 0x7fc0
	v_cndmask_b32_sdwa v2, v3, v2, vcc_lo dst_sel:DWORD dst_unused:UNUSED_PAD src0_sel:DWORD src1_sel:WORD_1
	global_store_dword v[4:5], v2, off
.LBB11_949:
	s_mov_b32 s9, 0
.LBB11_950:
	s_and_b32 vcc_lo, exec_lo, s9
	s_cbranch_vccz .LBB11_955
; %bb.951:
	s_cmp_eq_u32 s7, 44
	s_mov_b32 s4, -1
	s_cbranch_scc0 .LBB11_955
; %bb.952:
	v_cvt_f32_f64_e32 v2, v[0:1]
	v_mov_b32_e32 v3, 0xff
	s_mov_b32 s9, exec_lo
	v_bfe_u32 v6, v2, 23, 8
	v_cmpx_ne_u32_e32 0xff, v6
	s_cbranch_execz .LBB11_954
; %bb.953:
	v_and_b32_e32 v3, 0x400000, v2
	v_and_or_b32 v6, 0x3fffff, v2, v6
	v_lshrrev_b32_e32 v2, 23, v2
	v_cmp_ne_u32_e32 vcc_lo, 0, v3
	v_cmp_ne_u32_e64 s4, 0, v6
	s_and_b32 s4, vcc_lo, s4
	v_cndmask_b32_e64 v3, 0, 1, s4
	v_add_nc_u32_e32 v3, v2, v3
.LBB11_954:
	s_or_b32 exec_lo, exec_lo, s9
	s_mov_b32 s4, 0
	global_store_byte v[4:5], v3, off
.LBB11_955:
	s_mov_b32 s9, 0
.LBB11_956:
	s_and_b32 vcc_lo, exec_lo, s9
	s_cbranch_vccz .LBB11_959
; %bb.957:
	s_cmp_eq_u32 s7, 29
	s_mov_b32 s4, -1
	s_cbranch_scc0 .LBB11_959
; %bb.958:
	v_trunc_f64_e32 v[2:3], v[0:1]
	s_mov_b32 s4, 0
	v_ldexp_f64 v[6:7], v[2:3], 0xffffffe0
	v_floor_f64_e32 v[6:7], v[6:7]
	v_fma_f64 v[2:3], 0xc1f00000, v[6:7], v[2:3]
	v_cvt_u32_f64_e32 v7, v[6:7]
	v_cvt_u32_f64_e32 v6, v[2:3]
	global_store_dwordx2 v[4:5], v[6:7], off
.LBB11_959:
	s_mov_b32 s9, 0
.LBB11_960:
	s_and_b32 vcc_lo, exec_lo, s9
	s_cbranch_vccz .LBB11_975
; %bb.961:
	s_cmp_lt_i32 s7, 27
	s_mov_b32 s9, -1
	s_cbranch_scc1 .LBB11_967
; %bb.962:
	v_cvt_u32_f64_e32 v2, v[0:1]
	s_cmp_gt_i32 s7, 27
	s_cbranch_scc0 .LBB11_964
; %bb.963:
	s_mov_b32 s9, 0
	global_store_dword v[4:5], v2, off
.LBB11_964:
	s_andn2_b32 vcc_lo, exec_lo, s9
	s_cbranch_vccnz .LBB11_966
; %bb.965:
	global_store_short v[4:5], v2, off
.LBB11_966:
	s_mov_b32 s9, 0
.LBB11_967:
	s_andn2_b32 vcc_lo, exec_lo, s9
	s_cbranch_vccnz .LBB11_975
; %bb.968:
	v_cvt_f32_f64_e32 v2, v[0:1]
	v_mov_b32_e32 v6, 0x80
	s_mov_b32 s9, exec_lo
	v_and_b32_e32 v3, 0x7fffffff, v2
	v_cmpx_gt_u32_e32 0x43800000, v3
	s_cbranch_execz .LBB11_974
; %bb.969:
	v_cmp_lt_u32_e32 vcc_lo, 0x3bffffff, v3
	s_mov_b32 s10, 0
                                        ; implicit-def: $vgpr3
	s_and_saveexec_b32 s11, vcc_lo
	s_xor_b32 s11, exec_lo, s11
	s_cbranch_execz .LBB11_1118
; %bb.970:
	v_bfe_u32 v3, v2, 20, 1
	s_mov_b32 s10, exec_lo
	v_add3_u32 v3, v2, v3, 0x487ffff
	v_lshrrev_b32_e32 v3, 20, v3
	s_andn2_saveexec_b32 s11, s11
	s_cbranch_execnz .LBB11_1119
.LBB11_971:
	s_or_b32 exec_lo, exec_lo, s11
	v_mov_b32_e32 v6, 0
	s_and_saveexec_b32 s11, s10
.LBB11_972:
	v_lshrrev_b32_e32 v2, 24, v2
	v_and_or_b32 v6, 0x80, v2, v3
.LBB11_973:
	s_or_b32 exec_lo, exec_lo, s11
.LBB11_974:
	s_or_b32 exec_lo, exec_lo, s9
	global_store_byte v[4:5], v6, off
.LBB11_975:
	s_mov_b32 s9, 0
.LBB11_976:
	s_and_b32 vcc_lo, exec_lo, s9
	s_cbranch_vccz .LBB11_1016
; %bb.977:
	s_cmp_gt_i32 s7, 22
	s_mov_b32 s8, -1
	s_cbranch_scc0 .LBB11_1009
; %bb.978:
	s_cmp_lt_i32 s7, 24
	s_cbranch_scc1 .LBB11_998
; %bb.979:
	s_cmp_gt_i32 s7, 24
	s_cbranch_scc0 .LBB11_987
; %bb.980:
	v_cvt_f32_f64_e32 v2, v[0:1]
	v_mov_b32_e32 v6, 0x80
	s_mov_b32 s8, exec_lo
	v_and_b32_e32 v3, 0x7fffffff, v2
	v_cmpx_gt_u32_e32 0x47800000, v3
	s_cbranch_execz .LBB11_986
; %bb.981:
	v_cmp_lt_u32_e32 vcc_lo, 0x37ffffff, v3
	s_mov_b32 s9, 0
                                        ; implicit-def: $vgpr3
	s_and_saveexec_b32 s10, vcc_lo
	s_xor_b32 s10, exec_lo, s10
	s_cbranch_execz .LBB11_1123
; %bb.982:
	v_bfe_u32 v3, v2, 21, 1
	s_mov_b32 s9, exec_lo
	v_add3_u32 v3, v2, v3, 0x88fffff
	v_lshrrev_b32_e32 v3, 21, v3
	s_andn2_saveexec_b32 s10, s10
	s_cbranch_execnz .LBB11_1124
.LBB11_983:
	s_or_b32 exec_lo, exec_lo, s10
	v_mov_b32_e32 v6, 0
	s_and_saveexec_b32 s10, s9
.LBB11_984:
	v_lshrrev_b32_e32 v2, 24, v2
	v_and_or_b32 v6, 0x80, v2, v3
.LBB11_985:
	s_or_b32 exec_lo, exec_lo, s10
.LBB11_986:
	s_or_b32 exec_lo, exec_lo, s8
	s_mov_b32 s8, 0
	global_store_byte v[4:5], v6, off
.LBB11_987:
	s_and_b32 vcc_lo, exec_lo, s8
	s_cbranch_vccz .LBB11_997
; %bb.988:
	v_cvt_f32_f64_e32 v2, v[0:1]
	s_mov_b32 s8, exec_lo
                                        ; implicit-def: $vgpr3
	v_and_b32_e32 v6, 0x7fffffff, v2
	v_cmpx_gt_u32_e32 0x43f00000, v6
	s_xor_b32 s8, exec_lo, s8
	s_cbranch_execz .LBB11_994
; %bb.989:
	s_mov_b32 s9, exec_lo
                                        ; implicit-def: $vgpr3
	v_cmpx_lt_u32_e32 0x3c7fffff, v6
	s_xor_b32 s9, exec_lo, s9
; %bb.990:
	v_bfe_u32 v3, v2, 20, 1
	v_add3_u32 v3, v2, v3, 0x407ffff
	v_and_b32_e32 v6, 0xff00000, v3
	v_lshrrev_b32_e32 v3, 20, v3
	v_cmp_ne_u32_e32 vcc_lo, 0x7f00000, v6
	v_cndmask_b32_e32 v3, 0x7e, v3, vcc_lo
; %bb.991:
	s_andn2_saveexec_b32 s9, s9
; %bb.992:
	v_add_f32_e64 v3, 0x46800000, |v2|
; %bb.993:
	s_or_b32 exec_lo, exec_lo, s9
                                        ; implicit-def: $vgpr6
.LBB11_994:
	s_andn2_saveexec_b32 s8, s8
; %bb.995:
	v_mov_b32_e32 v3, 0x7f
	v_cmp_lt_u32_e32 vcc_lo, 0x7f800000, v6
	v_cndmask_b32_e32 v3, 0x7e, v3, vcc_lo
; %bb.996:
	s_or_b32 exec_lo, exec_lo, s8
	v_lshrrev_b32_e32 v2, 24, v2
	v_and_or_b32 v2, 0x80, v2, v3
	global_store_byte v[4:5], v2, off
.LBB11_997:
	s_mov_b32 s8, 0
.LBB11_998:
	s_andn2_b32 vcc_lo, exec_lo, s8
	s_cbranch_vccnz .LBB11_1008
; %bb.999:
	v_cvt_f32_f64_e32 v2, v[0:1]
	s_mov_b32 s8, exec_lo
                                        ; implicit-def: $vgpr3
	v_and_b32_e32 v6, 0x7fffffff, v2
	v_cmpx_gt_u32_e32 0x47800000, v6
	s_xor_b32 s8, exec_lo, s8
	s_cbranch_execz .LBB11_1005
; %bb.1000:
	s_mov_b32 s9, exec_lo
                                        ; implicit-def: $vgpr3
	v_cmpx_lt_u32_e32 0x387fffff, v6
	s_xor_b32 s9, exec_lo, s9
; %bb.1001:
	v_bfe_u32 v3, v2, 21, 1
	v_add3_u32 v3, v2, v3, 0x80fffff
	v_lshrrev_b32_e32 v3, 21, v3
; %bb.1002:
	s_andn2_saveexec_b32 s9, s9
; %bb.1003:
	v_add_f32_e64 v3, 0x43000000, |v2|
; %bb.1004:
	s_or_b32 exec_lo, exec_lo, s9
                                        ; implicit-def: $vgpr6
.LBB11_1005:
	s_andn2_saveexec_b32 s8, s8
; %bb.1006:
	v_mov_b32_e32 v3, 0x7f
	v_cmp_lt_u32_e32 vcc_lo, 0x7f800000, v6
	v_cndmask_b32_e32 v3, 0x7c, v3, vcc_lo
; %bb.1007:
	s_or_b32 exec_lo, exec_lo, s8
	v_lshrrev_b32_e32 v2, 24, v2
	v_and_or_b32 v2, 0x80, v2, v3
	global_store_byte v[4:5], v2, off
.LBB11_1008:
	s_mov_b32 s8, 0
.LBB11_1009:
	s_andn2_b32 vcc_lo, exec_lo, s8
	s_mov_b32 s8, 0
	s_cbranch_vccnz .LBB11_1016
; %bb.1010:
	s_cmp_gt_i32 s7, 14
	s_mov_b32 s8, -1
	s_cbranch_scc0 .LBB11_1014
; %bb.1011:
	s_cmp_eq_u32 s7, 15
	s_mov_b32 s4, -1
	s_cbranch_scc0 .LBB11_1013
; %bb.1012:
	v_cvt_f32_f64_e32 v2, v[0:1]
	s_mov_b32 s4, 0
	v_bfe_u32 v3, v2, 16, 1
	v_cmp_o_f32_e32 vcc_lo, v2, v2
	v_add3_u32 v2, v2, v3, 0x7fff
	v_mov_b32_e32 v3, 0x7fc0
	v_cndmask_b32_sdwa v2, v3, v2, vcc_lo dst_sel:DWORD dst_unused:UNUSED_PAD src0_sel:DWORD src1_sel:WORD_1
	global_store_short v[4:5], v2, off
.LBB11_1013:
	s_mov_b32 s8, 0
.LBB11_1014:
	s_and_b32 vcc_lo, exec_lo, s8
	s_mov_b32 s8, 0
	s_cbranch_vccz .LBB11_1016
; %bb.1015:
	s_cmp_lg_u32 s7, 11
	s_mov_b32 s8, -1
	s_cselect_b32 s4, -1, 0
.LBB11_1016:
	s_and_b32 vcc_lo, exec_lo, s4
	s_cbranch_vccnz .LBB11_1120
.LBB11_1017:
	s_mov_b32 s4, 0
	s_branch .LBB11_1058
.LBB11_1018:
	s_mov_b32 s9, 0
	s_cbranch_execz .LBB11_941
; %bb.1019:
	s_and_b32 s4, 0xffff, s5
	s_mov_b32 s7, -1
	s_cmp_lt_i32 s4, 5
	s_cbranch_scc1 .LBB11_1040
; %bb.1020:
	s_cmp_lt_i32 s4, 8
	s_cbranch_scc1 .LBB11_1030
; %bb.1021:
	;; [unrolled: 3-line block ×3, first 2 shown]
	s_cmp_gt_i32 s4, 9
	s_cbranch_scc0 .LBB11_1024
; %bb.1023:
	v_mov_b32_e32 v42, 0
	s_mov_b32 s7, 0
	v_mov_b32_e32 v43, v42
	global_store_dwordx4 v[2:3], v[40:43], off
.LBB11_1024:
	s_andn2_b32 vcc_lo, exec_lo, s7
	s_cbranch_vccnz .LBB11_1026
; %bb.1025:
	v_cvt_f32_f64_e32 v4, v[40:41]
	v_mov_b32_e32 v5, 0
	global_store_dwordx2 v[2:3], v[4:5], off
.LBB11_1026:
	s_mov_b32 s7, 0
.LBB11_1027:
	s_andn2_b32 vcc_lo, exec_lo, s7
	s_cbranch_vccnz .LBB11_1029
; %bb.1028:
	v_and_or_b32 v4, 0x1ff, v41, v40
	v_lshrrev_b32_e32 v5, 8, v41
	v_bfe_u32 v6, v41, 20, 11
	v_cmp_ne_u32_e32 vcc_lo, 0, v4
	v_sub_nc_u32_e32 v7, 0x3f1, v6
	v_add_nc_u32_e32 v6, 0xfffffc10, v6
	v_cndmask_b32_e64 v4, 0, 1, vcc_lo
	v_and_or_b32 v4, 0xffe, v5, v4
	v_med3_i32 v5, v7, 0, 13
	v_or_b32_e32 v7, 0x1000, v4
	v_lshrrev_b32_e32 v8, v5, v7
	v_lshlrev_b32_e32 v5, v5, v8
	v_cmp_ne_u32_e32 vcc_lo, v5, v7
	v_lshl_or_b32 v7, v6, 12, v4
	v_cndmask_b32_e64 v5, 0, 1, vcc_lo
	v_cmp_gt_i32_e32 vcc_lo, 1, v6
	v_or_b32_e32 v5, v8, v5
	v_cndmask_b32_e32 v5, v7, v5, vcc_lo
	v_and_b32_e32 v7, 7, v5
	v_lshrrev_b32_e32 v5, 2, v5
	v_cmp_lt_i32_e32 vcc_lo, 5, v7
	v_cndmask_b32_e64 v8, 0, 1, vcc_lo
	v_cmp_eq_u32_e32 vcc_lo, 3, v7
	v_cndmask_b32_e64 v7, 0, 1, vcc_lo
	v_cmp_ne_u32_e32 vcc_lo, 0, v4
	v_or_b32_e32 v7, v7, v8
	v_mov_b32_e32 v8, 0x7e00
	v_add_nc_u32_e32 v5, v5, v7
	v_cndmask_b32_e32 v4, 0x7c00, v8, vcc_lo
	v_cmp_gt_i32_e32 vcc_lo, 31, v6
	v_cndmask_b32_e32 v5, 0x7c00, v5, vcc_lo
	v_cmp_eq_u32_e32 vcc_lo, 0x40f, v6
	v_cndmask_b32_e32 v4, v5, v4, vcc_lo
	v_lshrrev_b32_e32 v5, 16, v41
	v_and_or_b32 v4, 0x8000, v5, v4
	v_and_b32_e32 v4, 0xffff, v4
	global_store_dword v[2:3], v4, off
.LBB11_1029:
	s_mov_b32 s7, 0
.LBB11_1030:
	s_andn2_b32 vcc_lo, exec_lo, s7
	s_cbranch_vccnz .LBB11_1039
; %bb.1031:
	s_cmp_lt_i32 s4, 6
	s_mov_b32 s7, -1
	s_cbranch_scc1 .LBB11_1037
; %bb.1032:
	s_cmp_gt_i32 s4, 6
	s_cbranch_scc0 .LBB11_1034
; %bb.1033:
	s_mov_b32 s7, 0
	global_store_dwordx2 v[2:3], v[40:41], off
.LBB11_1034:
	s_andn2_b32 vcc_lo, exec_lo, s7
	s_cbranch_vccnz .LBB11_1036
; %bb.1035:
	v_cvt_f32_f64_e32 v4, v[40:41]
	global_store_dword v[2:3], v4, off
.LBB11_1036:
	s_mov_b32 s7, 0
.LBB11_1037:
	s_andn2_b32 vcc_lo, exec_lo, s7
	s_cbranch_vccnz .LBB11_1039
; %bb.1038:
	v_and_or_b32 v4, 0x1ff, v41, v40
	v_lshrrev_b32_e32 v5, 8, v41
	v_bfe_u32 v6, v41, 20, 11
	v_cmp_ne_u32_e32 vcc_lo, 0, v4
	v_sub_nc_u32_e32 v7, 0x3f1, v6
	v_add_nc_u32_e32 v6, 0xfffffc10, v6
	v_cndmask_b32_e64 v4, 0, 1, vcc_lo
	v_and_or_b32 v4, 0xffe, v5, v4
	v_med3_i32 v5, v7, 0, 13
	v_or_b32_e32 v7, 0x1000, v4
	v_lshrrev_b32_e32 v8, v5, v7
	v_lshlrev_b32_e32 v5, v5, v8
	v_cmp_ne_u32_e32 vcc_lo, v5, v7
	v_lshl_or_b32 v7, v6, 12, v4
	v_cndmask_b32_e64 v5, 0, 1, vcc_lo
	v_cmp_gt_i32_e32 vcc_lo, 1, v6
	v_or_b32_e32 v5, v8, v5
	v_cndmask_b32_e32 v5, v7, v5, vcc_lo
	v_and_b32_e32 v7, 7, v5
	v_lshrrev_b32_e32 v5, 2, v5
	v_cmp_lt_i32_e32 vcc_lo, 5, v7
	v_cndmask_b32_e64 v8, 0, 1, vcc_lo
	v_cmp_eq_u32_e32 vcc_lo, 3, v7
	v_cndmask_b32_e64 v7, 0, 1, vcc_lo
	v_cmp_ne_u32_e32 vcc_lo, 0, v4
	v_or_b32_e32 v7, v7, v8
	v_mov_b32_e32 v8, 0x7e00
	v_add_nc_u32_e32 v5, v5, v7
	v_cndmask_b32_e32 v4, 0x7c00, v8, vcc_lo
	v_cmp_gt_i32_e32 vcc_lo, 31, v6
	v_cndmask_b32_e32 v5, 0x7c00, v5, vcc_lo
	v_cmp_eq_u32_e32 vcc_lo, 0x40f, v6
	v_cndmask_b32_e32 v4, v5, v4, vcc_lo
	v_lshrrev_b32_e32 v5, 16, v41
	v_and_or_b32 v4, 0x8000, v5, v4
	global_store_short v[2:3], v4, off
.LBB11_1039:
	s_mov_b32 s7, 0
.LBB11_1040:
	s_andn2_b32 vcc_lo, exec_lo, s7
	s_cbranch_vccnz .LBB11_1056
; %bb.1041:
	s_cmp_lt_i32 s4, 2
	s_mov_b32 s7, -1
	s_cbranch_scc1 .LBB11_1051
; %bb.1042:
	s_cmp_lt_i32 s4, 3
	s_cbranch_scc1 .LBB11_1048
; %bb.1043:
	s_cmp_gt_i32 s4, 3
	s_cbranch_scc0 .LBB11_1045
; %bb.1044:
	v_trunc_f64_e32 v[4:5], v[40:41]
	s_mov_b32 s7, 0
	v_ldexp_f64 v[6:7], v[4:5], 0xffffffe0
	v_floor_f64_e32 v[6:7], v[6:7]
	v_fma_f64 v[4:5], 0xc1f00000, v[6:7], v[4:5]
	v_cvt_i32_f64_e32 v6, v[6:7]
	v_cvt_u32_f64_e32 v5, v[4:5]
	global_store_dwordx2 v[2:3], v[5:6], off
.LBB11_1045:
	s_andn2_b32 vcc_lo, exec_lo, s7
	s_cbranch_vccnz .LBB11_1047
; %bb.1046:
	v_cvt_i32_f64_e32 v4, v[40:41]
	global_store_dword v[2:3], v4, off
.LBB11_1047:
	s_mov_b32 s7, 0
.LBB11_1048:
	s_andn2_b32 vcc_lo, exec_lo, s7
	s_cbranch_vccnz .LBB11_1050
; %bb.1049:
	v_cvt_i32_f64_e32 v4, v[40:41]
	global_store_short v[2:3], v4, off
.LBB11_1050:
	s_mov_b32 s7, 0
.LBB11_1051:
	s_andn2_b32 vcc_lo, exec_lo, s7
	s_cbranch_vccnz .LBB11_1056
; %bb.1052:
	s_cmp_gt_i32 s4, 0
	s_mov_b32 s4, -1
	s_cbranch_scc0 .LBB11_1054
; %bb.1053:
	v_cvt_i32_f64_e32 v4, v[40:41]
	s_mov_b32 s4, 0
	global_store_byte v[2:3], v4, off
.LBB11_1054:
	s_andn2_b32 vcc_lo, exec_lo, s4
	s_cbranch_vccnz .LBB11_1056
; %bb.1055:
	v_trunc_f64_e32 v[4:5], v[40:41]
	v_ldexp_f64 v[6:7], v[4:5], 0xffffffe0
	v_floor_f64_e32 v[6:7], v[6:7]
	v_fma_f64 v[4:5], 0xc1f00000, v[6:7], v[4:5]
	v_cvt_u32_f64_e32 v4, v[4:5]
	global_store_byte v[2:3], v4, off
.LBB11_1056:
	s_branch .LBB11_942
.LBB11_1057:
	s_mov_b32 s4, 0
	s_mov_b32 s8, 0
                                        ; implicit-def: $sgpr5
                                        ; implicit-def: $vgpr4_vgpr5
.LBB11_1058:
	s_andn2_b32 s7, s40, exec_lo
	s_and_b32 s6, s6, exec_lo
	s_and_b32 s4, s4, exec_lo
	;; [unrolled: 1-line block ×3, first 2 shown]
	s_or_b32 s40, s7, s6
.LBB11_1059:
	s_or_b32 exec_lo, exec_lo, s41
	s_and_saveexec_b32 s6, s40
	s_cbranch_execz .LBB11_1062
; %bb.1060:
	; divergent unreachable
	s_or_b32 exec_lo, exec_lo, s6
	s_and_saveexec_b32 s6, s53
	s_xor_b32 s6, exec_lo, s6
	s_cbranch_execnz .LBB11_1063
.LBB11_1061:
	s_or_b32 exec_lo, exec_lo, s6
	s_and_saveexec_b32 s6, s4
	s_cbranch_execnz .LBB11_1064
	s_branch .LBB11_1101
.LBB11_1062:
	s_or_b32 exec_lo, exec_lo, s6
	s_and_saveexec_b32 s6, s53
	s_xor_b32 s6, exec_lo, s6
	s_cbranch_execz .LBB11_1061
.LBB11_1063:
	v_cmp_neq_f64_e32 vcc_lo, 0, v[0:1]
	v_cndmask_b32_e64 v2, 0, 1, vcc_lo
	global_store_byte v[4:5], v2, off
	s_or_b32 exec_lo, exec_lo, s6
	s_and_saveexec_b32 s6, s4
	s_cbranch_execz .LBB11_1101
.LBB11_1064:
	s_sext_i32_i16 s6, s5
	s_mov_b32 s4, -1
	s_cmp_lt_i32 s6, 5
	s_cbranch_scc1 .LBB11_1085
; %bb.1065:
	s_cmp_lt_i32 s6, 8
	s_cbranch_scc1 .LBB11_1075
; %bb.1066:
	;; [unrolled: 3-line block ×3, first 2 shown]
	s_cmp_gt_i32 s6, 9
	s_cbranch_scc0 .LBB11_1069
; %bb.1068:
	v_mov_b32_e32 v2, 0
	s_mov_b32 s4, 0
	v_mov_b32_e32 v3, v2
	global_store_dwordx4 v[4:5], v[0:3], off
.LBB11_1069:
	s_andn2_b32 vcc_lo, exec_lo, s4
	s_cbranch_vccnz .LBB11_1071
; %bb.1070:
	v_cvt_f32_f64_e32 v2, v[0:1]
	v_mov_b32_e32 v3, 0
	global_store_dwordx2 v[4:5], v[2:3], off
.LBB11_1071:
	s_mov_b32 s4, 0
.LBB11_1072:
	s_andn2_b32 vcc_lo, exec_lo, s4
	s_cbranch_vccnz .LBB11_1074
; %bb.1073:
	v_and_or_b32 v2, 0x1ff, v1, v0
	v_lshrrev_b32_e32 v3, 8, v1
	v_bfe_u32 v6, v1, 20, 11
	v_cmp_ne_u32_e32 vcc_lo, 0, v2
	v_sub_nc_u32_e32 v7, 0x3f1, v6
	v_add_nc_u32_e32 v6, 0xfffffc10, v6
	v_cndmask_b32_e64 v2, 0, 1, vcc_lo
	v_and_or_b32 v2, 0xffe, v3, v2
	v_med3_i32 v3, v7, 0, 13
	v_or_b32_e32 v7, 0x1000, v2
	v_lshrrev_b32_e32 v8, v3, v7
	v_lshlrev_b32_e32 v3, v3, v8
	v_cmp_ne_u32_e32 vcc_lo, v3, v7
	v_lshl_or_b32 v7, v6, 12, v2
	v_cndmask_b32_e64 v3, 0, 1, vcc_lo
	v_cmp_gt_i32_e32 vcc_lo, 1, v6
	v_or_b32_e32 v3, v8, v3
	v_cndmask_b32_e32 v3, v7, v3, vcc_lo
	v_and_b32_e32 v7, 7, v3
	v_lshrrev_b32_e32 v3, 2, v3
	v_cmp_lt_i32_e32 vcc_lo, 5, v7
	v_cndmask_b32_e64 v8, 0, 1, vcc_lo
	v_cmp_eq_u32_e32 vcc_lo, 3, v7
	v_cndmask_b32_e64 v7, 0, 1, vcc_lo
	v_cmp_ne_u32_e32 vcc_lo, 0, v2
	v_or_b32_e32 v7, v7, v8
	v_mov_b32_e32 v8, 0x7e00
	v_add_nc_u32_e32 v3, v3, v7
	v_cndmask_b32_e32 v2, 0x7c00, v8, vcc_lo
	v_cmp_gt_i32_e32 vcc_lo, 31, v6
	v_cndmask_b32_e32 v3, 0x7c00, v3, vcc_lo
	v_cmp_eq_u32_e32 vcc_lo, 0x40f, v6
	v_cndmask_b32_e32 v2, v3, v2, vcc_lo
	v_lshrrev_b32_e32 v3, 16, v1
	v_and_or_b32 v2, 0x8000, v3, v2
	v_and_b32_e32 v2, 0xffff, v2
	global_store_dword v[4:5], v2, off
.LBB11_1074:
	s_mov_b32 s4, 0
.LBB11_1075:
	s_andn2_b32 vcc_lo, exec_lo, s4
	s_cbranch_vccnz .LBB11_1084
; %bb.1076:
	s_sext_i32_i16 s6, s5
	s_mov_b32 s4, -1
	s_cmp_lt_i32 s6, 6
	s_cbranch_scc1 .LBB11_1082
; %bb.1077:
	s_cmp_gt_i32 s6, 6
	s_cbranch_scc0 .LBB11_1079
; %bb.1078:
	s_mov_b32 s4, 0
	global_store_dwordx2 v[4:5], v[0:1], off
.LBB11_1079:
	s_andn2_b32 vcc_lo, exec_lo, s4
	s_cbranch_vccnz .LBB11_1081
; %bb.1080:
	v_cvt_f32_f64_e32 v2, v[0:1]
	global_store_dword v[4:5], v2, off
.LBB11_1081:
	s_mov_b32 s4, 0
.LBB11_1082:
	s_andn2_b32 vcc_lo, exec_lo, s4
	s_cbranch_vccnz .LBB11_1084
; %bb.1083:
	v_and_or_b32 v2, 0x1ff, v1, v0
	v_lshrrev_b32_e32 v3, 8, v1
	v_bfe_u32 v6, v1, 20, 11
	v_cmp_ne_u32_e32 vcc_lo, 0, v2
	v_sub_nc_u32_e32 v7, 0x3f1, v6
	v_add_nc_u32_e32 v6, 0xfffffc10, v6
	v_cndmask_b32_e64 v2, 0, 1, vcc_lo
	v_and_or_b32 v2, 0xffe, v3, v2
	v_med3_i32 v3, v7, 0, 13
	v_or_b32_e32 v7, 0x1000, v2
	v_lshrrev_b32_e32 v8, v3, v7
	v_lshlrev_b32_e32 v3, v3, v8
	v_cmp_ne_u32_e32 vcc_lo, v3, v7
	v_lshl_or_b32 v7, v6, 12, v2
	v_cndmask_b32_e64 v3, 0, 1, vcc_lo
	v_cmp_gt_i32_e32 vcc_lo, 1, v6
	v_or_b32_e32 v3, v8, v3
	v_cndmask_b32_e32 v3, v7, v3, vcc_lo
	v_and_b32_e32 v7, 7, v3
	v_lshrrev_b32_e32 v3, 2, v3
	v_cmp_lt_i32_e32 vcc_lo, 5, v7
	v_cndmask_b32_e64 v8, 0, 1, vcc_lo
	v_cmp_eq_u32_e32 vcc_lo, 3, v7
	v_cndmask_b32_e64 v7, 0, 1, vcc_lo
	v_cmp_ne_u32_e32 vcc_lo, 0, v2
	v_or_b32_e32 v7, v7, v8
	v_mov_b32_e32 v8, 0x7e00
	v_add_nc_u32_e32 v3, v3, v7
	v_cndmask_b32_e32 v2, 0x7c00, v8, vcc_lo
	v_cmp_gt_i32_e32 vcc_lo, 31, v6
	v_cndmask_b32_e32 v3, 0x7c00, v3, vcc_lo
	v_cmp_eq_u32_e32 vcc_lo, 0x40f, v6
	v_cndmask_b32_e32 v2, v3, v2, vcc_lo
	v_lshrrev_b32_e32 v3, 16, v1
	v_and_or_b32 v2, 0x8000, v3, v2
	global_store_short v[4:5], v2, off
.LBB11_1084:
	s_mov_b32 s4, 0
.LBB11_1085:
	s_andn2_b32 vcc_lo, exec_lo, s4
	s_cbranch_vccnz .LBB11_1101
; %bb.1086:
	s_sext_i32_i16 s6, s5
	s_mov_b32 s4, -1
	s_cmp_lt_i32 s6, 2
	s_cbranch_scc1 .LBB11_1096
; %bb.1087:
	s_cmp_lt_i32 s6, 3
	s_cbranch_scc1 .LBB11_1093
; %bb.1088:
	s_cmp_gt_i32 s6, 3
	s_cbranch_scc0 .LBB11_1090
; %bb.1089:
	v_trunc_f64_e32 v[2:3], v[0:1]
	s_mov_b32 s4, 0
	v_ldexp_f64 v[6:7], v[2:3], 0xffffffe0
	v_floor_f64_e32 v[6:7], v[6:7]
	v_fma_f64 v[2:3], 0xc1f00000, v[6:7], v[2:3]
	v_cvt_i32_f64_e32 v7, v[6:7]
	v_cvt_u32_f64_e32 v6, v[2:3]
	global_store_dwordx2 v[4:5], v[6:7], off
.LBB11_1090:
	s_andn2_b32 vcc_lo, exec_lo, s4
	s_cbranch_vccnz .LBB11_1092
; %bb.1091:
	v_cvt_i32_f64_e32 v2, v[0:1]
	global_store_dword v[4:5], v2, off
.LBB11_1092:
	s_mov_b32 s4, 0
.LBB11_1093:
	s_andn2_b32 vcc_lo, exec_lo, s4
	s_cbranch_vccnz .LBB11_1095
; %bb.1094:
	v_cvt_i32_f64_e32 v2, v[0:1]
	global_store_short v[4:5], v2, off
.LBB11_1095:
	s_mov_b32 s4, 0
.LBB11_1096:
	s_andn2_b32 vcc_lo, exec_lo, s4
	s_cbranch_vccnz .LBB11_1101
; %bb.1097:
	s_sext_i32_i16 s4, s5
	s_cmp_gt_i32 s4, 0
	s_mov_b32 s4, -1
	s_cbranch_scc0 .LBB11_1099
; %bb.1098:
	v_cvt_i32_f64_e32 v2, v[0:1]
	s_mov_b32 s4, 0
	global_store_byte v[4:5], v2, off
.LBB11_1099:
	s_andn2_b32 vcc_lo, exec_lo, s4
	s_cbranch_vccnz .LBB11_1101
; %bb.1100:
	v_trunc_f64_e32 v[0:1], v[0:1]
	v_ldexp_f64 v[2:3], v[0:1], 0xffffffe0
	v_floor_f64_e32 v[2:3], v[2:3]
	v_fma_f64 v[0:1], 0xc1f00000, v[2:3], v[0:1]
	v_cvt_u32_f64_e32 v0, v[0:1]
	global_store_byte v[4:5], v0, off
	s_endpgm
.LBB11_1101:
	s_endpgm
.LBB11_1102:
	s_mov_b32 s8, 0
	s_mov_b32 s4, -1
	s_branch .LBB11_1058
.LBB11_1103:
	s_andn2_saveexec_b32 s10, s10
	s_cbranch_execz .LBB11_655
.LBB11_1104:
	v_add_f32_e64 v5, 0x46000000, |v4|
	s_andn2_b32 s9, s9, exec_lo
	v_and_b32_e32 v5, 0xff, v5
	v_cmp_ne_u32_e32 vcc_lo, 0, v5
	s_and_b32 s11, vcc_lo, exec_lo
	s_or_b32 s9, s9, s11
	s_or_b32 exec_lo, exec_lo, s10
	v_mov_b32_e32 v6, 0
	s_and_saveexec_b32 s10, s9
	s_cbranch_execnz .LBB11_656
	s_branch .LBB11_657
.LBB11_1105:
	s_or_b32 s6, s40, exec_lo
	s_trap 2
	s_cbranch_execz .LBB11_703
	s_branch .LBB11_704
.LBB11_1106:
	s_andn2_saveexec_b32 s9, s9
	s_cbranch_execz .LBB11_668
.LBB11_1107:
	v_add_f32_e64 v5, 0x42800000, |v4|
	s_andn2_b32 s8, s8, exec_lo
	v_and_b32_e32 v5, 0xff, v5
	v_cmp_ne_u32_e32 vcc_lo, 0, v5
	s_and_b32 s10, vcc_lo, exec_lo
	s_or_b32 s8, s8, s10
	s_or_b32 exec_lo, exec_lo, s9
	v_mov_b32_e32 v6, 0
	s_and_saveexec_b32 s9, s8
	s_cbranch_execnz .LBB11_669
	s_branch .LBB11_670
.LBB11_1108:
	s_andn2_saveexec_b32 s11, s11
	s_cbranch_execz .LBB11_773
.LBB11_1109:
	v_add_f32_e64 v5, 0x46000000, |v4|
	s_andn2_b32 s10, s10, exec_lo
	v_and_b32_e32 v5, 0xff, v5
	v_cmp_ne_u32_e32 vcc_lo, 0, v5
	s_and_b32 s12, vcc_lo, exec_lo
	s_or_b32 s10, s10, s12
	s_or_b32 exec_lo, exec_lo, s11
	v_mov_b32_e32 v6, 0
	s_and_saveexec_b32 s11, s10
	s_cbranch_execnz .LBB11_774
	s_branch .LBB11_775
.LBB11_1110:
	s_or_b32 s6, s6, exec_lo
	s_trap 2
	s_cbranch_execz .LBB11_821
	s_branch .LBB11_822
.LBB11_1111:
	s_andn2_saveexec_b32 s10, s10
	s_cbranch_execz .LBB11_786
.LBB11_1112:
	v_add_f32_e64 v5, 0x42800000, |v4|
	s_andn2_b32 s9, s9, exec_lo
	v_and_b32_e32 v5, 0xff, v5
	v_cmp_ne_u32_e32 vcc_lo, 0, v5
	s_and_b32 s11, vcc_lo, exec_lo
	s_or_b32 s9, s9, s11
	s_or_b32 exec_lo, exec_lo, s10
	v_mov_b32_e32 v6, 0
	s_and_saveexec_b32 s10, s9
	s_cbranch_execnz .LBB11_787
	s_branch .LBB11_788
.LBB11_1113:
	s_andn2_saveexec_b32 s11, s11
	s_cbranch_execz .LBB11_891
.LBB11_1114:
	v_add_f32_e64 v5, 0x46000000, |v4|
	s_andn2_b32 s10, s10, exec_lo
	v_and_b32_e32 v5, 0xff, v5
	v_cmp_ne_u32_e32 vcc_lo, 0, v5
	s_and_b32 s12, vcc_lo, exec_lo
	s_or_b32 s10, s10, s12
	s_or_b32 exec_lo, exec_lo, s11
	v_mov_b32_e32 v6, 0
	s_and_saveexec_b32 s11, s10
	s_cbranch_execnz .LBB11_892
	s_branch .LBB11_893
.LBB11_1115:
	s_or_b32 s6, s6, exec_lo
	s_trap 2
	s_cbranch_execz .LBB11_939
	s_branch .LBB11_940
.LBB11_1116:
	s_andn2_saveexec_b32 s10, s10
	s_cbranch_execz .LBB11_904
.LBB11_1117:
	v_add_f32_e64 v5, 0x42800000, |v4|
	s_andn2_b32 s9, s9, exec_lo
	v_and_b32_e32 v5, 0xff, v5
	v_cmp_ne_u32_e32 vcc_lo, 0, v5
	s_and_b32 s11, vcc_lo, exec_lo
	s_or_b32 s9, s9, s11
	s_or_b32 exec_lo, exec_lo, s10
	v_mov_b32_e32 v6, 0
	s_and_saveexec_b32 s10, s9
	s_cbranch_execnz .LBB11_905
	s_branch .LBB11_906
.LBB11_1118:
	s_andn2_saveexec_b32 s11, s11
	s_cbranch_execz .LBB11_971
.LBB11_1119:
	v_add_f32_e64 v3, 0x46000000, |v2|
	s_andn2_b32 s10, s10, exec_lo
	v_and_b32_e32 v3, 0xff, v3
	v_cmp_ne_u32_e32 vcc_lo, 0, v3
	s_and_b32 s12, vcc_lo, exec_lo
	s_or_b32 s10, s10, s12
	s_or_b32 exec_lo, exec_lo, s11
	v_mov_b32_e32 v6, 0
	s_and_saveexec_b32 s11, s10
	s_cbranch_execnz .LBB11_972
	s_branch .LBB11_973
.LBB11_1120:
	s_mov_b32 s8, 0
	s_or_b32 s6, s6, exec_lo
	s_trap 2
	s_branch .LBB11_1017
.LBB11_1121:
	s_andn2_saveexec_b32 s9, s9
	s_cbranch_execz .LBB11_480
.LBB11_1122:
	v_add_f32_e64 v3, 0x46000000, |v2|
	s_andn2_b32 s8, s8, exec_lo
	v_and_b32_e32 v3, 0xff, v3
	v_cmp_ne_u32_e32 vcc_lo, 0, v3
	s_and_b32 s10, vcc_lo, exec_lo
	s_or_b32 s8, s8, s10
	s_or_b32 exec_lo, exec_lo, s9
	v_mov_b32_e32 v6, 0
	s_and_saveexec_b32 s9, s8
	s_cbranch_execnz .LBB11_481
	s_branch .LBB11_482
.LBB11_1123:
	s_andn2_saveexec_b32 s10, s10
	s_cbranch_execz .LBB11_983
.LBB11_1124:
	v_add_f32_e64 v3, 0x42800000, |v2|
	s_andn2_b32 s9, s9, exec_lo
	v_and_b32_e32 v3, 0xff, v3
	v_cmp_ne_u32_e32 vcc_lo, 0, v3
	s_and_b32 s11, vcc_lo, exec_lo
	s_or_b32 s9, s9, s11
	s_or_b32 exec_lo, exec_lo, s10
	v_mov_b32_e32 v6, 0
	s_and_saveexec_b32 s10, s9
	s_cbranch_execnz .LBB11_984
	s_branch .LBB11_985
.LBB11_1125:
	s_andn2_saveexec_b32 s10, s10
	s_cbranch_execz .LBB11_492
.LBB11_1126:
	v_add_f32_e64 v3, 0x42800000, |v2|
	s_andn2_b32 s9, s9, exec_lo
	v_and_b32_e32 v3, 0xff, v3
	v_cmp_ne_u32_e32 vcc_lo, 0, v3
	s_and_b32 s11, vcc_lo, exec_lo
	s_or_b32 s9, s9, s11
	s_or_b32 exec_lo, exec_lo, s10
	v_mov_b32_e32 v6, 0
	s_and_saveexec_b32 s10, s9
	s_cbranch_execnz .LBB11_493
	s_branch .LBB11_494
	.section	.rodata,"a",@progbits
	.p2align	6, 0x0
	.amdhsa_kernel _ZN2at6native32elementwise_kernel_manual_unrollILi128ELi4EZNS0_15gpu_kernel_implIZZZNS0_12_GLOBAL__N_119airy_ai_kernel_cudaERNS_18TensorIteratorBaseEENKUlvE_clEvENKUlvE_clEvEUldE_EEvS5_RKT_EUlibE0_EEviT1_
		.amdhsa_group_segment_fixed_size 0
		.amdhsa_private_segment_fixed_size 0
		.amdhsa_kernarg_size 360
		.amdhsa_user_sgpr_count 6
		.amdhsa_user_sgpr_private_segment_buffer 1
		.amdhsa_user_sgpr_dispatch_ptr 0
		.amdhsa_user_sgpr_queue_ptr 0
		.amdhsa_user_sgpr_kernarg_segment_ptr 1
		.amdhsa_user_sgpr_dispatch_id 0
		.amdhsa_user_sgpr_flat_scratch_init 0
		.amdhsa_user_sgpr_private_segment_size 0
		.amdhsa_wavefront_size32 1
		.amdhsa_uses_dynamic_stack 0
		.amdhsa_system_sgpr_private_segment_wavefront_offset 0
		.amdhsa_system_sgpr_workgroup_id_x 1
		.amdhsa_system_sgpr_workgroup_id_y 0
		.amdhsa_system_sgpr_workgroup_id_z 0
		.amdhsa_system_sgpr_workgroup_info 0
		.amdhsa_system_vgpr_workitem_id 0
		.amdhsa_next_free_vgpr 84
		.amdhsa_next_free_sgpr 72
		.amdhsa_reserve_vcc 1
		.amdhsa_reserve_flat_scratch 0
		.amdhsa_float_round_mode_32 0
		.amdhsa_float_round_mode_16_64 0
		.amdhsa_float_denorm_mode_32 3
		.amdhsa_float_denorm_mode_16_64 3
		.amdhsa_dx10_clamp 1
		.amdhsa_ieee_mode 1
		.amdhsa_fp16_overflow 0
		.amdhsa_workgroup_processor_mode 1
		.amdhsa_memory_ordered 1
		.amdhsa_forward_progress 1
		.amdhsa_shared_vgpr_count 0
		.amdhsa_exception_fp_ieee_invalid_op 0
		.amdhsa_exception_fp_denorm_src 0
		.amdhsa_exception_fp_ieee_div_zero 0
		.amdhsa_exception_fp_ieee_overflow 0
		.amdhsa_exception_fp_ieee_underflow 0
		.amdhsa_exception_fp_ieee_inexact 0
		.amdhsa_exception_int_div_zero 0
	.end_amdhsa_kernel
	.section	.text._ZN2at6native32elementwise_kernel_manual_unrollILi128ELi4EZNS0_15gpu_kernel_implIZZZNS0_12_GLOBAL__N_119airy_ai_kernel_cudaERNS_18TensorIteratorBaseEENKUlvE_clEvENKUlvE_clEvEUldE_EEvS5_RKT_EUlibE0_EEviT1_,"axG",@progbits,_ZN2at6native32elementwise_kernel_manual_unrollILi128ELi4EZNS0_15gpu_kernel_implIZZZNS0_12_GLOBAL__N_119airy_ai_kernel_cudaERNS_18TensorIteratorBaseEENKUlvE_clEvENKUlvE_clEvEUldE_EEvS5_RKT_EUlibE0_EEviT1_,comdat
.Lfunc_end11:
	.size	_ZN2at6native32elementwise_kernel_manual_unrollILi128ELi4EZNS0_15gpu_kernel_implIZZZNS0_12_GLOBAL__N_119airy_ai_kernel_cudaERNS_18TensorIteratorBaseEENKUlvE_clEvENKUlvE_clEvEUldE_EEvS5_RKT_EUlibE0_EEviT1_, .Lfunc_end11-_ZN2at6native32elementwise_kernel_manual_unrollILi128ELi4EZNS0_15gpu_kernel_implIZZZNS0_12_GLOBAL__N_119airy_ai_kernel_cudaERNS_18TensorIteratorBaseEENKUlvE_clEvENKUlvE_clEvEUldE_EEvS5_RKT_EUlibE0_EEviT1_
                                        ; -- End function
	.set _ZN2at6native32elementwise_kernel_manual_unrollILi128ELi4EZNS0_15gpu_kernel_implIZZZNS0_12_GLOBAL__N_119airy_ai_kernel_cudaERNS_18TensorIteratorBaseEENKUlvE_clEvENKUlvE_clEvEUldE_EEvS5_RKT_EUlibE0_EEviT1_.num_vgpr, max(64, .L_ZN2at6native6invokeIZZZNS0_12_GLOBAL__N_119airy_ai_kernel_cudaERNS_18TensorIteratorBaseEENKUlvE_clEvENKUlvE_clEvEUldE_j15function_traitsIS7_EEENT1_11result_typeERKT_PrKPcPKT0_PKN3c1010ScalarTypeEi.num_vgpr)
	.set _ZN2at6native32elementwise_kernel_manual_unrollILi128ELi4EZNS0_15gpu_kernel_implIZZZNS0_12_GLOBAL__N_119airy_ai_kernel_cudaERNS_18TensorIteratorBaseEENKUlvE_clEvENKUlvE_clEvEUldE_EEvS5_RKT_EUlibE0_EEviT1_.num_agpr, max(0, .L_ZN2at6native6invokeIZZZNS0_12_GLOBAL__N_119airy_ai_kernel_cudaERNS_18TensorIteratorBaseEENKUlvE_clEvENKUlvE_clEvEUldE_j15function_traitsIS7_EEENT1_11result_typeERKT_PrKPcPKT0_PKN3c1010ScalarTypeEi.num_agpr)
	.set _ZN2at6native32elementwise_kernel_manual_unrollILi128ELi4EZNS0_15gpu_kernel_implIZZZNS0_12_GLOBAL__N_119airy_ai_kernel_cudaERNS_18TensorIteratorBaseEENKUlvE_clEvENKUlvE_clEvEUldE_EEvS5_RKT_EUlibE0_EEviT1_.numbered_sgpr, max(72, .L_ZN2at6native6invokeIZZZNS0_12_GLOBAL__N_119airy_ai_kernel_cudaERNS_18TensorIteratorBaseEENKUlvE_clEvENKUlvE_clEvEUldE_j15function_traitsIS7_EEENT1_11result_typeERKT_PrKPcPKT0_PKN3c1010ScalarTypeEi.numbered_sgpr)
	.set _ZN2at6native32elementwise_kernel_manual_unrollILi128ELi4EZNS0_15gpu_kernel_implIZZZNS0_12_GLOBAL__N_119airy_ai_kernel_cudaERNS_18TensorIteratorBaseEENKUlvE_clEvENKUlvE_clEvEUldE_EEvS5_RKT_EUlibE0_EEviT1_.num_named_barrier, max(0, .L_ZN2at6native6invokeIZZZNS0_12_GLOBAL__N_119airy_ai_kernel_cudaERNS_18TensorIteratorBaseEENKUlvE_clEvENKUlvE_clEvEUldE_j15function_traitsIS7_EEENT1_11result_typeERKT_PrKPcPKT0_PKN3c1010ScalarTypeEi.num_named_barrier)
	.set _ZN2at6native32elementwise_kernel_manual_unrollILi128ELi4EZNS0_15gpu_kernel_implIZZZNS0_12_GLOBAL__N_119airy_ai_kernel_cudaERNS_18TensorIteratorBaseEENKUlvE_clEvENKUlvE_clEvEUldE_EEvS5_RKT_EUlibE0_EEviT1_.private_seg_size, 0+max(.L_ZN2at6native6invokeIZZZNS0_12_GLOBAL__N_119airy_ai_kernel_cudaERNS_18TensorIteratorBaseEENKUlvE_clEvENKUlvE_clEvEUldE_j15function_traitsIS7_EEENT1_11result_typeERKT_PrKPcPKT0_PKN3c1010ScalarTypeEi.private_seg_size)
	.set _ZN2at6native32elementwise_kernel_manual_unrollILi128ELi4EZNS0_15gpu_kernel_implIZZZNS0_12_GLOBAL__N_119airy_ai_kernel_cudaERNS_18TensorIteratorBaseEENKUlvE_clEvENKUlvE_clEvEUldE_EEvS5_RKT_EUlibE0_EEviT1_.uses_vcc, or(1, .L_ZN2at6native6invokeIZZZNS0_12_GLOBAL__N_119airy_ai_kernel_cudaERNS_18TensorIteratorBaseEENKUlvE_clEvENKUlvE_clEvEUldE_j15function_traitsIS7_EEENT1_11result_typeERKT_PrKPcPKT0_PKN3c1010ScalarTypeEi.uses_vcc)
	.set _ZN2at6native32elementwise_kernel_manual_unrollILi128ELi4EZNS0_15gpu_kernel_implIZZZNS0_12_GLOBAL__N_119airy_ai_kernel_cudaERNS_18TensorIteratorBaseEENKUlvE_clEvENKUlvE_clEvEUldE_EEvS5_RKT_EUlibE0_EEviT1_.uses_flat_scratch, or(0, .L_ZN2at6native6invokeIZZZNS0_12_GLOBAL__N_119airy_ai_kernel_cudaERNS_18TensorIteratorBaseEENKUlvE_clEvENKUlvE_clEvEUldE_j15function_traitsIS7_EEENT1_11result_typeERKT_PrKPcPKT0_PKN3c1010ScalarTypeEi.uses_flat_scratch)
	.set _ZN2at6native32elementwise_kernel_manual_unrollILi128ELi4EZNS0_15gpu_kernel_implIZZZNS0_12_GLOBAL__N_119airy_ai_kernel_cudaERNS_18TensorIteratorBaseEENKUlvE_clEvENKUlvE_clEvEUldE_EEvS5_RKT_EUlibE0_EEviT1_.has_dyn_sized_stack, or(0, .L_ZN2at6native6invokeIZZZNS0_12_GLOBAL__N_119airy_ai_kernel_cudaERNS_18TensorIteratorBaseEENKUlvE_clEvENKUlvE_clEvEUldE_j15function_traitsIS7_EEENT1_11result_typeERKT_PrKPcPKT0_PKN3c1010ScalarTypeEi.has_dyn_sized_stack)
	.set _ZN2at6native32elementwise_kernel_manual_unrollILi128ELi4EZNS0_15gpu_kernel_implIZZZNS0_12_GLOBAL__N_119airy_ai_kernel_cudaERNS_18TensorIteratorBaseEENKUlvE_clEvENKUlvE_clEvEUldE_EEvS5_RKT_EUlibE0_EEviT1_.has_recursion, or(0, .L_ZN2at6native6invokeIZZZNS0_12_GLOBAL__N_119airy_ai_kernel_cudaERNS_18TensorIteratorBaseEENKUlvE_clEvENKUlvE_clEvEUldE_j15function_traitsIS7_EEENT1_11result_typeERKT_PrKPcPKT0_PKN3c1010ScalarTypeEi.has_recursion)
	.set _ZN2at6native32elementwise_kernel_manual_unrollILi128ELi4EZNS0_15gpu_kernel_implIZZZNS0_12_GLOBAL__N_119airy_ai_kernel_cudaERNS_18TensorIteratorBaseEENKUlvE_clEvENKUlvE_clEvEUldE_EEvS5_RKT_EUlibE0_EEviT1_.has_indirect_call, or(0, .L_ZN2at6native6invokeIZZZNS0_12_GLOBAL__N_119airy_ai_kernel_cudaERNS_18TensorIteratorBaseEENKUlvE_clEvENKUlvE_clEvEUldE_j15function_traitsIS7_EEENT1_11result_typeERKT_PrKPcPKT0_PKN3c1010ScalarTypeEi.has_indirect_call)
	.section	.AMDGPU.csdata,"",@progbits
; Kernel info:
; codeLenInByte = 25384
; TotalNumSgprs: 74
; NumVgprs: 84
; ScratchSize: 0
; MemoryBound: 0
; FloatMode: 240
; IeeeMode: 1
; LDSByteSize: 0 bytes/workgroup (compile time only)
; SGPRBlocks: 0
; VGPRBlocks: 10
; NumSGPRsForWavesPerEU: 74
; NumVGPRsForWavesPerEU: 84
; Occupancy: 10
; WaveLimiterHint : 1
; COMPUTE_PGM_RSRC2:SCRATCH_EN: 0
; COMPUTE_PGM_RSRC2:USER_SGPR: 6
; COMPUTE_PGM_RSRC2:TRAP_HANDLER: 0
; COMPUTE_PGM_RSRC2:TGID_X_EN: 1
; COMPUTE_PGM_RSRC2:TGID_Y_EN: 0
; COMPUTE_PGM_RSRC2:TGID_Z_EN: 0
; COMPUTE_PGM_RSRC2:TIDIG_COMP_CNT: 0
	.text
	.p2align	2                               ; -- Begin function _ZN2at6native25elementwise_kernel_helperILb0EZZZNS0_12_GLOBAL__N_119airy_ai_kernel_cudaERNS_18TensorIteratorBaseEENKUlvE_clEvENKUlvE0_clEvEUlfE_NS0_6memory8policies11unroll_baseILi256ESt5arrayIPcLm2EE23TrivialOffsetCalculatorILi1EjESF_NS8_15LoadWithoutCastENS8_16StoreWithoutCastELi4ELi1EEEEEvT0_T1_
	.type	_ZN2at6native25elementwise_kernel_helperILb0EZZZNS0_12_GLOBAL__N_119airy_ai_kernel_cudaERNS_18TensorIteratorBaseEENKUlvE_clEvENKUlvE0_clEvEUlfE_NS0_6memory8policies11unroll_baseILi256ESt5arrayIPcLm2EE23TrivialOffsetCalculatorILi1EjESF_NS8_15LoadWithoutCastENS8_16StoreWithoutCastELi4ELi1EEEEEvT0_T1_,@function
_ZN2at6native25elementwise_kernel_helperILb0EZZZNS0_12_GLOBAL__N_119airy_ai_kernel_cudaERNS_18TensorIteratorBaseEENKUlvE_clEvENKUlvE0_clEvEUlfE_NS0_6memory8policies11unroll_baseILi256ESt5arrayIPcLm2EE23TrivialOffsetCalculatorILi1EjESF_NS8_15LoadWithoutCastENS8_16StoreWithoutCastELi4ELi1EEEEEvT0_T1_: ; @_ZN2at6native25elementwise_kernel_helperILb0EZZZNS0_12_GLOBAL__N_119airy_ai_kernel_cudaERNS_18TensorIteratorBaseEENKUlvE_clEvENKUlvE0_clEvEUlfE_NS0_6memory8policies11unroll_baseILi256ESt5arrayIPcLm2EE23TrivialOffsetCalculatorILi1EjESF_NS8_15LoadWithoutCastENS8_16StoreWithoutCastELi4ELi1EEEEEvT0_T1_
; %bb.0:
	s_waitcnt vmcnt(0) expcnt(0) lgkmcnt(0)
	v_and_b32_e32 v7, 0x3ff, v31
	s_lshl_b32 s8, s12, 10
	v_mov_b32_e32 v12, 0
	v_mov_b32_e32 v13, 0
	v_cmp_lt_i32_e64 s4, v7, v4
	v_or_b32_e32 v5, s8, v7
	v_add_nc_u32_e32 v8, 0x100, v7
	v_mov_b32_e32 v10, v7
	s_and_saveexec_b32 s5, s4
	s_cbranch_execz .LBB12_2
; %bb.1:
	v_mov_b32_e32 v6, 0
	v_lshlrev_b64 v[9:10], 2, v[5:6]
	v_add_co_u32 v9, vcc_lo, v2, v9
	v_add_co_ci_u32_e64 v10, null, v3, v10, vcc_lo
	flat_load_dword v13, v[9:10]
	v_add_nc_u32_e32 v10, 0x100, v7
.LBB12_2:
	s_or_b32 exec_lo, exec_lo, s5
	s_mov_b32 s5, exec_lo
	v_cmpx_lt_i32_e64 v10, v4
	s_cbranch_execz .LBB12_4
; %bb.3:
	v_add_nc_u32_e32 v11, s8, v10
	v_mov_b32_e32 v12, 0
	v_add_nc_u32_e32 v10, 0x100, v10
	v_lshlrev_b64 v[11:12], 2, v[11:12]
	v_add_co_u32 v11, vcc_lo, v2, v11
	v_add_co_ci_u32_e64 v12, null, v3, v12, vcc_lo
	flat_load_dword v12, v[11:12]
.LBB12_4:
	s_or_b32 exec_lo, exec_lo, s5
	v_mov_b32_e32 v6, 0
	v_mov_b32_e32 v9, 0
	s_mov_b32 s5, exec_lo
	v_cmpx_lt_i32_e64 v10, v4
	s_cbranch_execz .LBB12_6
; %bb.5:
	v_add_nc_u32_e32 v14, s8, v10
	v_mov_b32_e32 v15, 0
	v_add_nc_u32_e32 v10, 0x100, v10
	v_lshlrev_b64 v[14:15], 2, v[14:15]
	v_add_co_u32 v14, vcc_lo, v2, v14
	v_add_co_ci_u32_e64 v15, null, v3, v15, vcc_lo
	flat_load_dword v9, v[14:15]
.LBB12_6:
	s_or_b32 exec_lo, exec_lo, s5
	s_mov_b32 s5, exec_lo
	v_cmpx_lt_i32_e64 v10, v4
	s_cbranch_execz .LBB12_8
; %bb.7:
	v_add_nc_u32_e32 v10, s8, v10
	v_mov_b32_e32 v11, 0
	v_lshlrev_b64 v[10:11], 2, v[10:11]
	v_add_co_u32 v2, vcc_lo, v2, v10
	v_add_co_ci_u32_e64 v3, null, v3, v11, vcc_lo
	flat_load_dword v6, v[2:3]
.LBB12_8:
	s_or_b32 exec_lo, exec_lo, s5
	v_mov_b32_e32 v2, 0
	v_mov_b32_e32 v11, v2
	;; [unrolled: 1-line block ×4, first 2 shown]
	s_and_saveexec_b32 s9, s4
	s_cbranch_execz .LBB12_32
; %bb.9:
	v_mov_b32_e32 v2, 0x7fc00000
	s_mov_b32 s10, exec_lo
	s_waitcnt vmcnt(0) lgkmcnt(0)
	v_cmpx_neq_f32_e64 0x7f800000, |v13|
	s_cbranch_execz .LBB12_31
; %bb.10:
	v_mov_b32_e32 v2, 0
	s_mov_b32 s11, exec_lo
	v_cmpx_nlt_f32_e32 0x42cfc8b4, v13
	s_cbranch_execz .LBB12_30
; %bb.11:
                                        ; implicit-def: $vgpr2
	s_mov_b32 s5, exec_lo
	v_cmpx_ngt_f32_e32 0xc005c28f, v13
	s_xor_b32 s7, exec_lo, s5
	s_cbranch_execz .LBB12_19
; %bb.12:
	v_cmp_nle_f32_e64 s12, 0x4005c28f, v13
	v_mov_b32_e32 v2, 0
	s_mov_b32 s13, exec_lo
	s_mov_b32 s5, s12
	v_cmpx_le_f32_e32 0x4005c28f, v13
	s_cbranch_execz .LBB12_14
; %bb.13:
	v_mul_f32_e32 v2, 0x4f800000, v13
	v_cmp_gt_f32_e32 vcc_lo, 0xf800000, v13
	v_cndmask_b32_e32 v2, v13, v2, vcc_lo
	v_sqrt_f32_e32 v3, v2
	v_add_nc_u32_e32 v10, -1, v3
	v_add_nc_u32_e32 v11, 1, v3
	v_fma_f32 v14, -v10, v3, v2
	v_fma_f32 v15, -v11, v3, v2
	v_cmp_ge_f32_e64 s5, 0, v14
	v_cndmask_b32_e64 v3, v3, v10, s5
	v_cmp_lt_f32_e64 s5, 0, v15
	v_cndmask_b32_e64 v3, v3, v11, s5
	v_mul_f32_e32 v10, 0x37800000, v3
	v_cndmask_b32_e32 v3, v3, v10, vcc_lo
	v_cmp_class_f32_e64 vcc_lo, v2, 0x260
	v_add_f32_e32 v10, v13, v13
	v_cndmask_b32_e32 v2, v3, v2, vcc_lo
	v_mul_f32_e32 v3, v10, v2
	v_div_scale_f32 v10, null, 0x40400000, 0x40400000, v3
	v_div_scale_f32 v15, vcc_lo, v3, 0x40400000, v3
	v_rcp_f32_e32 v11, v10
	v_fma_f32 v14, -v10, v11, 1.0
	v_fmac_f32_e32 v11, v14, v11
	v_mul_f32_e32 v14, v15, v11
	v_fma_f32 v16, -v10, v14, v15
	v_fmac_f32_e32 v14, v16, v11
	v_fma_f32 v10, -v10, v14, v15
	v_div_fmas_f32 v10, v10, v11, v14
	v_div_fixup_f32 v3, v10, 0x40400000, v3
	v_div_scale_f32 v10, null, v3, v3, 1.0
	v_div_scale_f32 v15, vcc_lo, 1.0, v3, 1.0
	v_mul_f32_e32 v19, 0x3fb8aa3b, v3
	v_rcp_f32_e32 v11, v10
	v_fma_f32 v22, 0x3fb8aa3b, v3, -v19
	v_rndne_f32_e32 v23, v19
	v_sub_f32_e32 v19, v19, v23
	v_fma_f32 v14, -v10, v11, 1.0
	v_fmac_f32_e32 v11, v14, v11
	v_mul_f32_e32 v14, v15, v11
	v_fma_f32 v16, -v10, v14, v15
	v_fmac_f32_e32 v14, v16, v11
	v_fma_f32 v10, -v10, v14, v15
	v_mul_f32_e32 v15, 0x4f800000, v2
	v_div_fmas_f32 v10, v10, v11, v14
	v_cmp_gt_f32_e32 vcc_lo, 0xf800000, v2
	v_div_fixup_f32 v10, v10, v3, 1.0
	v_cndmask_b32_e32 v2, v2, v15, vcc_lo
	v_fmaak_f32 v11, 0, v10, 0x3f114de0
	v_fmaak_f32 v14, 0, v10, 0x3eb16d71
	v_sqrt_f32_e32 v15, v2
	v_fmaak_f32 v11, v10, v11, 0x416c19a0
	v_fmaak_f32 v14, v10, v14, 0x41401f1c
	;; [unrolled: 1-line block ×4, first 2 shown]
	v_add_nc_u32_e32 v16, -1, v15
	v_add_nc_u32_e32 v17, 1, v15
	v_fmaak_f32 v11, v10, v11, 0x4331516e
	v_fmaak_f32 v14, v10, v14, 0x432816d7
	v_fma_f32 v20, -v16, v15, v2
	v_fma_f32 v21, -v17, v15, v2
	v_fmaak_f32 v11, v10, v11, 0x43243c15
	v_fmaak_f32 v14, v10, v14, 0x431fc1a3
	v_cmp_ge_f32_e64 s5, 0, v20
	v_fmamk_f32 v20, v3, 0x32a5705f, v22
	v_cmp_lt_f32_e64 s6, 0, v21
	v_fmaak_f32 v11, v10, v11, 0x428ef4a7
	v_fmaak_f32 v14, v10, v14, 0x428d127a
	v_cndmask_b32_e64 v15, v15, v16, s5
	v_cvt_i32_f32_e32 v21, v23
	v_fmaak_f32 v11, v10, v11, 0x416188dd
	v_fmaak_f32 v14, v10, v14, 0x41606c6b
	v_cndmask_b32_e64 v15, v15, v17, s6
	v_fma_f32 v11, v10, v11, 1.0
	v_fma_f32 v10, v10, v14, 1.0
	v_div_scale_f32 v14, null, v11, v11, v10
	v_div_scale_f32 v22, s5, v10, v11, v10
	v_rcp_f32_e32 v18, v14
	v_fma_f32 v16, -v14, v18, 1.0
	v_fmac_f32_e32 v18, v16, v18
	v_add_f32_e32 v16, v19, v20
	v_mul_f32_e32 v19, 0x37800000, v15
	v_mul_f32_e32 v17, v22, v18
	v_exp_f32_e32 v16, v16
	v_cndmask_b32_e32 v15, v15, v19, vcc_lo
	v_cmp_class_f32_e64 vcc_lo, v2, 0x260
	v_fma_f32 v20, -v14, v17, v22
	v_cndmask_b32_e32 v2, v15, v2, vcc_lo
	v_cmp_ngt_f32_e32 vcc_lo, 0xc2ce8ed0, v3
	v_fmac_f32_e32 v17, v20, v18
	v_ldexp_f32 v16, v16, v21
	v_add_f32_e32 v2, v2, v2
	v_fma_f32 v14, -v14, v17, v22
	v_cndmask_b32_e32 v15, 0, v16, vcc_lo
	s_mov_b32 vcc_lo, s5
	s_andn2_b32 s5, s12, exec_lo
	v_div_fmas_f32 v14, v14, v18, v17
	v_cmp_nlt_f32_e32 vcc_lo, 0x42b17218, v3
	v_div_fixup_f32 v10, v14, v11, v10
	v_cndmask_b32_e32 v3, 0x7f800000, v15, vcc_lo
	v_mul_f32_e32 v2, v2, v3
	v_mul_f32_e32 v3, 0x3f106ebb, v10
	v_div_scale_f32 v10, null, v2, v2, v3
	v_div_scale_f32 v15, vcc_lo, v3, v2, v3
	v_rcp_f32_e32 v11, v10
	v_fma_f32 v14, -v10, v11, 1.0
	v_fmac_f32_e32 v11, v14, v11
	v_mul_f32_e32 v14, v15, v11
	v_fma_f32 v16, -v10, v14, v15
	v_fmac_f32_e32 v14, v16, v11
	v_fma_f32 v10, -v10, v14, v15
	v_div_fmas_f32 v10, v10, v11, v14
	v_cmp_nlt_f32_e32 vcc_lo, 0x41052018, v13
	v_div_fixup_f32 v2, v10, v2, v3
	s_and_b32 s6, vcc_lo, exec_lo
	s_or_b32 s5, s5, s6
.LBB12_14:
	s_or_b32 exec_lo, exec_lo, s13
	s_and_saveexec_b32 s6, s5
	s_cbranch_execz .LBB12_18
; %bb.15:
	v_mul_f32_e32 v10, v13, v13
	v_mov_b32_e32 v14, 1.0
	v_mov_b32_e32 v15, 1.0
	v_mov_b32_e32 v3, v13
	s_mov_b32 s13, 0
	v_mul_f32_e32 v11, v13, v10
	v_mov_b32_e32 v10, 1.0
.LBB12_16:                              ; =>This Inner Loop Header: Depth=1
	v_mul_f32_e32 v14, v11, v14
	v_add_f32_e32 v15, 1.0, v15
	v_mul_f32_e32 v13, v11, v13
	v_div_scale_f32 v16, null, v15, v15, v14
	v_div_scale_f32 v19, vcc_lo, v14, v15, v14
	v_add_f32_e32 v18, 1.0, v15
	v_rcp_f32_e32 v17, v16
	v_div_scale_f32 v20, null, v18, v18, v13
	v_fma_f32 v21, -v16, v17, 1.0
	v_fmac_f32_e32 v17, v21, v17
	v_mul_f32_e32 v21, v19, v17
	v_fma_f32 v22, -v16, v21, v19
	v_fmac_f32_e32 v21, v22, v17
	v_fma_f32 v16, -v16, v21, v19
	v_div_fmas_f32 v16, v16, v17, v21
	v_div_scale_f32 v19, vcc_lo, v13, v18, v13
	v_div_fixup_f32 v14, v16, v15, v14
	v_rcp_f32_e32 v16, v20
	v_div_scale_f32 v15, null, v18, v18, v14
	v_div_scale_f32 v22, s5, v14, v18, v14
	v_rcp_f32_e32 v17, v15
	v_fma_f32 v21, -v20, v16, 1.0
	v_fmac_f32_e32 v16, v21, v16
	v_fma_f32 v21, -v15, v17, 1.0
	v_fmac_f32_e32 v17, v21, v17
	v_mul_f32_e32 v21, v19, v16
	v_mul_f32_e32 v23, v22, v17
	v_fma_f32 v24, -v20, v21, v19
	v_fma_f32 v25, -v15, v23, v22
	v_fmac_f32_e32 v21, v24, v16
	v_fmac_f32_e32 v23, v25, v17
	v_fma_f32 v19, -v20, v21, v19
	v_fma_f32 v15, -v15, v23, v22
	v_div_fmas_f32 v16, v19, v16, v21
	s_mov_b32 vcc_lo, s5
	v_div_fmas_f32 v17, v15, v17, v23
	v_add_f32_e32 v15, 1.0, v18
	v_div_fixup_f32 v13, v16, v18, v13
	v_div_fixup_f32 v14, v17, v18, v14
	v_div_scale_f32 v16, null, v15, v15, v13
	v_div_scale_f32 v20, vcc_lo, v13, v15, v13
	v_add_f32_e32 v10, v10, v14
	v_rcp_f32_e32 v18, v16
	v_div_scale_f32 v17, null, v10, v10, v14
	v_rcp_f32_e32 v19, v17
	v_fma_f32 v21, -v16, v18, 1.0
	v_fmac_f32_e32 v18, v21, v18
	v_div_scale_f32 v21, s5, v14, v10, v14
	v_fma_f32 v22, -v17, v19, 1.0
	v_fmac_f32_e32 v19, v22, v19
	v_mul_f32_e32 v22, v20, v18
	v_mul_f32_e32 v23, v21, v19
	v_fma_f32 v24, -v16, v22, v20
	v_fma_f32 v25, -v17, v23, v21
	v_fmac_f32_e32 v22, v24, v18
	v_fmac_f32_e32 v23, v25, v19
	v_fma_f32 v16, -v16, v22, v20
	v_fma_f32 v17, -v17, v23, v21
	v_div_fmas_f32 v16, v16, v18, v22
	s_mov_b32 vcc_lo, s5
	v_div_fmas_f32 v17, v17, v19, v23
	v_div_fixup_f32 v13, v16, v15, v13
	v_div_fixup_f32 v17, v17, v10, v14
	v_add_f32_e32 v3, v3, v13
	v_cmp_nlt_f32_e64 s5, 0x34000000, |v17|
	s_or_b32 s13, s5, s13
	s_andn2_b32 exec_lo, exec_lo, s13
	s_cbranch_execnz .LBB12_16
; %bb.17:
	s_or_b32 exec_lo, exec_lo, s13
	v_mul_f32_e32 v3, 0xbe8483fa, v3
	v_fmamk_f32 v3, v10, 0x3eb5c63d, v3
	v_cndmask_b32_e64 v2, v2, v3, s12
.LBB12_18:
	s_or_b32 exec_lo, exec_lo, s6
                                        ; implicit-def: $vgpr13
.LBB12_19:
	s_andn2_saveexec_b32 s12, s7
	s_cbranch_execz .LBB12_29
; %bb.20:
	v_mul_f32_e32 v2, 0xcf800000, v13
	v_cmp_lt_f32_e32 vcc_lo, 0x8f800000, v13
	v_cndmask_b32_e64 v2, -v13, v2, vcc_lo
	v_sqrt_f32_e32 v3, v2
	v_add_nc_u32_e32 v10, -1, v3
	v_add_nc_u32_e32 v11, 1, v3
	v_fma_f32 v14, -v10, v3, v2
	v_fma_f32 v15, -v11, v3, v2
	v_cmp_ge_f32_e64 s5, 0, v14
	v_cndmask_b32_e64 v3, v3, v10, s5
	v_cmp_lt_f32_e64 s5, 0, v15
	v_cndmask_b32_e64 v3, v3, v11, s5
	v_mul_f32_e32 v10, 0x37800000, v3
	v_cndmask_b32_e32 v3, v3, v10, vcc_lo
	v_cmp_class_f32_e64 vcc_lo, v2, 0x260
	v_mul_f32_e32 v10, -2.0, v13
	v_cndmask_b32_e32 v3, v3, v2, vcc_lo
	v_mul_f32_e32 v2, v10, v3
	v_div_scale_f32 v10, null, 0x40400000, 0x40400000, v2
	v_rcp_f32_e32 v11, v10
	v_fma_f32 v13, -v10, v11, 1.0
	v_fmac_f32_e32 v11, v13, v11
	v_div_scale_f32 v13, vcc_lo, v2, 0x40400000, v2
	v_mul_f32_e32 v14, v13, v11
	v_fma_f32 v15, -v10, v14, v13
	v_fmac_f32_e32 v14, v15, v11
                                        ; implicit-def: $vgpr15
	v_fma_f32 v10, -v10, v14, v13
	v_div_fmas_f32 v10, v10, v11, v14
                                        ; implicit-def: $vgpr11
	v_div_fixup_f32 v10, v10, 0x40400000, v2
	v_add_f32_e32 v2, 0x3f490fdb, v10
	v_and_b32_e32 v13, 0x7fffffff, v2
	v_cmp_ngt_f32_e64 s7, 0x48000000, |v2|
	v_lshrrev_b32_e32 v16, 23, v13
	s_and_saveexec_b32 s5, s7
	s_xor_b32 s13, exec_lo, s5
	s_cbranch_execz .LBB12_22
; %bb.21:
	s_mov_b32 s5, 0x7fffff
	v_mov_b32_e32 v18, 0
	v_and_or_b32 v11, v13, s5, 0x800000
	v_mad_u64_u32 v[14:15], null, 0xfe5163ab, v11, 0
	v_mov_b32_e32 v17, v15
	v_add_nc_u32_e32 v15, 0xffffff88, v16
	v_mad_u64_u32 v[19:20], null, 0x3c439041, v11, v[17:18]
	v_cmp_lt_u32_e32 vcc_lo, 63, v15
	v_cndmask_b32_e64 v24, 0, 0xffffffc0, vcc_lo
	v_mov_b32_e32 v17, v20
	v_add_nc_u32_e32 v15, v24, v15
	v_mad_u64_u32 v[20:21], null, 0xdb629599, v11, v[17:18]
	v_cmp_lt_u32_e64 s5, 31, v15
	v_mov_b32_e32 v17, v21
	v_cndmask_b32_e64 v25, 0, 0xffffffe0, s5
	v_cndmask_b32_e32 v14, v20, v14, vcc_lo
	v_mad_u64_u32 v[21:22], null, 0xf534ddc0, v11, v[17:18]
	v_add_nc_u32_e32 v15, v25, v15
	v_cmp_lt_u32_e64 s6, 31, v15
	v_mov_b32_e32 v17, v22
	v_mad_u64_u32 v[22:23], null, 0xfc2757d1, v11, v[17:18]
	v_mov_b32_e32 v17, v23
	v_mad_u64_u32 v[23:24], null, 0x4e441529, v11, v[17:18]
	v_mov_b32_e32 v17, v24
	v_cndmask_b32_e32 v24, v23, v21, vcc_lo
	v_mad_u64_u32 v[17:18], null, 0xa2f9836e, v11, v[17:18]
	v_cndmask_b32_e64 v11, 0, 0xffffffe0, s6
	v_add_nc_u32_e32 v11, v11, v15
	v_cndmask_b32_e32 v17, v17, v22, vcc_lo
	v_cndmask_b32_e32 v18, v18, v23, vcc_lo
	;; [unrolled: 1-line block ×4, first 2 shown]
	v_sub_nc_u32_e32 v21, 32, v11
	v_cndmask_b32_e64 v19, v17, v24, s5
	v_cndmask_b32_e64 v17, v18, v17, s5
	;; [unrolled: 1-line block ×4, first 2 shown]
	v_cmp_eq_u32_e32 vcc_lo, 0, v11
	v_cndmask_b32_e64 v14, v15, v14, s5
	v_cndmask_b32_e64 v17, v17, v19, s6
	;; [unrolled: 1-line block ×5, first 2 shown]
	v_alignbit_b32 v23, v17, v19, v21
	v_alignbit_b32 v20, v19, v18, v21
	;; [unrolled: 1-line block ×3, first 2 shown]
	v_cndmask_b32_e32 v11, v23, v17, vcc_lo
	v_cndmask_b32_e32 v15, v20, v19, vcc_lo
	;; [unrolled: 1-line block ×3, first 2 shown]
	v_bfe_u32 v17, v11, 29, 1
	v_alignbit_b32 v19, v11, v15, 30
	v_alignbit_b32 v15, v15, v18, 30
	;; [unrolled: 1-line block ×3, first 2 shown]
	v_sub_nc_u32_e32 v20, 0, v17
	v_xor_b32_e32 v19, v19, v20
	v_xor_b32_e32 v15, v15, v20
	;; [unrolled: 1-line block ×3, first 2 shown]
	v_lshrrev_b32_e32 v20, 29, v11
	v_ffbh_u32_e32 v21, v19
	v_min_u32_e32 v21, 32, v21
	v_sub_nc_u32_e32 v18, 31, v21
	v_lshlrev_b32_e32 v22, 23, v21
	v_alignbit_b32 v19, v19, v15, v18
	v_alignbit_b32 v14, v15, v14, v18
	v_lshlrev_b32_e32 v15, 31, v20
	v_alignbit_b32 v18, v19, v14, 9
	v_or_b32_e32 v20, 0.5, v15
	v_lshrrev_b32_e32 v19, 9, v19
	v_or_b32_e32 v15, 0x33000000, v15
	v_ffbh_u32_e32 v23, v18
	v_sub_nc_u32_e32 v20, v20, v22
	v_min_u32_e32 v22, 32, v23
	v_or_b32_e32 v19, v19, v20
	v_not_b32_e32 v20, v22
	v_mul_f32_e32 v23, 0x3fc90fda, v19
	v_add_lshl_u32 v21, v22, v21, 23
	v_alignbit_b32 v14, v18, v14, v20
	v_fma_f32 v18, 0x3fc90fda, v19, -v23
	v_sub_nc_u32_e32 v15, v15, v21
	v_lshrrev_b32_e32 v14, 9, v14
	v_fmamk_f32 v18, v19, 0x33a22168, v18
	v_or_b32_e32 v14, v15, v14
	v_fmac_f32_e32 v18, 0x3fc90fda, v14
	v_lshrrev_b32_e32 v14, 30, v11
	v_add_f32_e32 v11, v23, v18
	v_add_nc_u32_e32 v15, v17, v14
	s_or_saveexec_b32 s5, s13
	v_mul_f32_e64 v18, 0x3f22f983, |v2|
	s_xor_b32 exec_lo, exec_lo, s5
	s_branch .LBB12_23
.LBB12_22:
	s_or_saveexec_b32 s5, s13
	v_mul_f32_e64 v18, 0x3f22f983, |v2|
	s_xor_b32 exec_lo, exec_lo, s5
.LBB12_23:
	v_rndne_f32_e32 v14, v18
	v_fma_f32 v11, 0xbfc90fda, v14, |v2|
	v_cvt_i32_f32_e32 v15, v14
	v_fmamk_f32 v11, v14, 0xb3a22168, v11
	v_fmamk_f32 v11, v14, 0xa7c234c4, v11
; %bb.24:
	s_or_b32 exec_lo, exec_lo, s5
                                        ; implicit-def: $vgpr17
                                        ; implicit-def: $vgpr14
	s_and_saveexec_b32 s5, s7
	s_xor_b32 s7, exec_lo, s5
	s_cbranch_execz .LBB12_26
; %bb.25:
	s_mov_b32 s5, 0x7fffff
	v_mov_b32_e32 v19, 0
	v_and_or_b32 v14, v13, s5, 0x800000
	v_add_nc_u32_e32 v16, 0xffffff88, v16
	v_mad_u64_u32 v[17:18], null, 0xfe5163ab, v14, 0
	v_cmp_lt_u32_e32 vcc_lo, 63, v16
	v_cndmask_b32_e64 v25, 0, 0xffffffc0, vcc_lo
	v_mad_u64_u32 v[20:21], null, 0x3c439041, v14, v[18:19]
	v_add_nc_u32_e32 v16, v25, v16
	v_mov_b32_e32 v18, v21
	v_cmp_lt_u32_e64 s5, 31, v16
	v_mad_u64_u32 v[21:22], null, 0xdb629599, v14, v[18:19]
	v_cndmask_b32_e64 v26, 0, 0xffffffe0, s5
	v_add_nc_u32_e32 v16, v26, v16
	v_mov_b32_e32 v18, v22
	v_cndmask_b32_e32 v17, v21, v17, vcc_lo
	v_cmp_lt_u32_e64 s6, 31, v16
	v_mad_u64_u32 v[22:23], null, 0xf534ddc0, v14, v[18:19]
	v_mov_b32_e32 v18, v23
	v_mad_u64_u32 v[23:24], null, 0xfc2757d1, v14, v[18:19]
	v_mov_b32_e32 v18, v24
	;; [unrolled: 2-line block ×3, first 2 shown]
	v_cndmask_b32_e32 v25, v24, v22, vcc_lo
	v_mad_u64_u32 v[18:19], null, 0xa2f9836e, v14, v[18:19]
	v_cndmask_b32_e64 v14, 0, 0xffffffe0, s6
	v_add_nc_u32_e32 v14, v14, v16
	v_cndmask_b32_e32 v18, v18, v23, vcc_lo
	v_cndmask_b32_e32 v19, v19, v24, vcc_lo
	;; [unrolled: 1-line block ×4, first 2 shown]
	v_sub_nc_u32_e32 v22, 32, v14
	v_cndmask_b32_e64 v20, v18, v25, s5
	v_cndmask_b32_e64 v18, v19, v18, s5
	;; [unrolled: 1-line block ×4, first 2 shown]
	v_cmp_eq_u32_e32 vcc_lo, 0, v14
	v_cndmask_b32_e64 v16, v16, v17, s5
	v_cndmask_b32_e64 v18, v18, v20, s6
	;; [unrolled: 1-line block ×5, first 2 shown]
	v_alignbit_b32 v24, v18, v20, v22
	v_alignbit_b32 v21, v20, v19, v22
	;; [unrolled: 1-line block ×3, first 2 shown]
	v_cndmask_b32_e32 v14, v24, v18, vcc_lo
	v_cndmask_b32_e32 v17, v21, v20, vcc_lo
	;; [unrolled: 1-line block ×3, first 2 shown]
	v_bfe_u32 v18, v14, 29, 1
	v_alignbit_b32 v20, v14, v17, 30
	v_alignbit_b32 v17, v17, v19, 30
	;; [unrolled: 1-line block ×3, first 2 shown]
	v_sub_nc_u32_e32 v21, 0, v18
	v_xor_b32_e32 v20, v20, v21
	v_xor_b32_e32 v17, v17, v21
	;; [unrolled: 1-line block ×3, first 2 shown]
	v_lshrrev_b32_e32 v21, 29, v14
	v_ffbh_u32_e32 v22, v20
	v_min_u32_e32 v22, 32, v22
	v_sub_nc_u32_e32 v19, 31, v22
	v_lshlrev_b32_e32 v23, 23, v22
	v_alignbit_b32 v20, v20, v17, v19
	v_alignbit_b32 v16, v17, v16, v19
	v_lshlrev_b32_e32 v17, 31, v21
	v_alignbit_b32 v19, v20, v16, 9
	v_or_b32_e32 v21, 0.5, v17
	v_lshrrev_b32_e32 v20, 9, v20
	v_or_b32_e32 v17, 0x33000000, v17
	v_ffbh_u32_e32 v24, v19
	v_sub_nc_u32_e32 v21, v21, v23
	v_min_u32_e32 v23, 32, v24
	v_or_b32_e32 v20, v20, v21
	v_not_b32_e32 v21, v23
	v_mul_f32_e32 v24, 0x3fc90fda, v20
	v_add_lshl_u32 v22, v23, v22, 23
	v_alignbit_b32 v16, v19, v16, v21
	v_fma_f32 v19, 0x3fc90fda, v20, -v24
	v_sub_nc_u32_e32 v17, v17, v22
	v_lshrrev_b32_e32 v16, 9, v16
	v_fmamk_f32 v19, v20, 0x33a22168, v19
	v_or_b32_e32 v16, v17, v16
	v_fmac_f32_e32 v19, 0x3fc90fda, v16
	v_lshrrev_b32_e32 v16, 30, v14
	v_add_f32_e32 v14, v24, v19
	v_add_nc_u32_e32 v17, v18, v16
                                        ; implicit-def: $vgpr18
	s_andn2_saveexec_b32 s5, s7
	s_cbranch_execnz .LBB12_27
	s_branch .LBB12_28
.LBB12_26:
	s_andn2_saveexec_b32 s5, s7
.LBB12_27:
	v_rndne_f32_e32 v16, v18
	v_fma_f32 v14, 0xbfc90fda, v16, |v2|
	v_cvt_i32_f32_e32 v17, v16
	v_fmamk_f32 v14, v16, 0xb3a22168, v14
	v_fmamk_f32 v14, v16, 0xa7c234c4, v14
.LBB12_28:
	s_or_b32 exec_lo, exec_lo, s5
	v_div_scale_f32 v16, null, v10, v10, 1.0
	v_div_scale_f32 v20, vcc_lo, 1.0, v10, 1.0
	v_mul_f32_e32 v23, 0x4f800000, v3
	v_rcp_f32_e32 v18, v16
	v_mul_f32_e32 v22, v11, v11
	s_mov_b32 s5, 0xb94c1982
	s_mov_b32 s6, 0x37d75334
	v_and_b32_e32 v24, 1, v17
	v_xor_b32_e32 v13, v13, v2
	v_lshlrev_b32_e32 v17, 30, v17
	v_fma_f32 v19, -v16, v18, 1.0
	v_and_b32_e32 v17, 0x80000000, v17
	v_fmac_f32_e32 v18, v19, v18
	v_mul_f32_e32 v19, v20, v18
	v_fma_f32 v21, -v16, v19, v20
	v_fmac_f32_e32 v19, v21, v18
	v_and_b32_e32 v21, 1, v15
	v_lshlrev_b32_e32 v15, 30, v15
	v_fma_f32 v16, -v16, v19, v20
	v_mul_f32_e32 v20, v14, v14
	v_cmp_eq_u32_e64 s7, 0, v21
	v_and_b32_e32 v15, 0x80000000, v15
	v_div_fmas_f32 v16, v16, v18, v19
	v_cmp_gt_f32_e32 vcc_lo, 0xf800000, v3
	v_fmaak_f32 v18, s5, v22, 0x3c0881c4
	v_fmaak_f32 v19, s6, v22, 0xbab64f3b
	v_div_fixup_f32 v10, v16, v10, 1.0
	v_cndmask_b32_e32 v3, v3, v23, vcc_lo
	v_fmaak_f32 v16, s5, v20, 0x3c0881c4
	v_fmaak_f32 v23, s6, v20, 0xbab64f3b
	v_fmaak_f32 v18, v22, v18, 0xbe2aaa9d
	v_mul_f32_e32 v25, v10, v10
	v_sqrt_f32_e32 v26, v3
	v_fmaak_f32 v19, v22, v19, 0x3d2aabf7
	v_fmaak_f32 v16, v20, v16, 0xbe2aaa9d
	;; [unrolled: 1-line block ×7, first 2 shown]
	v_mul_f32_e32 v18, v22, v18
	v_fmaak_f32 v27, v25, v27, 0x3ec83ea8
	v_fmaak_f32 v28, v25, v28, 0xbf205f75
	;; [unrolled: 1-line block ×4, first 2 shown]
	v_add_nc_u32_e32 v31, -1, v26
	v_fmaak_f32 v27, v25, v27, 0x3f886c1a
	v_fmaak_f32 v28, v25, v28, 0xbf3172ce
	;; [unrolled: 1-line block ×4, first 2 shown]
	v_add_nc_u32_e32 v32, 1, v26
	v_fmaak_f32 v27, v25, v27, 0x3f706d65
	v_fmaak_f32 v28, v25, v28, 0xbe8f3f52
	v_fma_f32 v33, -v31, v26, v3
	v_fmaak_f32 v29, v25, v29, 0x4112fe41
	v_fmaak_f32 v30, v25, v30, 0x40af4271
	;; [unrolled: 1-line block ×4, first 2 shown]
	v_fma_f32 v34, -v32, v26, v3
	v_cmp_ge_f32_e64 s5, 0, v33
	v_fmaak_f32 v29, v25, v29, 0x3fbcd65a
	v_fmaak_f32 v27, v25, v27, 0x3d81d209
	;; [unrolled: 1-line block ×4, first 2 shown]
	v_cndmask_b32_e64 v26, v26, v31, s5
	v_cmp_lt_f32_e64 s5, 0, v34
	v_fmaak_f32 v27, v25, v27, 0x3bbff4d0
	v_fmaak_f32 v29, v25, v29, 0x3deced66
	;; [unrolled: 1-line block ×4, first 2 shown]
	v_cndmask_b32_e64 v26, v26, v32, s5
	v_fmaak_f32 v27, v25, v27, 0x39944bb3
	v_fmaak_f32 v29, v25, v29, 0x3b904657
	v_fmaak_f32 v30, v25, v30, 0x3b873823
	v_fmaak_f32 v28, v25, v28, 0xb63a53c1
	v_mul_f32_e32 v31, 0x37800000, v26
	v_fmaak_f32 v27, v25, v27, 0x36ea79eb
	v_fmaak_f32 v29, v25, v29, 0x389e46bd
	;; [unrolled: 1-line block ×4, first 2 shown]
	v_cndmask_b32_e32 v26, v26, v31, vcc_lo
	v_fmaak_f32 v27, v25, v27, 0x33ae5496
	v_cmp_class_f32_e64 vcc_lo, v3, 0x260
	v_fmaak_f32 v29, v25, v29, 0x34f295ce
	v_fmaak_f32 v30, v25, v30, 0x359d422f
	v_mul_f32_e32 v28, v25, v28
	v_fmaak_f32 v27, v25, v27, 0x2fbbc524
	v_cndmask_b32_e32 v3, v26, v3, vcc_lo
	v_fmaak_f32 v19, v22, v19, 0xbf000004
	v_fmaak_f32 v25, v25, v30, 0x31a8fe3a
	v_div_scale_f32 v26, null, v29, v29, v28
	v_mul_f32_e32 v10, v10, v27
	v_div_scale_f32 v27, null, v3, v3, 0x3f106ebb
	v_rcp_f32_e32 v30, v26
	v_mul_f32_e32 v16, v20, v16
	v_div_scale_f32 v31, null, v25, v25, v10
	v_rcp_f32_e32 v32, v27
	v_fmaak_f32 v23, v20, v23, 0xbf000004
	v_fmac_f32_e32 v11, v11, v18
	v_fma_f32 v18, v22, v19, 1.0
	v_rcp_f32_e32 v19, v31
	v_fmac_f32_e32 v14, v14, v16
	v_fma_f32 v16, v20, v23, 1.0
	v_fma_f32 v20, -v26, v30, 1.0
	v_div_scale_f32 v33, vcc_lo, v28, v29, v28
	v_fma_f32 v23, -v27, v32, 1.0
	v_div_scale_f32 v22, s5, 0x3f106ebb, v3, 0x3f106ebb
	v_fmac_f32_e32 v30, v20, v30
	v_fma_f32 v20, -v31, v19, 1.0
	v_fmac_f32_e32 v32, v23, v32
	v_div_scale_f32 v23, s6, v10, v25, v10
	v_mul_f32_e32 v34, v33, v30
	v_fmac_f32_e32 v19, v20, v19
	v_mul_f32_e32 v20, v22, v32
	v_cndmask_b32_e64 v11, v18, v11, s7
	v_cmp_eq_u32_e64 s7, 0, v24
	v_fma_f32 v18, -v26, v34, v33
	v_mul_f32_e32 v21, v23, v19
	v_fma_f32 v35, -v27, v20, v22
	v_xor3_b32 v11, v13, v15, v11
	v_cndmask_b32_e64 v14, -v14, v16, s7
	v_fmac_f32_e32 v34, v18, v30
	v_fma_f32 v16, -v31, v21, v23
	v_fmac_f32_e32 v20, v35, v32
	v_cmp_class_f32_e64 s7, v2, 0x1f8
	v_xor_b32_e32 v14, v17, v14
	v_fma_f32 v2, -v26, v34, v33
	v_fmac_f32_e32 v21, v16, v19
	v_fma_f32 v13, -v27, v20, v22
	v_cndmask_b32_e64 v11, 0x7fc00000, v11, s7
	v_cndmask_b32_e64 v14, 0x7fc00000, v14, s7
	v_div_fmas_f32 v2, v2, v30, v34
	v_fma_f32 v15, -v31, v21, v23
	s_mov_b32 vcc_lo, s5
	v_div_fmas_f32 v13, v13, v32, v20
	s_mov_b32 vcc_lo, s6
	v_div_fixup_f32 v2, v2, v29, v28
	v_div_fmas_f32 v15, v15, v19, v21
	v_div_fixup_f32 v3, v13, v3, 0x3f106ebb
	v_add_f32_e32 v2, 1.0, v2
	v_div_fixup_f32 v10, v15, v25, v10
	v_mul_f32_e32 v10, v10, v14
	v_fma_f32 v2, v2, v11, -v10
	v_mul_f32_e32 v2, v3, v2
.LBB12_29:
	s_or_b32 exec_lo, exec_lo, s12
.LBB12_30:
	s_or_b32 exec_lo, exec_lo, s11
.LBB12_31:
	s_or_b32 exec_lo, exec_lo, s10
	v_mov_b32_e32 v11, 0
	v_mov_b32_e32 v10, v11
	;; [unrolled: 1-line block ×3, first 2 shown]
.LBB12_32:
	s_or_b32 exec_lo, exec_lo, s9
	s_mov_b32 s9, exec_lo
	v_cmpx_lt_i32_e64 v8, v4
	s_cbranch_execz .LBB12_56
; %bb.33:
	v_mov_b32_e32 v11, 0x7fc00000
	s_mov_b32 s10, exec_lo
	s_waitcnt vmcnt(0) lgkmcnt(0)
	v_cmpx_neq_f32_e64 0x7f800000, |v12|
	s_cbranch_execz .LBB12_55
; %bb.34:
	v_mov_b32_e32 v11, 0
	s_mov_b32 s11, exec_lo
	v_cmpx_nlt_f32_e32 0x42cfc8b4, v12
	s_cbranch_execz .LBB12_54
; %bb.35:
	s_mov_b32 s5, exec_lo
	v_cmpx_ngt_f32_e32 0xc005c28f, v12
	s_xor_b32 s7, exec_lo, s5
                                        ; implicit-def: $vgpr11
	s_cbranch_execz .LBB12_43
; %bb.36:
	v_cmp_nle_f32_e64 s12, 0x4005c28f, v12
	v_mov_b32_e32 v11, 0
	s_mov_b32 s13, exec_lo
	s_mov_b32 s5, s12
	v_cmpx_le_f32_e32 0x4005c28f, v12
	s_cbranch_execz .LBB12_38
; %bb.37:
	v_mul_f32_e32 v11, 0x4f800000, v12
	v_cmp_gt_f32_e32 vcc_lo, 0xf800000, v12
	v_cndmask_b32_e32 v11, v12, v11, vcc_lo
	v_sqrt_f32_e32 v13, v11
	v_add_nc_u32_e32 v14, -1, v13
	v_add_nc_u32_e32 v15, 1, v13
	v_fma_f32 v16, -v14, v13, v11
	v_fma_f32 v17, -v15, v13, v11
	v_cmp_ge_f32_e64 s5, 0, v16
	v_cndmask_b32_e64 v13, v13, v14, s5
	v_cmp_lt_f32_e64 s5, 0, v17
	v_cndmask_b32_e64 v13, v13, v15, s5
	v_mul_f32_e32 v14, 0x37800000, v13
	v_cndmask_b32_e32 v13, v13, v14, vcc_lo
	v_cmp_class_f32_e64 vcc_lo, v11, 0x260
	v_add_f32_e32 v14, v12, v12
	v_cndmask_b32_e32 v11, v13, v11, vcc_lo
	v_mul_f32_e32 v13, v14, v11
	v_div_scale_f32 v14, null, 0x40400000, 0x40400000, v13
	v_div_scale_f32 v17, vcc_lo, v13, 0x40400000, v13
	v_rcp_f32_e32 v15, v14
	v_fma_f32 v16, -v14, v15, 1.0
	v_fmac_f32_e32 v15, v16, v15
	v_mul_f32_e32 v16, v17, v15
	v_fma_f32 v18, -v14, v16, v17
	v_fmac_f32_e32 v16, v18, v15
	v_fma_f32 v14, -v14, v16, v17
	v_div_fmas_f32 v14, v14, v15, v16
	v_div_fixup_f32 v13, v14, 0x40400000, v13
	v_div_scale_f32 v14, null, v13, v13, 1.0
	v_div_scale_f32 v17, vcc_lo, 1.0, v13, 1.0
	v_mul_f32_e32 v21, 0x3fb8aa3b, v13
	v_rcp_f32_e32 v15, v14
	v_fma_f32 v24, 0x3fb8aa3b, v13, -v21
	v_rndne_f32_e32 v25, v21
	v_sub_f32_e32 v21, v21, v25
	v_fma_f32 v16, -v14, v15, 1.0
	v_fmac_f32_e32 v15, v16, v15
	v_mul_f32_e32 v16, v17, v15
	v_fma_f32 v18, -v14, v16, v17
	v_fmac_f32_e32 v16, v18, v15
	v_fma_f32 v14, -v14, v16, v17
	v_mul_f32_e32 v17, 0x4f800000, v11
	v_div_fmas_f32 v14, v14, v15, v16
	v_cmp_gt_f32_e32 vcc_lo, 0xf800000, v11
	v_div_fixup_f32 v14, v14, v13, 1.0
	v_cndmask_b32_e32 v11, v11, v17, vcc_lo
	v_fmaak_f32 v15, 0, v14, 0x3f114de0
	v_fmaak_f32 v16, 0, v14, 0x3eb16d71
	v_sqrt_f32_e32 v17, v11
	v_fmaak_f32 v15, v14, v15, 0x416c19a0
	v_fmaak_f32 v16, v14, v16, 0x41401f1c
	;; [unrolled: 1-line block ×4, first 2 shown]
	v_add_nc_u32_e32 v18, -1, v17
	v_add_nc_u32_e32 v19, 1, v17
	v_fmaak_f32 v15, v14, v15, 0x4331516e
	v_fmaak_f32 v16, v14, v16, 0x432816d7
	v_fma_f32 v22, -v18, v17, v11
	v_fma_f32 v23, -v19, v17, v11
	v_fmaak_f32 v15, v14, v15, 0x43243c15
	v_fmaak_f32 v16, v14, v16, 0x431fc1a3
	v_cmp_ge_f32_e64 s5, 0, v22
	v_fmamk_f32 v22, v13, 0x32a5705f, v24
	v_cmp_lt_f32_e64 s6, 0, v23
	v_fmaak_f32 v15, v14, v15, 0x428ef4a7
	v_fmaak_f32 v16, v14, v16, 0x428d127a
	v_cndmask_b32_e64 v17, v17, v18, s5
	v_cvt_i32_f32_e32 v23, v25
	v_fmaak_f32 v15, v14, v15, 0x416188dd
	v_fmaak_f32 v16, v14, v16, 0x41606c6b
	v_cndmask_b32_e64 v17, v17, v19, s6
	v_fma_f32 v15, v14, v15, 1.0
	v_fma_f32 v14, v14, v16, 1.0
	v_div_scale_f32 v16, null, v15, v15, v14
	v_div_scale_f32 v24, s5, v14, v15, v14
	v_rcp_f32_e32 v20, v16
	v_fma_f32 v18, -v16, v20, 1.0
	v_fmac_f32_e32 v20, v18, v20
	v_add_f32_e32 v18, v21, v22
	v_mul_f32_e32 v21, 0x37800000, v17
	v_mul_f32_e32 v19, v24, v20
	v_exp_f32_e32 v18, v18
	v_cndmask_b32_e32 v17, v17, v21, vcc_lo
	v_cmp_class_f32_e64 vcc_lo, v11, 0x260
	v_fma_f32 v22, -v16, v19, v24
	v_cndmask_b32_e32 v11, v17, v11, vcc_lo
	v_cmp_ngt_f32_e32 vcc_lo, 0xc2ce8ed0, v13
	v_fmac_f32_e32 v19, v22, v20
	v_ldexp_f32 v18, v18, v23
	v_add_f32_e32 v11, v11, v11
	v_fma_f32 v16, -v16, v19, v24
	v_cndmask_b32_e32 v17, 0, v18, vcc_lo
	s_mov_b32 vcc_lo, s5
	s_andn2_b32 s5, s12, exec_lo
	v_div_fmas_f32 v16, v16, v20, v19
	v_cmp_nlt_f32_e32 vcc_lo, 0x42b17218, v13
	v_div_fixup_f32 v14, v16, v15, v14
	v_cndmask_b32_e32 v13, 0x7f800000, v17, vcc_lo
	v_mul_f32_e32 v11, v11, v13
	v_mul_f32_e32 v13, 0x3f106ebb, v14
	v_div_scale_f32 v14, null, v11, v11, v13
	v_div_scale_f32 v17, vcc_lo, v13, v11, v13
	v_rcp_f32_e32 v15, v14
	v_fma_f32 v16, -v14, v15, 1.0
	v_fmac_f32_e32 v15, v16, v15
	v_mul_f32_e32 v16, v17, v15
	v_fma_f32 v18, -v14, v16, v17
	v_fmac_f32_e32 v16, v18, v15
	v_fma_f32 v14, -v14, v16, v17
	v_div_fmas_f32 v14, v14, v15, v16
	v_cmp_nlt_f32_e32 vcc_lo, 0x41052018, v12
	v_div_fixup_f32 v11, v14, v11, v13
	s_and_b32 s6, vcc_lo, exec_lo
	s_or_b32 s5, s5, s6
.LBB12_38:
	s_or_b32 exec_lo, exec_lo, s13
	s_and_saveexec_b32 s6, s5
	s_cbranch_execz .LBB12_42
; %bb.39:
	v_mul_f32_e32 v14, v12, v12
	v_mov_b32_e32 v16, 1.0
	v_mov_b32_e32 v17, 1.0
	v_mov_b32_e32 v13, v12
	s_mov_b32 s13, 0
	v_mul_f32_e32 v15, v12, v14
	v_mov_b32_e32 v14, 1.0
.LBB12_40:                              ; =>This Inner Loop Header: Depth=1
	v_mul_f32_e32 v16, v15, v16
	v_add_f32_e32 v17, 1.0, v17
	v_mul_f32_e32 v12, v15, v12
	v_div_scale_f32 v18, null, v17, v17, v16
	v_div_scale_f32 v21, vcc_lo, v16, v17, v16
	v_add_f32_e32 v20, 1.0, v17
	v_rcp_f32_e32 v19, v18
	v_div_scale_f32 v22, null, v20, v20, v12
	v_fma_f32 v23, -v18, v19, 1.0
	v_fmac_f32_e32 v19, v23, v19
	v_mul_f32_e32 v23, v21, v19
	v_fma_f32 v24, -v18, v23, v21
	v_fmac_f32_e32 v23, v24, v19
	v_fma_f32 v18, -v18, v23, v21
	v_div_fmas_f32 v18, v18, v19, v23
	v_div_scale_f32 v21, vcc_lo, v12, v20, v12
	v_div_fixup_f32 v16, v18, v17, v16
	v_rcp_f32_e32 v18, v22
	v_div_scale_f32 v17, null, v20, v20, v16
	v_div_scale_f32 v24, s5, v16, v20, v16
	v_rcp_f32_e32 v19, v17
	v_fma_f32 v23, -v22, v18, 1.0
	v_fmac_f32_e32 v18, v23, v18
	v_fma_f32 v23, -v17, v19, 1.0
	v_fmac_f32_e32 v19, v23, v19
	v_mul_f32_e32 v23, v21, v18
	v_mul_f32_e32 v25, v24, v19
	v_fma_f32 v26, -v22, v23, v21
	v_fma_f32 v27, -v17, v25, v24
	v_fmac_f32_e32 v23, v26, v18
	v_fmac_f32_e32 v25, v27, v19
	v_fma_f32 v21, -v22, v23, v21
	v_fma_f32 v17, -v17, v25, v24
	v_div_fmas_f32 v18, v21, v18, v23
	s_mov_b32 vcc_lo, s5
	v_div_fmas_f32 v19, v17, v19, v25
	v_add_f32_e32 v17, 1.0, v20
	v_div_fixup_f32 v12, v18, v20, v12
	v_div_fixup_f32 v16, v19, v20, v16
	v_div_scale_f32 v18, null, v17, v17, v12
	v_div_scale_f32 v22, vcc_lo, v12, v17, v12
	v_add_f32_e32 v14, v14, v16
	v_rcp_f32_e32 v20, v18
	v_div_scale_f32 v19, null, v14, v14, v16
	v_rcp_f32_e32 v21, v19
	v_fma_f32 v23, -v18, v20, 1.0
	v_fmac_f32_e32 v20, v23, v20
	v_div_scale_f32 v23, s5, v16, v14, v16
	v_fma_f32 v24, -v19, v21, 1.0
	v_fmac_f32_e32 v21, v24, v21
	v_mul_f32_e32 v24, v22, v20
	v_mul_f32_e32 v25, v23, v21
	v_fma_f32 v26, -v18, v24, v22
	v_fma_f32 v27, -v19, v25, v23
	v_fmac_f32_e32 v24, v26, v20
	v_fmac_f32_e32 v25, v27, v21
	v_fma_f32 v18, -v18, v24, v22
	v_fma_f32 v19, -v19, v25, v23
	v_div_fmas_f32 v18, v18, v20, v24
	s_mov_b32 vcc_lo, s5
	v_div_fmas_f32 v19, v19, v21, v25
	v_div_fixup_f32 v12, v18, v17, v12
	v_div_fixup_f32 v19, v19, v14, v16
	v_add_f32_e32 v13, v13, v12
	v_cmp_nlt_f32_e64 s5, 0x34000000, |v19|
	s_or_b32 s13, s5, s13
	s_andn2_b32 exec_lo, exec_lo, s13
	s_cbranch_execnz .LBB12_40
; %bb.41:
	s_or_b32 exec_lo, exec_lo, s13
	v_mul_f32_e32 v12, 0xbe8483fa, v13
	v_fmamk_f32 v12, v14, 0x3eb5c63d, v12
	v_cndmask_b32_e64 v11, v11, v12, s12
.LBB12_42:
	s_or_b32 exec_lo, exec_lo, s6
                                        ; implicit-def: $vgpr12
.LBB12_43:
	s_andn2_saveexec_b32 s12, s7
	s_cbranch_execz .LBB12_53
; %bb.44:
	v_mul_f32_e32 v11, 0xcf800000, v12
	v_cmp_lt_f32_e32 vcc_lo, 0x8f800000, v12
	v_cndmask_b32_e64 v11, -v12, v11, vcc_lo
	v_sqrt_f32_e32 v13, v11
	v_add_nc_u32_e32 v14, -1, v13
	v_add_nc_u32_e32 v15, 1, v13
	v_fma_f32 v16, -v14, v13, v11
	v_fma_f32 v17, -v15, v13, v11
	v_cmp_ge_f32_e64 s5, 0, v16
	v_cndmask_b32_e64 v13, v13, v14, s5
	v_cmp_lt_f32_e64 s5, 0, v17
	v_cndmask_b32_e64 v13, v13, v15, s5
	v_mul_f32_e32 v14, 0x37800000, v13
	v_cndmask_b32_e32 v13, v13, v14, vcc_lo
	v_cmp_class_f32_e64 vcc_lo, v11, 0x260
	v_mul_f32_e32 v14, -2.0, v12
	v_cndmask_b32_e32 v12, v13, v11, vcc_lo
	v_mul_f32_e32 v11, v14, v12
	v_div_scale_f32 v13, null, 0x40400000, 0x40400000, v11
	v_rcp_f32_e32 v14, v13
	v_fma_f32 v15, -v13, v14, 1.0
	v_fmac_f32_e32 v14, v15, v14
	v_div_scale_f32 v15, vcc_lo, v11, 0x40400000, v11
	v_mul_f32_e32 v16, v15, v14
	v_fma_f32 v17, -v13, v16, v15
	v_fmac_f32_e32 v16, v17, v14
                                        ; implicit-def: $vgpr17
	v_fma_f32 v13, -v13, v16, v15
	v_div_fmas_f32 v13, v13, v14, v16
                                        ; implicit-def: $vgpr14
	v_div_fixup_f32 v13, v13, 0x40400000, v11
	v_add_f32_e32 v11, 0x3f490fdb, v13
	v_and_b32_e32 v15, 0x7fffffff, v11
	v_cmp_ngt_f32_e64 s7, 0x48000000, |v11|
	v_lshrrev_b32_e32 v18, 23, v15
	s_and_saveexec_b32 s5, s7
	s_xor_b32 s13, exec_lo, s5
	s_cbranch_execz .LBB12_46
; %bb.45:
	s_mov_b32 s5, 0x7fffff
	v_mov_b32_e32 v20, 0
	v_and_or_b32 v14, v15, s5, 0x800000
	v_mad_u64_u32 v[16:17], null, 0xfe5163ab, v14, 0
	v_mov_b32_e32 v19, v17
	v_add_nc_u32_e32 v17, 0xffffff88, v18
	v_mad_u64_u32 v[21:22], null, 0x3c439041, v14, v[19:20]
	v_cmp_lt_u32_e32 vcc_lo, 63, v17
	v_cndmask_b32_e64 v26, 0, 0xffffffc0, vcc_lo
	v_mov_b32_e32 v19, v22
	v_add_nc_u32_e32 v17, v26, v17
	v_mad_u64_u32 v[22:23], null, 0xdb629599, v14, v[19:20]
	v_cmp_lt_u32_e64 s5, 31, v17
	v_mov_b32_e32 v19, v23
	v_cndmask_b32_e64 v27, 0, 0xffffffe0, s5
	v_cndmask_b32_e32 v16, v22, v16, vcc_lo
	v_mad_u64_u32 v[23:24], null, 0xf534ddc0, v14, v[19:20]
	v_add_nc_u32_e32 v17, v27, v17
	v_cmp_lt_u32_e64 s6, 31, v17
	v_mov_b32_e32 v19, v24
	v_mad_u64_u32 v[24:25], null, 0xfc2757d1, v14, v[19:20]
	v_mov_b32_e32 v19, v25
	v_mad_u64_u32 v[25:26], null, 0x4e441529, v14, v[19:20]
	v_mov_b32_e32 v19, v26
	v_cndmask_b32_e32 v26, v25, v23, vcc_lo
	v_mad_u64_u32 v[19:20], null, 0xa2f9836e, v14, v[19:20]
	v_cndmask_b32_e64 v14, 0, 0xffffffe0, s6
	v_add_nc_u32_e32 v14, v14, v17
	v_cndmask_b32_e32 v19, v19, v24, vcc_lo
	v_cndmask_b32_e32 v20, v20, v25, vcc_lo
	;; [unrolled: 1-line block ×4, first 2 shown]
	v_sub_nc_u32_e32 v23, 32, v14
	v_cndmask_b32_e64 v21, v19, v26, s5
	v_cndmask_b32_e64 v19, v20, v19, s5
	;; [unrolled: 1-line block ×4, first 2 shown]
	v_cmp_eq_u32_e32 vcc_lo, 0, v14
	v_cndmask_b32_e64 v16, v17, v16, s5
	v_cndmask_b32_e64 v19, v19, v21, s6
	;; [unrolled: 1-line block ×5, first 2 shown]
	v_alignbit_b32 v25, v19, v21, v23
	v_alignbit_b32 v22, v21, v20, v23
	;; [unrolled: 1-line block ×3, first 2 shown]
	v_cndmask_b32_e32 v14, v25, v19, vcc_lo
	v_cndmask_b32_e32 v17, v22, v21, vcc_lo
	;; [unrolled: 1-line block ×3, first 2 shown]
	v_bfe_u32 v19, v14, 29, 1
	v_alignbit_b32 v21, v14, v17, 30
	v_alignbit_b32 v17, v17, v20, 30
	;; [unrolled: 1-line block ×3, first 2 shown]
	v_sub_nc_u32_e32 v22, 0, v19
	v_xor_b32_e32 v21, v21, v22
	v_xor_b32_e32 v17, v17, v22
	;; [unrolled: 1-line block ×3, first 2 shown]
	v_lshrrev_b32_e32 v22, 29, v14
	v_ffbh_u32_e32 v23, v21
	v_min_u32_e32 v23, 32, v23
	v_sub_nc_u32_e32 v20, 31, v23
	v_lshlrev_b32_e32 v24, 23, v23
	v_alignbit_b32 v21, v21, v17, v20
	v_alignbit_b32 v16, v17, v16, v20
	v_lshlrev_b32_e32 v17, 31, v22
	v_alignbit_b32 v20, v21, v16, 9
	v_or_b32_e32 v22, 0.5, v17
	v_lshrrev_b32_e32 v21, 9, v21
	v_or_b32_e32 v17, 0x33000000, v17
	v_ffbh_u32_e32 v25, v20
	v_sub_nc_u32_e32 v22, v22, v24
	v_min_u32_e32 v24, 32, v25
	v_or_b32_e32 v21, v21, v22
	v_not_b32_e32 v22, v24
	v_mul_f32_e32 v25, 0x3fc90fda, v21
	v_add_lshl_u32 v23, v24, v23, 23
	v_alignbit_b32 v16, v20, v16, v22
	v_fma_f32 v20, 0x3fc90fda, v21, -v25
	v_sub_nc_u32_e32 v17, v17, v23
	v_lshrrev_b32_e32 v16, 9, v16
	v_fmamk_f32 v20, v21, 0x33a22168, v20
	v_or_b32_e32 v16, v17, v16
	v_fmac_f32_e32 v20, 0x3fc90fda, v16
	v_lshrrev_b32_e32 v16, 30, v14
	v_add_f32_e32 v14, v25, v20
	v_add_nc_u32_e32 v17, v19, v16
	s_or_saveexec_b32 s5, s13
	v_mul_f32_e64 v20, 0x3f22f983, |v11|
	s_xor_b32 exec_lo, exec_lo, s5
	s_branch .LBB12_47
.LBB12_46:
	s_or_saveexec_b32 s5, s13
	v_mul_f32_e64 v20, 0x3f22f983, |v11|
	s_xor_b32 exec_lo, exec_lo, s5
.LBB12_47:
	v_rndne_f32_e32 v16, v20
	v_fma_f32 v14, 0xbfc90fda, v16, |v11|
	v_cvt_i32_f32_e32 v17, v16
	v_fmamk_f32 v14, v16, 0xb3a22168, v14
	v_fmamk_f32 v14, v16, 0xa7c234c4, v14
; %bb.48:
	s_or_b32 exec_lo, exec_lo, s5
                                        ; implicit-def: $vgpr19
                                        ; implicit-def: $vgpr16
	s_and_saveexec_b32 s5, s7
	s_xor_b32 s7, exec_lo, s5
	s_cbranch_execz .LBB12_50
; %bb.49:
	s_mov_b32 s5, 0x7fffff
	v_mov_b32_e32 v21, 0
	v_and_or_b32 v16, v15, s5, 0x800000
	v_add_nc_u32_e32 v18, 0xffffff88, v18
	v_mad_u64_u32 v[19:20], null, 0xfe5163ab, v16, 0
	v_cmp_lt_u32_e32 vcc_lo, 63, v18
	v_cndmask_b32_e64 v27, 0, 0xffffffc0, vcc_lo
	v_mad_u64_u32 v[22:23], null, 0x3c439041, v16, v[20:21]
	v_add_nc_u32_e32 v18, v27, v18
	v_mov_b32_e32 v20, v23
	v_cmp_lt_u32_e64 s5, 31, v18
	v_mad_u64_u32 v[23:24], null, 0xdb629599, v16, v[20:21]
	v_cndmask_b32_e64 v28, 0, 0xffffffe0, s5
	v_add_nc_u32_e32 v18, v28, v18
	v_mov_b32_e32 v20, v24
	v_cndmask_b32_e32 v19, v23, v19, vcc_lo
	v_cmp_lt_u32_e64 s6, 31, v18
	v_mad_u64_u32 v[24:25], null, 0xf534ddc0, v16, v[20:21]
	v_mov_b32_e32 v20, v25
	v_mad_u64_u32 v[25:26], null, 0xfc2757d1, v16, v[20:21]
	v_mov_b32_e32 v20, v26
	;; [unrolled: 2-line block ×3, first 2 shown]
	v_cndmask_b32_e32 v27, v26, v24, vcc_lo
	v_mad_u64_u32 v[20:21], null, 0xa2f9836e, v16, v[20:21]
	v_cndmask_b32_e64 v16, 0, 0xffffffe0, s6
	v_add_nc_u32_e32 v16, v16, v18
	v_cndmask_b32_e32 v20, v20, v25, vcc_lo
	v_cndmask_b32_e32 v21, v21, v26, vcc_lo
	;; [unrolled: 1-line block ×4, first 2 shown]
	v_sub_nc_u32_e32 v24, 32, v16
	v_cndmask_b32_e64 v22, v20, v27, s5
	v_cndmask_b32_e64 v20, v21, v20, s5
	;; [unrolled: 1-line block ×4, first 2 shown]
	v_cmp_eq_u32_e32 vcc_lo, 0, v16
	v_cndmask_b32_e64 v18, v18, v19, s5
	v_cndmask_b32_e64 v20, v20, v22, s6
	;; [unrolled: 1-line block ×5, first 2 shown]
	v_alignbit_b32 v26, v20, v22, v24
	v_alignbit_b32 v23, v22, v21, v24
	;; [unrolled: 1-line block ×3, first 2 shown]
	v_cndmask_b32_e32 v16, v26, v20, vcc_lo
	v_cndmask_b32_e32 v19, v23, v22, vcc_lo
	;; [unrolled: 1-line block ×3, first 2 shown]
	v_bfe_u32 v20, v16, 29, 1
	v_alignbit_b32 v22, v16, v19, 30
	v_alignbit_b32 v19, v19, v21, 30
	;; [unrolled: 1-line block ×3, first 2 shown]
	v_sub_nc_u32_e32 v23, 0, v20
	v_xor_b32_e32 v22, v22, v23
	v_xor_b32_e32 v19, v19, v23
	;; [unrolled: 1-line block ×3, first 2 shown]
	v_lshrrev_b32_e32 v23, 29, v16
	v_ffbh_u32_e32 v24, v22
	v_min_u32_e32 v24, 32, v24
	v_sub_nc_u32_e32 v21, 31, v24
	v_lshlrev_b32_e32 v25, 23, v24
	v_alignbit_b32 v22, v22, v19, v21
	v_alignbit_b32 v18, v19, v18, v21
	v_lshlrev_b32_e32 v19, 31, v23
	v_alignbit_b32 v21, v22, v18, 9
	v_or_b32_e32 v23, 0.5, v19
	v_lshrrev_b32_e32 v22, 9, v22
	v_or_b32_e32 v19, 0x33000000, v19
	v_ffbh_u32_e32 v26, v21
	v_sub_nc_u32_e32 v23, v23, v25
	v_min_u32_e32 v25, 32, v26
	v_or_b32_e32 v22, v22, v23
	v_not_b32_e32 v23, v25
	v_mul_f32_e32 v26, 0x3fc90fda, v22
	v_add_lshl_u32 v24, v25, v24, 23
	v_alignbit_b32 v18, v21, v18, v23
	v_fma_f32 v21, 0x3fc90fda, v22, -v26
	v_sub_nc_u32_e32 v19, v19, v24
	v_lshrrev_b32_e32 v18, 9, v18
	v_fmamk_f32 v21, v22, 0x33a22168, v21
	v_or_b32_e32 v18, v19, v18
	v_fmac_f32_e32 v21, 0x3fc90fda, v18
	v_lshrrev_b32_e32 v18, 30, v16
	v_add_f32_e32 v16, v26, v21
	v_add_nc_u32_e32 v19, v20, v18
                                        ; implicit-def: $vgpr20
	s_andn2_saveexec_b32 s5, s7
	s_cbranch_execnz .LBB12_51
	s_branch .LBB12_52
.LBB12_50:
	s_andn2_saveexec_b32 s5, s7
.LBB12_51:
	v_rndne_f32_e32 v18, v20
	v_fma_f32 v16, 0xbfc90fda, v18, |v11|
	v_cvt_i32_f32_e32 v19, v18
	v_fmamk_f32 v16, v18, 0xb3a22168, v16
	v_fmamk_f32 v16, v18, 0xa7c234c4, v16
.LBB12_52:
	s_or_b32 exec_lo, exec_lo, s5
	v_div_scale_f32 v18, null, v13, v13, 1.0
	v_div_scale_f32 v22, vcc_lo, 1.0, v13, 1.0
	v_mul_f32_e32 v25, 0x4f800000, v12
	v_rcp_f32_e32 v20, v18
	v_mul_f32_e32 v24, v14, v14
	s_mov_b32 s5, 0xb94c1982
	s_mov_b32 s6, 0x37d75334
	v_and_b32_e32 v26, 1, v19
	v_xor_b32_e32 v15, v15, v11
	v_lshlrev_b32_e32 v19, 30, v19
	v_fma_f32 v21, -v18, v20, 1.0
	v_and_b32_e32 v19, 0x80000000, v19
	v_fmac_f32_e32 v20, v21, v20
	v_mul_f32_e32 v21, v22, v20
	v_fma_f32 v23, -v18, v21, v22
	v_fmac_f32_e32 v21, v23, v20
	v_and_b32_e32 v23, 1, v17
	v_lshlrev_b32_e32 v17, 30, v17
	v_fma_f32 v18, -v18, v21, v22
	v_mul_f32_e32 v22, v16, v16
	v_cmp_eq_u32_e64 s7, 0, v23
	v_and_b32_e32 v17, 0x80000000, v17
	v_div_fmas_f32 v18, v18, v20, v21
	v_cmp_gt_f32_e32 vcc_lo, 0xf800000, v12
	v_fmaak_f32 v20, s5, v24, 0x3c0881c4
	v_fmaak_f32 v21, s6, v24, 0xbab64f3b
	v_div_fixup_f32 v13, v18, v13, 1.0
	v_cndmask_b32_e32 v12, v12, v25, vcc_lo
	v_fmaak_f32 v18, s5, v22, 0x3c0881c4
	v_fmaak_f32 v25, s6, v22, 0xbab64f3b
	;; [unrolled: 1-line block ×3, first 2 shown]
	v_mul_f32_e32 v27, v13, v13
	v_sqrt_f32_e32 v28, v12
	v_fmaak_f32 v21, v24, v21, 0x3d2aabf7
	v_fmaak_f32 v18, v22, v18, 0xbe2aaa9d
	;; [unrolled: 1-line block ×7, first 2 shown]
	v_mul_f32_e32 v20, v24, v20
	v_fmaak_f32 v29, v27, v29, 0x3ec83ea8
	v_fmaak_f32 v30, v27, v30, 0xbf205f75
	;; [unrolled: 1-line block ×4, first 2 shown]
	v_add_nc_u32_e32 v33, -1, v28
	v_fmaak_f32 v29, v27, v29, 0x3f886c1a
	v_fmaak_f32 v30, v27, v30, 0xbf3172ce
	v_fmaak_f32 v31, v27, v31, 0x41d5e4c5
	v_fmaak_f32 v32, v27, v32, 0x417908dc
	v_add_nc_u32_e32 v34, 1, v28
	v_fmaak_f32 v29, v27, v29, 0x3f706d65
	v_fmaak_f32 v30, v27, v30, 0xbe8f3f52
	v_fma_f32 v35, -v33, v28, v12
	v_fmaak_f32 v31, v27, v31, 0x4112fe41
	v_fmaak_f32 v32, v27, v32, 0x40af4271
	;; [unrolled: 1-line block ×4, first 2 shown]
	v_fma_f32 v36, -v34, v28, v12
	v_cmp_ge_f32_e64 s5, 0, v35
	v_fmaak_f32 v31, v27, v31, 0x3fbcd65a
	v_fmaak_f32 v29, v27, v29, 0x3d81d209
	;; [unrolled: 1-line block ×4, first 2 shown]
	v_cndmask_b32_e64 v28, v28, v33, s5
	v_cmp_lt_f32_e64 s5, 0, v36
	v_fmaak_f32 v29, v27, v29, 0x3bbff4d0
	v_fmaak_f32 v31, v27, v31, 0x3deced66
	;; [unrolled: 1-line block ×4, first 2 shown]
	v_cndmask_b32_e64 v28, v28, v34, s5
	v_fmaak_f32 v29, v27, v29, 0x39944bb3
	v_fmaak_f32 v31, v27, v31, 0x3b904657
	;; [unrolled: 1-line block ×4, first 2 shown]
	v_mul_f32_e32 v33, 0x37800000, v28
	v_fmaak_f32 v29, v27, v29, 0x36ea79eb
	v_fmaak_f32 v31, v27, v31, 0x389e46bd
	;; [unrolled: 1-line block ×4, first 2 shown]
	v_cndmask_b32_e32 v28, v28, v33, vcc_lo
	v_fmaak_f32 v29, v27, v29, 0x33ae5496
	v_cmp_class_f32_e64 vcc_lo, v12, 0x260
	v_fmaak_f32 v31, v27, v31, 0x34f295ce
	v_fmaak_f32 v32, v27, v32, 0x359d422f
	v_mul_f32_e32 v30, v27, v30
	v_fmaak_f32 v29, v27, v29, 0x2fbbc524
	v_cndmask_b32_e32 v12, v28, v12, vcc_lo
	v_fmaak_f32 v21, v24, v21, 0xbf000004
	v_fmaak_f32 v27, v27, v32, 0x31a8fe3a
	v_div_scale_f32 v28, null, v31, v31, v30
	v_mul_f32_e32 v13, v13, v29
	v_div_scale_f32 v29, null, v12, v12, 0x3f106ebb
	v_rcp_f32_e32 v32, v28
	v_mul_f32_e32 v18, v22, v18
	v_div_scale_f32 v33, null, v27, v27, v13
	v_rcp_f32_e32 v34, v29
	v_fmaak_f32 v25, v22, v25, 0xbf000004
	v_fmac_f32_e32 v14, v14, v20
	v_fma_f32 v20, v24, v21, 1.0
	v_rcp_f32_e32 v21, v33
	v_fmac_f32_e32 v16, v16, v18
	v_fma_f32 v18, v22, v25, 1.0
	v_fma_f32 v22, -v28, v32, 1.0
	v_div_scale_f32 v35, vcc_lo, v30, v31, v30
	v_fma_f32 v25, -v29, v34, 1.0
	v_div_scale_f32 v24, s5, 0x3f106ebb, v12, 0x3f106ebb
	v_fmac_f32_e32 v32, v22, v32
	v_fma_f32 v22, -v33, v21, 1.0
	v_fmac_f32_e32 v34, v25, v34
	v_div_scale_f32 v25, s6, v13, v27, v13
	v_mul_f32_e32 v36, v35, v32
	v_fmac_f32_e32 v21, v22, v21
	v_mul_f32_e32 v22, v24, v34
	v_cndmask_b32_e64 v14, v20, v14, s7
	v_cmp_eq_u32_e64 s7, 0, v26
	v_fma_f32 v20, -v28, v36, v35
	v_mul_f32_e32 v23, v25, v21
	v_fma_f32 v37, -v29, v22, v24
	v_xor3_b32 v14, v15, v17, v14
	v_cndmask_b32_e64 v16, -v16, v18, s7
	v_fmac_f32_e32 v36, v20, v32
	v_fma_f32 v18, -v33, v23, v25
	v_fmac_f32_e32 v22, v37, v34
	v_cmp_class_f32_e64 s7, v11, 0x1f8
	v_xor_b32_e32 v16, v19, v16
	v_fma_f32 v11, -v28, v36, v35
	v_fmac_f32_e32 v23, v18, v21
	v_fma_f32 v15, -v29, v22, v24
	v_cndmask_b32_e64 v14, 0x7fc00000, v14, s7
	v_cndmask_b32_e64 v16, 0x7fc00000, v16, s7
	v_div_fmas_f32 v11, v11, v32, v36
	v_fma_f32 v17, -v33, v23, v25
	s_mov_b32 vcc_lo, s5
	v_div_fmas_f32 v15, v15, v34, v22
	s_mov_b32 vcc_lo, s6
	v_div_fixup_f32 v11, v11, v31, v30
	v_div_fmas_f32 v17, v17, v21, v23
	v_div_fixup_f32 v12, v15, v12, 0x3f106ebb
	v_add_f32_e32 v11, 1.0, v11
	v_div_fixup_f32 v13, v17, v27, v13
	v_mul_f32_e32 v13, v13, v16
	v_fma_f32 v11, v11, v14, -v13
	v_mul_f32_e32 v11, v12, v11
.LBB12_53:
	s_or_b32 exec_lo, exec_lo, s12
.LBB12_54:
	s_or_b32 exec_lo, exec_lo, s11
.LBB12_55:
	s_or_b32 exec_lo, exec_lo, s10
.LBB12_56:
	s_or_b32 exec_lo, exec_lo, s9
	s_waitcnt vmcnt(0) lgkmcnt(0)
	v_add_nc_u32_e32 v12, 0x200, v7
	s_mov_b32 s9, exec_lo
	v_cmpx_lt_i32_e64 v12, v4
	s_cbranch_execz .LBB12_80
; %bb.57:
	v_mov_b32_e32 v10, 0x7fc00000
	s_mov_b32 s10, exec_lo
	v_cmpx_neq_f32_e64 0x7f800000, |v9|
	s_cbranch_execz .LBB12_79
; %bb.58:
	v_mov_b32_e32 v10, 0
	s_mov_b32 s11, exec_lo
	v_cmpx_nlt_f32_e32 0x42cfc8b4, v9
	s_cbranch_execz .LBB12_78
; %bb.59:
	s_mov_b32 s5, exec_lo
	v_cmpx_ngt_f32_e32 0xc005c28f, v9
	s_xor_b32 s7, exec_lo, s5
                                        ; implicit-def: $vgpr10
	s_cbranch_execz .LBB12_67
; %bb.60:
	v_cmp_nle_f32_e64 s12, 0x4005c28f, v9
	v_mov_b32_e32 v10, 0
	s_mov_b32 s13, exec_lo
	s_mov_b32 s5, s12
	v_cmpx_le_f32_e32 0x4005c28f, v9
	s_cbranch_execz .LBB12_62
; %bb.61:
	v_mul_f32_e32 v10, 0x4f800000, v9
	v_cmp_gt_f32_e32 vcc_lo, 0xf800000, v9
	v_cndmask_b32_e32 v10, v9, v10, vcc_lo
	v_sqrt_f32_e32 v12, v10
	v_add_nc_u32_e32 v13, -1, v12
	v_add_nc_u32_e32 v14, 1, v12
	v_fma_f32 v15, -v13, v12, v10
	v_fma_f32 v16, -v14, v12, v10
	v_cmp_ge_f32_e64 s5, 0, v15
	v_cndmask_b32_e64 v12, v12, v13, s5
	v_cmp_lt_f32_e64 s5, 0, v16
	v_cndmask_b32_e64 v12, v12, v14, s5
	v_mul_f32_e32 v13, 0x37800000, v12
	v_cndmask_b32_e32 v12, v12, v13, vcc_lo
	v_cmp_class_f32_e64 vcc_lo, v10, 0x260
	v_add_f32_e32 v13, v9, v9
	v_cndmask_b32_e32 v10, v12, v10, vcc_lo
	v_mul_f32_e32 v12, v13, v10
	v_div_scale_f32 v13, null, 0x40400000, 0x40400000, v12
	v_div_scale_f32 v16, vcc_lo, v12, 0x40400000, v12
	v_rcp_f32_e32 v14, v13
	v_fma_f32 v15, -v13, v14, 1.0
	v_fmac_f32_e32 v14, v15, v14
	v_mul_f32_e32 v15, v16, v14
	v_fma_f32 v17, -v13, v15, v16
	v_fmac_f32_e32 v15, v17, v14
	v_fma_f32 v13, -v13, v15, v16
	v_div_fmas_f32 v13, v13, v14, v15
	v_div_fixup_f32 v12, v13, 0x40400000, v12
	v_div_scale_f32 v13, null, v12, v12, 1.0
	v_div_scale_f32 v16, vcc_lo, 1.0, v12, 1.0
	v_mul_f32_e32 v20, 0x3fb8aa3b, v12
	v_rcp_f32_e32 v14, v13
	v_fma_f32 v23, 0x3fb8aa3b, v12, -v20
	v_rndne_f32_e32 v24, v20
	v_sub_f32_e32 v20, v20, v24
	v_fma_f32 v15, -v13, v14, 1.0
	v_fmac_f32_e32 v14, v15, v14
	v_mul_f32_e32 v15, v16, v14
	v_fma_f32 v17, -v13, v15, v16
	v_fmac_f32_e32 v15, v17, v14
	v_fma_f32 v13, -v13, v15, v16
	v_mul_f32_e32 v16, 0x4f800000, v10
	v_div_fmas_f32 v13, v13, v14, v15
	v_cmp_gt_f32_e32 vcc_lo, 0xf800000, v10
	v_div_fixup_f32 v13, v13, v12, 1.0
	v_cndmask_b32_e32 v10, v10, v16, vcc_lo
	v_fmaak_f32 v14, 0, v13, 0x3f114de0
	v_fmaak_f32 v15, 0, v13, 0x3eb16d71
	v_sqrt_f32_e32 v16, v10
	v_fmaak_f32 v14, v13, v14, 0x416c19a0
	v_fmaak_f32 v15, v13, v15, 0x41401f1c
	;; [unrolled: 1-line block ×4, first 2 shown]
	v_add_nc_u32_e32 v17, -1, v16
	v_add_nc_u32_e32 v18, 1, v16
	v_fmaak_f32 v14, v13, v14, 0x4331516e
	v_fmaak_f32 v15, v13, v15, 0x432816d7
	v_fma_f32 v21, -v17, v16, v10
	v_fma_f32 v22, -v18, v16, v10
	v_fmaak_f32 v14, v13, v14, 0x43243c15
	v_fmaak_f32 v15, v13, v15, 0x431fc1a3
	v_cmp_ge_f32_e64 s5, 0, v21
	v_fmamk_f32 v21, v12, 0x32a5705f, v23
	v_cmp_lt_f32_e64 s6, 0, v22
	v_fmaak_f32 v14, v13, v14, 0x428ef4a7
	v_fmaak_f32 v15, v13, v15, 0x428d127a
	v_cndmask_b32_e64 v16, v16, v17, s5
	v_cvt_i32_f32_e32 v22, v24
	v_fmaak_f32 v14, v13, v14, 0x416188dd
	v_fmaak_f32 v15, v13, v15, 0x41606c6b
	v_cndmask_b32_e64 v16, v16, v18, s6
	v_fma_f32 v14, v13, v14, 1.0
	v_fma_f32 v13, v13, v15, 1.0
	v_div_scale_f32 v15, null, v14, v14, v13
	v_div_scale_f32 v23, s5, v13, v14, v13
	v_rcp_f32_e32 v19, v15
	v_fma_f32 v17, -v15, v19, 1.0
	v_fmac_f32_e32 v19, v17, v19
	v_add_f32_e32 v17, v20, v21
	v_mul_f32_e32 v20, 0x37800000, v16
	v_mul_f32_e32 v18, v23, v19
	v_exp_f32_e32 v17, v17
	v_cndmask_b32_e32 v16, v16, v20, vcc_lo
	v_cmp_class_f32_e64 vcc_lo, v10, 0x260
	v_fma_f32 v21, -v15, v18, v23
	v_cndmask_b32_e32 v10, v16, v10, vcc_lo
	v_cmp_ngt_f32_e32 vcc_lo, 0xc2ce8ed0, v12
	v_fmac_f32_e32 v18, v21, v19
	v_ldexp_f32 v17, v17, v22
	v_add_f32_e32 v10, v10, v10
	v_fma_f32 v15, -v15, v18, v23
	v_cndmask_b32_e32 v16, 0, v17, vcc_lo
	s_mov_b32 vcc_lo, s5
	s_andn2_b32 s5, s12, exec_lo
	v_div_fmas_f32 v15, v15, v19, v18
	v_cmp_nlt_f32_e32 vcc_lo, 0x42b17218, v12
	v_div_fixup_f32 v13, v15, v14, v13
	v_cndmask_b32_e32 v12, 0x7f800000, v16, vcc_lo
	v_mul_f32_e32 v10, v10, v12
	v_mul_f32_e32 v12, 0x3f106ebb, v13
	v_div_scale_f32 v13, null, v10, v10, v12
	v_div_scale_f32 v16, vcc_lo, v12, v10, v12
	v_rcp_f32_e32 v14, v13
	v_fma_f32 v15, -v13, v14, 1.0
	v_fmac_f32_e32 v14, v15, v14
	v_mul_f32_e32 v15, v16, v14
	v_fma_f32 v17, -v13, v15, v16
	v_fmac_f32_e32 v15, v17, v14
	v_fma_f32 v13, -v13, v15, v16
	v_div_fmas_f32 v13, v13, v14, v15
	v_cmp_nlt_f32_e32 vcc_lo, 0x41052018, v9
	v_div_fixup_f32 v10, v13, v10, v12
	s_and_b32 s6, vcc_lo, exec_lo
	s_or_b32 s5, s5, s6
.LBB12_62:
	s_or_b32 exec_lo, exec_lo, s13
	s_and_saveexec_b32 s6, s5
	s_cbranch_execz .LBB12_66
; %bb.63:
	v_mul_f32_e32 v13, v9, v9
	v_mov_b32_e32 v15, 1.0
	v_mov_b32_e32 v16, 1.0
	v_mov_b32_e32 v12, v9
	s_mov_b32 s13, 0
	v_mul_f32_e32 v14, v9, v13
	v_mov_b32_e32 v13, 1.0
.LBB12_64:                              ; =>This Inner Loop Header: Depth=1
	v_mul_f32_e32 v15, v14, v15
	v_add_f32_e32 v16, 1.0, v16
	v_mul_f32_e32 v9, v14, v9
	v_div_scale_f32 v17, null, v16, v16, v15
	v_div_scale_f32 v20, vcc_lo, v15, v16, v15
	v_add_f32_e32 v19, 1.0, v16
	v_rcp_f32_e32 v18, v17
	v_div_scale_f32 v21, null, v19, v19, v9
	v_fma_f32 v22, -v17, v18, 1.0
	v_fmac_f32_e32 v18, v22, v18
	v_mul_f32_e32 v22, v20, v18
	v_fma_f32 v23, -v17, v22, v20
	v_fmac_f32_e32 v22, v23, v18
	v_fma_f32 v17, -v17, v22, v20
	v_div_fmas_f32 v17, v17, v18, v22
	v_div_scale_f32 v20, vcc_lo, v9, v19, v9
	v_div_fixup_f32 v15, v17, v16, v15
	v_rcp_f32_e32 v17, v21
	v_div_scale_f32 v16, null, v19, v19, v15
	v_div_scale_f32 v23, s5, v15, v19, v15
	v_rcp_f32_e32 v18, v16
	v_fma_f32 v22, -v21, v17, 1.0
	v_fmac_f32_e32 v17, v22, v17
	v_fma_f32 v22, -v16, v18, 1.0
	v_fmac_f32_e32 v18, v22, v18
	v_mul_f32_e32 v22, v20, v17
	v_mul_f32_e32 v24, v23, v18
	v_fma_f32 v25, -v21, v22, v20
	v_fma_f32 v26, -v16, v24, v23
	v_fmac_f32_e32 v22, v25, v17
	v_fmac_f32_e32 v24, v26, v18
	v_fma_f32 v20, -v21, v22, v20
	v_fma_f32 v16, -v16, v24, v23
	v_div_fmas_f32 v17, v20, v17, v22
	s_mov_b32 vcc_lo, s5
	v_div_fmas_f32 v18, v16, v18, v24
	v_add_f32_e32 v16, 1.0, v19
	v_div_fixup_f32 v9, v17, v19, v9
	v_div_fixup_f32 v15, v18, v19, v15
	v_div_scale_f32 v17, null, v16, v16, v9
	v_div_scale_f32 v21, vcc_lo, v9, v16, v9
	v_add_f32_e32 v13, v13, v15
	v_rcp_f32_e32 v19, v17
	v_div_scale_f32 v18, null, v13, v13, v15
	v_rcp_f32_e32 v20, v18
	v_fma_f32 v22, -v17, v19, 1.0
	v_fmac_f32_e32 v19, v22, v19
	v_div_scale_f32 v22, s5, v15, v13, v15
	v_fma_f32 v23, -v18, v20, 1.0
	v_fmac_f32_e32 v20, v23, v20
	v_mul_f32_e32 v23, v21, v19
	v_mul_f32_e32 v24, v22, v20
	v_fma_f32 v25, -v17, v23, v21
	v_fma_f32 v26, -v18, v24, v22
	v_fmac_f32_e32 v23, v25, v19
	v_fmac_f32_e32 v24, v26, v20
	v_fma_f32 v17, -v17, v23, v21
	v_fma_f32 v18, -v18, v24, v22
	v_div_fmas_f32 v17, v17, v19, v23
	s_mov_b32 vcc_lo, s5
	v_div_fmas_f32 v18, v18, v20, v24
	v_div_fixup_f32 v9, v17, v16, v9
	v_div_fixup_f32 v18, v18, v13, v15
	v_add_f32_e32 v12, v12, v9
	v_cmp_nlt_f32_e64 s5, 0x34000000, |v18|
	s_or_b32 s13, s5, s13
	s_andn2_b32 exec_lo, exec_lo, s13
	s_cbranch_execnz .LBB12_64
; %bb.65:
	s_or_b32 exec_lo, exec_lo, s13
	v_mul_f32_e32 v9, 0xbe8483fa, v12
	v_fmamk_f32 v9, v13, 0x3eb5c63d, v9
	v_cndmask_b32_e64 v10, v10, v9, s12
.LBB12_66:
	s_or_b32 exec_lo, exec_lo, s6
                                        ; implicit-def: $vgpr9
.LBB12_67:
	s_andn2_saveexec_b32 s12, s7
	s_cbranch_execz .LBB12_77
; %bb.68:
	v_mul_f32_e32 v10, 0xcf800000, v9
	v_cmp_lt_f32_e32 vcc_lo, 0x8f800000, v9
	v_cndmask_b32_e64 v10, -v9, v10, vcc_lo
	v_mul_f32_e32 v9, -2.0, v9
	v_sqrt_f32_e32 v12, v10
	v_add_nc_u32_e32 v13, -1, v12
	v_add_nc_u32_e32 v14, 1, v12
	v_fma_f32 v15, -v13, v12, v10
	v_fma_f32 v16, -v14, v12, v10
	v_cmp_ge_f32_e64 s5, 0, v15
	v_cndmask_b32_e64 v12, v12, v13, s5
	v_cmp_lt_f32_e64 s5, 0, v16
	v_cndmask_b32_e64 v12, v12, v14, s5
	v_mul_f32_e32 v13, 0x37800000, v12
	v_cndmask_b32_e32 v12, v12, v13, vcc_lo
	v_cmp_class_f32_e64 vcc_lo, v10, 0x260
	v_cndmask_b32_e32 v10, v12, v10, vcc_lo
	v_mul_f32_e32 v9, v9, v10
	v_div_scale_f32 v12, null, 0x40400000, 0x40400000, v9
	v_rcp_f32_e32 v13, v12
	v_fma_f32 v14, -v12, v13, 1.0
	v_fmac_f32_e32 v13, v14, v13
	v_div_scale_f32 v14, vcc_lo, v9, 0x40400000, v9
	v_mul_f32_e32 v15, v14, v13
	v_fma_f32 v16, -v12, v15, v14
	v_fmac_f32_e32 v15, v16, v13
                                        ; implicit-def: $vgpr16
	v_fma_f32 v12, -v12, v15, v14
	v_div_fmas_f32 v12, v12, v13, v15
                                        ; implicit-def: $vgpr13
	v_div_fixup_f32 v12, v12, 0x40400000, v9
	v_add_f32_e32 v9, 0x3f490fdb, v12
	v_and_b32_e32 v14, 0x7fffffff, v9
	v_cmp_ngt_f32_e64 s7, 0x48000000, |v9|
	v_lshrrev_b32_e32 v17, 23, v14
	s_and_saveexec_b32 s5, s7
	s_xor_b32 s13, exec_lo, s5
	s_cbranch_execz .LBB12_70
; %bb.69:
	s_mov_b32 s5, 0x7fffff
	v_mov_b32_e32 v19, 0
	v_and_or_b32 v13, v14, s5, 0x800000
	v_mad_u64_u32 v[15:16], null, 0xfe5163ab, v13, 0
	v_mov_b32_e32 v18, v16
	v_add_nc_u32_e32 v16, 0xffffff88, v17
	v_mad_u64_u32 v[20:21], null, 0x3c439041, v13, v[18:19]
	v_cmp_lt_u32_e32 vcc_lo, 63, v16
	v_cndmask_b32_e64 v25, 0, 0xffffffc0, vcc_lo
	v_mov_b32_e32 v18, v21
	v_add_nc_u32_e32 v16, v25, v16
	v_mad_u64_u32 v[21:22], null, 0xdb629599, v13, v[18:19]
	v_cmp_lt_u32_e64 s5, 31, v16
	v_mov_b32_e32 v18, v22
	v_cndmask_b32_e64 v26, 0, 0xffffffe0, s5
	v_cndmask_b32_e32 v15, v21, v15, vcc_lo
	v_mad_u64_u32 v[22:23], null, 0xf534ddc0, v13, v[18:19]
	v_add_nc_u32_e32 v16, v26, v16
	v_cmp_lt_u32_e64 s6, 31, v16
	v_mov_b32_e32 v18, v23
	v_mad_u64_u32 v[23:24], null, 0xfc2757d1, v13, v[18:19]
	v_mov_b32_e32 v18, v24
	v_mad_u64_u32 v[24:25], null, 0x4e441529, v13, v[18:19]
	v_mov_b32_e32 v18, v25
	v_cndmask_b32_e32 v25, v24, v22, vcc_lo
	v_mad_u64_u32 v[18:19], null, 0xa2f9836e, v13, v[18:19]
	v_cndmask_b32_e64 v13, 0, 0xffffffe0, s6
	v_add_nc_u32_e32 v13, v13, v16
	v_cndmask_b32_e32 v18, v18, v23, vcc_lo
	v_cndmask_b32_e32 v19, v19, v24, vcc_lo
	;; [unrolled: 1-line block ×4, first 2 shown]
	v_sub_nc_u32_e32 v22, 32, v13
	v_cndmask_b32_e64 v20, v18, v25, s5
	v_cndmask_b32_e64 v18, v19, v18, s5
	;; [unrolled: 1-line block ×4, first 2 shown]
	v_cmp_eq_u32_e32 vcc_lo, 0, v13
	v_cndmask_b32_e64 v15, v16, v15, s5
	v_cndmask_b32_e64 v18, v18, v20, s6
	v_cndmask_b32_e64 v20, v20, v19, s6
	v_cndmask_b32_e64 v19, v19, v23, s6
	v_cndmask_b32_e64 v15, v23, v15, s6
	v_alignbit_b32 v24, v18, v20, v22
	v_alignbit_b32 v21, v20, v19, v22
	;; [unrolled: 1-line block ×3, first 2 shown]
	v_cndmask_b32_e32 v13, v24, v18, vcc_lo
	v_cndmask_b32_e32 v16, v21, v20, vcc_lo
	;; [unrolled: 1-line block ×3, first 2 shown]
	v_bfe_u32 v18, v13, 29, 1
	v_alignbit_b32 v20, v13, v16, 30
	v_alignbit_b32 v16, v16, v19, 30
	;; [unrolled: 1-line block ×3, first 2 shown]
	v_sub_nc_u32_e32 v21, 0, v18
	v_xor_b32_e32 v20, v20, v21
	v_xor_b32_e32 v16, v16, v21
	v_xor_b32_e32 v15, v15, v21
	v_lshrrev_b32_e32 v21, 29, v13
	v_ffbh_u32_e32 v22, v20
	v_min_u32_e32 v22, 32, v22
	v_sub_nc_u32_e32 v19, 31, v22
	v_lshlrev_b32_e32 v23, 23, v22
	v_alignbit_b32 v20, v20, v16, v19
	v_alignbit_b32 v15, v16, v15, v19
	v_lshlrev_b32_e32 v16, 31, v21
	v_alignbit_b32 v19, v20, v15, 9
	v_or_b32_e32 v21, 0.5, v16
	v_lshrrev_b32_e32 v20, 9, v20
	v_or_b32_e32 v16, 0x33000000, v16
	v_ffbh_u32_e32 v24, v19
	v_sub_nc_u32_e32 v21, v21, v23
	v_min_u32_e32 v23, 32, v24
	v_or_b32_e32 v20, v20, v21
	v_not_b32_e32 v21, v23
	v_mul_f32_e32 v24, 0x3fc90fda, v20
	v_add_lshl_u32 v22, v23, v22, 23
	v_alignbit_b32 v15, v19, v15, v21
	v_fma_f32 v19, 0x3fc90fda, v20, -v24
	v_sub_nc_u32_e32 v16, v16, v22
	v_lshrrev_b32_e32 v15, 9, v15
	v_fmamk_f32 v19, v20, 0x33a22168, v19
	v_or_b32_e32 v15, v16, v15
	v_fmac_f32_e32 v19, 0x3fc90fda, v15
	v_lshrrev_b32_e32 v15, 30, v13
	v_add_f32_e32 v13, v24, v19
	v_add_nc_u32_e32 v16, v18, v15
	s_or_saveexec_b32 s5, s13
	v_mul_f32_e64 v19, 0x3f22f983, |v9|
	s_xor_b32 exec_lo, exec_lo, s5
	s_branch .LBB12_71
.LBB12_70:
	s_or_saveexec_b32 s5, s13
	v_mul_f32_e64 v19, 0x3f22f983, |v9|
	s_xor_b32 exec_lo, exec_lo, s5
.LBB12_71:
	v_rndne_f32_e32 v15, v19
	v_fma_f32 v13, 0xbfc90fda, v15, |v9|
	v_cvt_i32_f32_e32 v16, v15
	v_fmamk_f32 v13, v15, 0xb3a22168, v13
	v_fmamk_f32 v13, v15, 0xa7c234c4, v13
; %bb.72:
	s_or_b32 exec_lo, exec_lo, s5
                                        ; implicit-def: $vgpr18
                                        ; implicit-def: $vgpr15
	s_and_saveexec_b32 s5, s7
	s_xor_b32 s7, exec_lo, s5
	s_cbranch_execz .LBB12_74
; %bb.73:
	s_mov_b32 s5, 0x7fffff
	v_mov_b32_e32 v20, 0
	v_and_or_b32 v15, v14, s5, 0x800000
	v_add_nc_u32_e32 v17, 0xffffff88, v17
	v_mad_u64_u32 v[18:19], null, 0xfe5163ab, v15, 0
	v_cmp_lt_u32_e32 vcc_lo, 63, v17
	v_cndmask_b32_e64 v26, 0, 0xffffffc0, vcc_lo
	v_mad_u64_u32 v[21:22], null, 0x3c439041, v15, v[19:20]
	v_add_nc_u32_e32 v17, v26, v17
	v_mov_b32_e32 v19, v22
	v_cmp_lt_u32_e64 s5, 31, v17
	v_mad_u64_u32 v[22:23], null, 0xdb629599, v15, v[19:20]
	v_cndmask_b32_e64 v27, 0, 0xffffffe0, s5
	v_add_nc_u32_e32 v17, v27, v17
	v_mov_b32_e32 v19, v23
	v_cndmask_b32_e32 v18, v22, v18, vcc_lo
	v_cmp_lt_u32_e64 s6, 31, v17
	v_mad_u64_u32 v[23:24], null, 0xf534ddc0, v15, v[19:20]
	v_mov_b32_e32 v19, v24
	v_mad_u64_u32 v[24:25], null, 0xfc2757d1, v15, v[19:20]
	v_mov_b32_e32 v19, v25
	;; [unrolled: 2-line block ×3, first 2 shown]
	v_cndmask_b32_e32 v26, v25, v23, vcc_lo
	v_mad_u64_u32 v[19:20], null, 0xa2f9836e, v15, v[19:20]
	v_cndmask_b32_e64 v15, 0, 0xffffffe0, s6
	v_add_nc_u32_e32 v15, v15, v17
	v_cndmask_b32_e32 v19, v19, v24, vcc_lo
	v_cndmask_b32_e32 v20, v20, v25, vcc_lo
	;; [unrolled: 1-line block ×4, first 2 shown]
	v_sub_nc_u32_e32 v23, 32, v15
	v_cndmask_b32_e64 v21, v19, v26, s5
	v_cndmask_b32_e64 v19, v20, v19, s5
	;; [unrolled: 1-line block ×4, first 2 shown]
	v_cmp_eq_u32_e32 vcc_lo, 0, v15
	v_cndmask_b32_e64 v17, v17, v18, s5
	v_cndmask_b32_e64 v19, v19, v21, s6
	;; [unrolled: 1-line block ×5, first 2 shown]
	v_alignbit_b32 v25, v19, v21, v23
	v_alignbit_b32 v22, v21, v20, v23
	;; [unrolled: 1-line block ×3, first 2 shown]
	v_cndmask_b32_e32 v15, v25, v19, vcc_lo
	v_cndmask_b32_e32 v18, v22, v21, vcc_lo
	;; [unrolled: 1-line block ×3, first 2 shown]
	v_bfe_u32 v19, v15, 29, 1
	v_alignbit_b32 v21, v15, v18, 30
	v_alignbit_b32 v18, v18, v20, 30
	;; [unrolled: 1-line block ×3, first 2 shown]
	v_sub_nc_u32_e32 v22, 0, v19
	v_xor_b32_e32 v21, v21, v22
	v_xor_b32_e32 v18, v18, v22
	;; [unrolled: 1-line block ×3, first 2 shown]
	v_lshrrev_b32_e32 v22, 29, v15
	v_ffbh_u32_e32 v23, v21
	v_min_u32_e32 v23, 32, v23
	v_sub_nc_u32_e32 v20, 31, v23
	v_lshlrev_b32_e32 v24, 23, v23
	v_alignbit_b32 v21, v21, v18, v20
	v_alignbit_b32 v17, v18, v17, v20
	v_lshlrev_b32_e32 v18, 31, v22
	v_alignbit_b32 v20, v21, v17, 9
	v_or_b32_e32 v22, 0.5, v18
	v_lshrrev_b32_e32 v21, 9, v21
	v_or_b32_e32 v18, 0x33000000, v18
	v_ffbh_u32_e32 v25, v20
	v_sub_nc_u32_e32 v22, v22, v24
	v_min_u32_e32 v24, 32, v25
	v_or_b32_e32 v21, v21, v22
	v_not_b32_e32 v22, v24
	v_mul_f32_e32 v25, 0x3fc90fda, v21
	v_add_lshl_u32 v23, v24, v23, 23
	v_alignbit_b32 v17, v20, v17, v22
	v_fma_f32 v20, 0x3fc90fda, v21, -v25
	v_sub_nc_u32_e32 v18, v18, v23
	v_lshrrev_b32_e32 v17, 9, v17
	v_fmamk_f32 v20, v21, 0x33a22168, v20
	v_or_b32_e32 v17, v18, v17
	v_fmac_f32_e32 v20, 0x3fc90fda, v17
	v_lshrrev_b32_e32 v17, 30, v15
	v_add_f32_e32 v15, v25, v20
	v_add_nc_u32_e32 v18, v19, v17
                                        ; implicit-def: $vgpr19
	s_andn2_saveexec_b32 s5, s7
	s_cbranch_execnz .LBB12_75
	s_branch .LBB12_76
.LBB12_74:
	s_andn2_saveexec_b32 s5, s7
.LBB12_75:
	v_rndne_f32_e32 v17, v19
	v_fma_f32 v15, 0xbfc90fda, v17, |v9|
	v_cvt_i32_f32_e32 v18, v17
	v_fmamk_f32 v15, v17, 0xb3a22168, v15
	v_fmamk_f32 v15, v17, 0xa7c234c4, v15
.LBB12_76:
	s_or_b32 exec_lo, exec_lo, s5
	v_div_scale_f32 v17, null, v12, v12, 1.0
	v_div_scale_f32 v21, vcc_lo, 1.0, v12, 1.0
	v_mul_f32_e32 v24, 0x4f800000, v10
	v_rcp_f32_e32 v19, v17
	v_mul_f32_e32 v23, v13, v13
	s_mov_b32 s5, 0xb94c1982
	s_mov_b32 s6, 0x37d75334
	v_and_b32_e32 v25, 1, v18
	v_xor_b32_e32 v14, v14, v9
	v_lshlrev_b32_e32 v18, 30, v18
	v_fma_f32 v20, -v17, v19, 1.0
	v_and_b32_e32 v18, 0x80000000, v18
	v_fmac_f32_e32 v19, v20, v19
	v_mul_f32_e32 v20, v21, v19
	v_fma_f32 v22, -v17, v20, v21
	v_fmac_f32_e32 v20, v22, v19
	v_and_b32_e32 v22, 1, v16
	v_lshlrev_b32_e32 v16, 30, v16
	v_fma_f32 v17, -v17, v20, v21
	v_mul_f32_e32 v21, v15, v15
	v_cmp_eq_u32_e64 s7, 0, v22
	v_and_b32_e32 v16, 0x80000000, v16
	v_div_fmas_f32 v17, v17, v19, v20
	v_cmp_gt_f32_e32 vcc_lo, 0xf800000, v10
	v_fmaak_f32 v19, s5, v23, 0x3c0881c4
	v_fmaak_f32 v20, s6, v23, 0xbab64f3b
	v_div_fixup_f32 v12, v17, v12, 1.0
	v_cndmask_b32_e32 v10, v10, v24, vcc_lo
	v_fmaak_f32 v17, s5, v21, 0x3c0881c4
	v_fmaak_f32 v24, s6, v21, 0xbab64f3b
	;; [unrolled: 1-line block ×3, first 2 shown]
	v_mul_f32_e32 v26, v12, v12
	v_sqrt_f32_e32 v27, v10
	v_fmaak_f32 v20, v23, v20, 0x3d2aabf7
	v_fmaak_f32 v17, v21, v17, 0xbe2aaa9d
	;; [unrolled: 1-line block ×7, first 2 shown]
	v_mul_f32_e32 v19, v23, v19
	v_fmaak_f32 v28, v26, v28, 0x3ec83ea8
	v_fmaak_f32 v29, v26, v29, 0xbf205f75
	;; [unrolled: 1-line block ×4, first 2 shown]
	v_add_nc_u32_e32 v32, -1, v27
	v_fmaak_f32 v28, v26, v28, 0x3f886c1a
	v_fmaak_f32 v29, v26, v29, 0xbf3172ce
	;; [unrolled: 1-line block ×4, first 2 shown]
	v_add_nc_u32_e32 v33, 1, v27
	v_fmaak_f32 v28, v26, v28, 0x3f706d65
	v_fmaak_f32 v29, v26, v29, 0xbe8f3f52
	v_fma_f32 v34, -v32, v27, v10
	v_fmaak_f32 v30, v26, v30, 0x4112fe41
	v_fmaak_f32 v31, v26, v31, 0x40af4271
	;; [unrolled: 1-line block ×4, first 2 shown]
	v_fma_f32 v35, -v33, v27, v10
	v_cmp_ge_f32_e64 s5, 0, v34
	v_fmaak_f32 v30, v26, v30, 0x3fbcd65a
	v_fmaak_f32 v28, v26, v28, 0x3d81d209
	;; [unrolled: 1-line block ×4, first 2 shown]
	v_cndmask_b32_e64 v27, v27, v32, s5
	v_cmp_lt_f32_e64 s5, 0, v35
	v_fmaak_f32 v28, v26, v28, 0x3bbff4d0
	v_fmaak_f32 v30, v26, v30, 0x3deced66
	;; [unrolled: 1-line block ×4, first 2 shown]
	v_cndmask_b32_e64 v27, v27, v33, s5
	v_fmaak_f32 v28, v26, v28, 0x39944bb3
	v_fmaak_f32 v30, v26, v30, 0x3b904657
	;; [unrolled: 1-line block ×4, first 2 shown]
	v_mul_f32_e32 v32, 0x37800000, v27
	v_fmaak_f32 v28, v26, v28, 0x36ea79eb
	v_fmaak_f32 v30, v26, v30, 0x389e46bd
	;; [unrolled: 1-line block ×4, first 2 shown]
	v_cndmask_b32_e32 v27, v27, v32, vcc_lo
	v_fmaak_f32 v28, v26, v28, 0x33ae5496
	v_cmp_class_f32_e64 vcc_lo, v10, 0x260
	v_fmaak_f32 v30, v26, v30, 0x34f295ce
	v_fmaak_f32 v31, v26, v31, 0x359d422f
	v_mul_f32_e32 v29, v26, v29
	v_fmaak_f32 v28, v26, v28, 0x2fbbc524
	v_cndmask_b32_e32 v10, v27, v10, vcc_lo
	v_fmaak_f32 v20, v23, v20, 0xbf000004
	v_fmaak_f32 v26, v26, v31, 0x31a8fe3a
	v_div_scale_f32 v27, null, v30, v30, v29
	v_mul_f32_e32 v12, v12, v28
	v_div_scale_f32 v28, null, v10, v10, 0x3f106ebb
	v_rcp_f32_e32 v31, v27
	v_mul_f32_e32 v17, v21, v17
	v_div_scale_f32 v32, null, v26, v26, v12
	v_rcp_f32_e32 v33, v28
	v_fmaak_f32 v24, v21, v24, 0xbf000004
	v_fmac_f32_e32 v13, v13, v19
	v_fma_f32 v19, v23, v20, 1.0
	v_rcp_f32_e32 v20, v32
	v_fmac_f32_e32 v15, v15, v17
	v_fma_f32 v17, v21, v24, 1.0
	v_fma_f32 v21, -v27, v31, 1.0
	v_div_scale_f32 v34, vcc_lo, v29, v30, v29
	v_fma_f32 v24, -v28, v33, 1.0
	v_div_scale_f32 v23, s5, 0x3f106ebb, v10, 0x3f106ebb
	v_fmac_f32_e32 v31, v21, v31
	v_fma_f32 v21, -v32, v20, 1.0
	v_fmac_f32_e32 v33, v24, v33
	v_div_scale_f32 v24, s6, v12, v26, v12
	v_mul_f32_e32 v35, v34, v31
	v_fmac_f32_e32 v20, v21, v20
	v_mul_f32_e32 v21, v23, v33
	v_cndmask_b32_e64 v13, v19, v13, s7
	v_cmp_eq_u32_e64 s7, 0, v25
	v_fma_f32 v19, -v27, v35, v34
	v_mul_f32_e32 v22, v24, v20
	v_fma_f32 v36, -v28, v21, v23
	v_xor3_b32 v13, v14, v16, v13
	v_cndmask_b32_e64 v15, -v15, v17, s7
	v_fmac_f32_e32 v35, v19, v31
	v_fma_f32 v17, -v32, v22, v24
	v_fmac_f32_e32 v21, v36, v33
	v_cmp_class_f32_e64 s7, v9, 0x1f8
	v_xor_b32_e32 v15, v18, v15
	v_fma_f32 v9, -v27, v35, v34
	v_fmac_f32_e32 v22, v17, v20
	v_fma_f32 v14, -v28, v21, v23
	v_cndmask_b32_e64 v13, 0x7fc00000, v13, s7
	v_cndmask_b32_e64 v15, 0x7fc00000, v15, s7
	v_div_fmas_f32 v9, v9, v31, v35
	v_fma_f32 v16, -v32, v22, v24
	s_mov_b32 vcc_lo, s5
	v_div_fmas_f32 v14, v14, v33, v21
	s_mov_b32 vcc_lo, s6
	v_div_fixup_f32 v9, v9, v30, v29
	v_div_fmas_f32 v16, v16, v20, v22
	v_div_fixup_f32 v10, v14, v10, 0x3f106ebb
	v_add_f32_e32 v9, 1.0, v9
	v_div_fixup_f32 v12, v16, v26, v12
	v_mul_f32_e32 v12, v12, v15
	v_fma_f32 v9, v9, v13, -v12
	v_mul_f32_e32 v10, v10, v9
.LBB12_77:
	s_or_b32 exec_lo, exec_lo, s12
.LBB12_78:
	s_or_b32 exec_lo, exec_lo, s11
.LBB12_79:
	s_or_b32 exec_lo, exec_lo, s10
.LBB12_80:
	s_or_b32 exec_lo, exec_lo, s9
	v_add_nc_u32_e32 v9, 0x300, v7
	s_mov_b32 s9, exec_lo
	v_cmpx_lt_i32_e64 v9, v4
	s_cbranch_execz .LBB12_94
; %bb.81:
	v_mov_b32_e32 v3, 0x7fc00000
	s_mov_b32 s10, exec_lo
	v_cmpx_neq_f32_e64 0x7f800000, |v6|
	s_cbranch_execz .LBB12_108
; %bb.82:
	v_mov_b32_e32 v3, 0
	s_mov_b32 s11, exec_lo
	v_cmpx_nlt_f32_e32 0x42cfc8b4, v6
	s_cbranch_execz .LBB12_107
; %bb.83:
	s_mov_b32 s5, exec_lo
	v_cmpx_ngt_f32_e32 0xc005c28f, v6
	s_xor_b32 s7, exec_lo, s5
                                        ; implicit-def: $vgpr3
	s_cbranch_execz .LBB12_91
; %bb.84:
	v_cmp_nle_f32_e64 s12, 0x4005c28f, v6
	v_mov_b32_e32 v3, 0
	s_mov_b32 s13, exec_lo
	s_mov_b32 s5, s12
	v_cmpx_le_f32_e32 0x4005c28f, v6
	s_cbranch_execz .LBB12_86
; %bb.85:
	v_mul_f32_e32 v3, 0x4f800000, v6
	v_cmp_gt_f32_e32 vcc_lo, 0xf800000, v6
	v_cndmask_b32_e32 v3, v6, v3, vcc_lo
	v_sqrt_f32_e32 v9, v3
	v_add_nc_u32_e32 v12, -1, v9
	v_add_nc_u32_e32 v13, 1, v9
	v_fma_f32 v14, -v12, v9, v3
	v_fma_f32 v15, -v13, v9, v3
	v_cmp_ge_f32_e64 s5, 0, v14
	v_cndmask_b32_e64 v9, v9, v12, s5
	v_cmp_lt_f32_e64 s5, 0, v15
	v_cndmask_b32_e64 v9, v9, v13, s5
	v_mul_f32_e32 v12, 0x37800000, v9
	v_cndmask_b32_e32 v9, v9, v12, vcc_lo
	v_cmp_class_f32_e64 vcc_lo, v3, 0x260
	v_add_f32_e32 v12, v6, v6
	v_cndmask_b32_e32 v3, v9, v3, vcc_lo
	v_mul_f32_e32 v9, v12, v3
	v_div_scale_f32 v12, null, 0x40400000, 0x40400000, v9
	v_div_scale_f32 v15, vcc_lo, v9, 0x40400000, v9
	v_rcp_f32_e32 v13, v12
	v_fma_f32 v14, -v12, v13, 1.0
	v_fmac_f32_e32 v13, v14, v13
	v_mul_f32_e32 v14, v15, v13
	v_fma_f32 v16, -v12, v14, v15
	v_fmac_f32_e32 v14, v16, v13
	v_fma_f32 v12, -v12, v14, v15
	v_div_fmas_f32 v12, v12, v13, v14
	v_div_fixup_f32 v9, v12, 0x40400000, v9
	v_div_scale_f32 v12, null, v9, v9, 1.0
	v_div_scale_f32 v15, vcc_lo, 1.0, v9, 1.0
	v_mul_f32_e32 v19, 0x3fb8aa3b, v9
	v_rcp_f32_e32 v13, v12
	v_fma_f32 v22, 0x3fb8aa3b, v9, -v19
	v_rndne_f32_e32 v23, v19
	v_sub_f32_e32 v19, v19, v23
	v_fma_f32 v14, -v12, v13, 1.0
	v_fmac_f32_e32 v13, v14, v13
	v_mul_f32_e32 v14, v15, v13
	v_fma_f32 v16, -v12, v14, v15
	v_fmac_f32_e32 v14, v16, v13
	v_fma_f32 v12, -v12, v14, v15
	v_mul_f32_e32 v15, 0x4f800000, v3
	v_div_fmas_f32 v12, v12, v13, v14
	v_cmp_gt_f32_e32 vcc_lo, 0xf800000, v3
	v_div_fixup_f32 v12, v12, v9, 1.0
	v_cndmask_b32_e32 v3, v3, v15, vcc_lo
	v_fmaak_f32 v13, 0, v12, 0x3f114de0
	v_fmaak_f32 v14, 0, v12, 0x3eb16d71
	v_sqrt_f32_e32 v15, v3
	v_fmaak_f32 v13, v12, v13, 0x416c19a0
	v_fmaak_f32 v14, v12, v14, 0x41401f1c
	;; [unrolled: 1-line block ×4, first 2 shown]
	v_add_nc_u32_e32 v16, -1, v15
	v_add_nc_u32_e32 v17, 1, v15
	v_fmaak_f32 v13, v12, v13, 0x4331516e
	v_fmaak_f32 v14, v12, v14, 0x432816d7
	v_fma_f32 v20, -v16, v15, v3
	v_fma_f32 v21, -v17, v15, v3
	v_fmaak_f32 v13, v12, v13, 0x43243c15
	v_fmaak_f32 v14, v12, v14, 0x431fc1a3
	v_cmp_ge_f32_e64 s5, 0, v20
	v_fmamk_f32 v20, v9, 0x32a5705f, v22
	v_cmp_lt_f32_e64 s6, 0, v21
	v_fmaak_f32 v13, v12, v13, 0x428ef4a7
	v_fmaak_f32 v14, v12, v14, 0x428d127a
	v_cndmask_b32_e64 v15, v15, v16, s5
	v_cvt_i32_f32_e32 v21, v23
	v_fmaak_f32 v13, v12, v13, 0x416188dd
	v_fmaak_f32 v14, v12, v14, 0x41606c6b
	v_cndmask_b32_e64 v15, v15, v17, s6
	v_fma_f32 v13, v12, v13, 1.0
	v_fma_f32 v12, v12, v14, 1.0
	v_div_scale_f32 v14, null, v13, v13, v12
	v_div_scale_f32 v22, s5, v12, v13, v12
	v_rcp_f32_e32 v18, v14
	v_fma_f32 v16, -v14, v18, 1.0
	v_fmac_f32_e32 v18, v16, v18
	v_add_f32_e32 v16, v19, v20
	v_mul_f32_e32 v19, 0x37800000, v15
	v_mul_f32_e32 v17, v22, v18
	v_exp_f32_e32 v16, v16
	v_cndmask_b32_e32 v15, v15, v19, vcc_lo
	v_cmp_class_f32_e64 vcc_lo, v3, 0x260
	v_fma_f32 v20, -v14, v17, v22
	v_cndmask_b32_e32 v3, v15, v3, vcc_lo
	v_cmp_ngt_f32_e32 vcc_lo, 0xc2ce8ed0, v9
	v_fmac_f32_e32 v17, v20, v18
	v_ldexp_f32 v16, v16, v21
	v_add_f32_e32 v3, v3, v3
	v_fma_f32 v14, -v14, v17, v22
	v_cndmask_b32_e32 v15, 0, v16, vcc_lo
	s_mov_b32 vcc_lo, s5
	s_andn2_b32 s5, s12, exec_lo
	v_div_fmas_f32 v14, v14, v18, v17
	v_cmp_nlt_f32_e32 vcc_lo, 0x42b17218, v9
	v_div_fixup_f32 v12, v14, v13, v12
	v_cndmask_b32_e32 v9, 0x7f800000, v15, vcc_lo
	v_mul_f32_e32 v3, v3, v9
	v_mul_f32_e32 v9, 0x3f106ebb, v12
	v_div_scale_f32 v12, null, v3, v3, v9
	v_div_scale_f32 v15, vcc_lo, v9, v3, v9
	v_rcp_f32_e32 v13, v12
	v_fma_f32 v14, -v12, v13, 1.0
	v_fmac_f32_e32 v13, v14, v13
	v_mul_f32_e32 v14, v15, v13
	v_fma_f32 v16, -v12, v14, v15
	v_fmac_f32_e32 v14, v16, v13
	v_fma_f32 v12, -v12, v14, v15
	v_div_fmas_f32 v12, v12, v13, v14
	v_cmp_nlt_f32_e32 vcc_lo, 0x41052018, v6
	v_div_fixup_f32 v3, v12, v3, v9
	s_and_b32 s6, vcc_lo, exec_lo
	s_or_b32 s5, s5, s6
.LBB12_86:
	s_or_b32 exec_lo, exec_lo, s13
	s_and_saveexec_b32 s6, s5
	s_cbranch_execz .LBB12_90
; %bb.87:
	v_mul_f32_e32 v12, v6, v6
	v_mov_b32_e32 v14, 1.0
	v_mov_b32_e32 v15, 1.0
	v_mov_b32_e32 v9, v6
	s_mov_b32 s13, 0
	v_mul_f32_e32 v13, v6, v12
	v_mov_b32_e32 v12, 1.0
.LBB12_88:                              ; =>This Inner Loop Header: Depth=1
	v_mul_f32_e32 v14, v13, v14
	v_add_f32_e32 v15, 1.0, v15
	v_mul_f32_e32 v6, v13, v6
	v_div_scale_f32 v16, null, v15, v15, v14
	v_div_scale_f32 v19, vcc_lo, v14, v15, v14
	v_add_f32_e32 v18, 1.0, v15
	v_rcp_f32_e32 v17, v16
	v_div_scale_f32 v20, null, v18, v18, v6
	v_fma_f32 v21, -v16, v17, 1.0
	v_fmac_f32_e32 v17, v21, v17
	v_mul_f32_e32 v21, v19, v17
	v_fma_f32 v22, -v16, v21, v19
	v_fmac_f32_e32 v21, v22, v17
	v_fma_f32 v16, -v16, v21, v19
	v_div_fmas_f32 v16, v16, v17, v21
	v_div_scale_f32 v19, vcc_lo, v6, v18, v6
	v_div_fixup_f32 v14, v16, v15, v14
	v_rcp_f32_e32 v16, v20
	v_div_scale_f32 v15, null, v18, v18, v14
	v_div_scale_f32 v22, s5, v14, v18, v14
	v_rcp_f32_e32 v17, v15
	v_fma_f32 v21, -v20, v16, 1.0
	v_fmac_f32_e32 v16, v21, v16
	v_fma_f32 v21, -v15, v17, 1.0
	v_fmac_f32_e32 v17, v21, v17
	v_mul_f32_e32 v21, v19, v16
	v_mul_f32_e32 v23, v22, v17
	v_fma_f32 v24, -v20, v21, v19
	v_fma_f32 v25, -v15, v23, v22
	v_fmac_f32_e32 v21, v24, v16
	v_fmac_f32_e32 v23, v25, v17
	v_fma_f32 v19, -v20, v21, v19
	v_fma_f32 v15, -v15, v23, v22
	v_div_fmas_f32 v16, v19, v16, v21
	s_mov_b32 vcc_lo, s5
	v_div_fmas_f32 v17, v15, v17, v23
	v_add_f32_e32 v15, 1.0, v18
	v_div_fixup_f32 v6, v16, v18, v6
	v_div_fixup_f32 v14, v17, v18, v14
	v_div_scale_f32 v16, null, v15, v15, v6
	v_div_scale_f32 v20, vcc_lo, v6, v15, v6
	v_add_f32_e32 v12, v12, v14
	v_rcp_f32_e32 v18, v16
	v_div_scale_f32 v17, null, v12, v12, v14
	v_rcp_f32_e32 v19, v17
	v_fma_f32 v21, -v16, v18, 1.0
	v_fmac_f32_e32 v18, v21, v18
	v_div_scale_f32 v21, s5, v14, v12, v14
	v_fma_f32 v22, -v17, v19, 1.0
	v_fmac_f32_e32 v19, v22, v19
	v_mul_f32_e32 v22, v20, v18
	v_mul_f32_e32 v23, v21, v19
	v_fma_f32 v24, -v16, v22, v20
	v_fma_f32 v25, -v17, v23, v21
	v_fmac_f32_e32 v22, v24, v18
	v_fmac_f32_e32 v23, v25, v19
	v_fma_f32 v16, -v16, v22, v20
	v_fma_f32 v17, -v17, v23, v21
	v_div_fmas_f32 v16, v16, v18, v22
	s_mov_b32 vcc_lo, s5
	v_div_fmas_f32 v17, v17, v19, v23
	v_div_fixup_f32 v6, v16, v15, v6
	v_div_fixup_f32 v17, v17, v12, v14
	v_add_f32_e32 v9, v9, v6
	v_cmp_nlt_f32_e64 s5, 0x34000000, |v17|
	s_or_b32 s13, s5, s13
	s_andn2_b32 exec_lo, exec_lo, s13
	s_cbranch_execnz .LBB12_88
; %bb.89:
	s_or_b32 exec_lo, exec_lo, s13
	v_mul_f32_e32 v6, 0xbe8483fa, v9
	v_fmamk_f32 v6, v12, 0x3eb5c63d, v6
	v_cndmask_b32_e64 v3, v3, v6, s12
.LBB12_90:
	s_or_b32 exec_lo, exec_lo, s6
                                        ; implicit-def: $vgpr6
.LBB12_91:
	s_andn2_saveexec_b32 s12, s7
	s_cbranch_execz .LBB12_106
; %bb.92:
	v_mul_f32_e32 v3, 0xcf800000, v6
	v_cmp_lt_f32_e32 vcc_lo, 0x8f800000, v6
	v_cndmask_b32_e64 v3, -v6, v3, vcc_lo
	v_sqrt_f32_e32 v9, v3
	v_add_nc_u32_e32 v12, -1, v9
	v_add_nc_u32_e32 v13, 1, v9
	v_fma_f32 v14, -v12, v9, v3
	v_fma_f32 v15, -v13, v9, v3
	v_cmp_ge_f32_e64 s5, 0, v14
	v_cndmask_b32_e64 v9, v9, v12, s5
	v_cmp_lt_f32_e64 s5, 0, v15
	v_cndmask_b32_e64 v9, v9, v13, s5
	v_mul_f32_e32 v12, 0x37800000, v9
	v_cndmask_b32_e32 v9, v9, v12, vcc_lo
	v_cmp_class_f32_e64 vcc_lo, v3, 0x260
	v_mul_f32_e32 v12, -2.0, v6
	v_cndmask_b32_e32 v6, v9, v3, vcc_lo
	v_mul_f32_e32 v3, v12, v6
	v_div_scale_f32 v9, null, 0x40400000, 0x40400000, v3
	v_rcp_f32_e32 v12, v9
	v_fma_f32 v13, -v9, v12, 1.0
	v_fmac_f32_e32 v12, v13, v12
	v_div_scale_f32 v13, vcc_lo, v3, 0x40400000, v3
	v_mul_f32_e32 v14, v13, v12
	v_fma_f32 v15, -v9, v14, v13
	v_fmac_f32_e32 v14, v15, v12
                                        ; implicit-def: $vgpr15
	v_fma_f32 v9, -v9, v14, v13
	v_div_fmas_f32 v9, v9, v12, v14
                                        ; implicit-def: $vgpr12
	v_div_fixup_f32 v9, v9, 0x40400000, v3
	v_add_f32_e32 v3, 0x3f490fdb, v9
	v_and_b32_e32 v13, 0x7fffffff, v3
	v_cmp_ngt_f32_e64 s7, 0x48000000, |v3|
	v_lshrrev_b32_e32 v16, 23, v13
	s_and_saveexec_b32 s5, s7
	s_xor_b32 s13, exec_lo, s5
	s_cbranch_execz .LBB12_99
; %bb.93:
	s_mov_b32 s5, 0x7fffff
	v_mov_b32_e32 v18, 0
	v_and_or_b32 v12, v13, s5, 0x800000
	v_mad_u64_u32 v[14:15], null, 0xfe5163ab, v12, 0
	v_mov_b32_e32 v17, v15
	v_add_nc_u32_e32 v15, 0xffffff88, v16
	v_mad_u64_u32 v[19:20], null, 0x3c439041, v12, v[17:18]
	v_cmp_lt_u32_e32 vcc_lo, 63, v15
	v_cndmask_b32_e64 v24, 0, 0xffffffc0, vcc_lo
	v_mov_b32_e32 v17, v20
	v_add_nc_u32_e32 v15, v24, v15
	v_mad_u64_u32 v[20:21], null, 0xdb629599, v12, v[17:18]
	v_cmp_lt_u32_e64 s5, 31, v15
	v_mov_b32_e32 v17, v21
	v_cndmask_b32_e64 v25, 0, 0xffffffe0, s5
	v_cndmask_b32_e32 v14, v20, v14, vcc_lo
	v_mad_u64_u32 v[21:22], null, 0xf534ddc0, v12, v[17:18]
	v_add_nc_u32_e32 v15, v25, v15
	v_cmp_lt_u32_e64 s6, 31, v15
	v_mov_b32_e32 v17, v22
	v_mad_u64_u32 v[22:23], null, 0xfc2757d1, v12, v[17:18]
	v_mov_b32_e32 v17, v23
	v_mad_u64_u32 v[23:24], null, 0x4e441529, v12, v[17:18]
	v_mov_b32_e32 v17, v24
	v_cndmask_b32_e32 v24, v23, v21, vcc_lo
	v_mad_u64_u32 v[17:18], null, 0xa2f9836e, v12, v[17:18]
	v_cndmask_b32_e64 v12, 0, 0xffffffe0, s6
	v_add_nc_u32_e32 v12, v12, v15
	v_cndmask_b32_e32 v17, v17, v22, vcc_lo
	v_cndmask_b32_e32 v18, v18, v23, vcc_lo
	;; [unrolled: 1-line block ×4, first 2 shown]
	v_sub_nc_u32_e32 v21, 32, v12
	v_cndmask_b32_e64 v19, v17, v24, s5
	v_cndmask_b32_e64 v17, v18, v17, s5
	;; [unrolled: 1-line block ×4, first 2 shown]
	v_cmp_eq_u32_e32 vcc_lo, 0, v12
	v_cndmask_b32_e64 v14, v15, v14, s5
	v_cndmask_b32_e64 v17, v17, v19, s6
	;; [unrolled: 1-line block ×5, first 2 shown]
	v_alignbit_b32 v23, v17, v19, v21
	v_alignbit_b32 v20, v19, v18, v21
	;; [unrolled: 1-line block ×3, first 2 shown]
	v_cndmask_b32_e32 v12, v23, v17, vcc_lo
	v_cndmask_b32_e32 v15, v20, v19, vcc_lo
	;; [unrolled: 1-line block ×3, first 2 shown]
	v_bfe_u32 v17, v12, 29, 1
	v_alignbit_b32 v19, v12, v15, 30
	v_alignbit_b32 v15, v15, v18, 30
	;; [unrolled: 1-line block ×3, first 2 shown]
	v_sub_nc_u32_e32 v20, 0, v17
	v_xor_b32_e32 v19, v19, v20
	v_xor_b32_e32 v15, v15, v20
	;; [unrolled: 1-line block ×3, first 2 shown]
	v_lshrrev_b32_e32 v20, 29, v12
	v_ffbh_u32_e32 v21, v19
	v_min_u32_e32 v21, 32, v21
	v_sub_nc_u32_e32 v18, 31, v21
	v_lshlrev_b32_e32 v22, 23, v21
	v_alignbit_b32 v19, v19, v15, v18
	v_alignbit_b32 v14, v15, v14, v18
	v_lshlrev_b32_e32 v15, 31, v20
	v_alignbit_b32 v18, v19, v14, 9
	v_or_b32_e32 v20, 0.5, v15
	v_lshrrev_b32_e32 v19, 9, v19
	v_or_b32_e32 v15, 0x33000000, v15
	v_ffbh_u32_e32 v23, v18
	v_sub_nc_u32_e32 v20, v20, v22
	v_min_u32_e32 v22, 32, v23
	v_or_b32_e32 v19, v19, v20
	v_not_b32_e32 v20, v22
	v_mul_f32_e32 v23, 0x3fc90fda, v19
	v_add_lshl_u32 v21, v22, v21, 23
	v_alignbit_b32 v14, v18, v14, v20
	v_fma_f32 v18, 0x3fc90fda, v19, -v23
	v_sub_nc_u32_e32 v15, v15, v21
	v_lshrrev_b32_e32 v14, 9, v14
	v_fmamk_f32 v18, v19, 0x33a22168, v18
	v_or_b32_e32 v14, v15, v14
	v_fmac_f32_e32 v18, 0x3fc90fda, v14
	v_lshrrev_b32_e32 v14, 30, v12
	v_add_f32_e32 v12, v23, v18
	v_add_nc_u32_e32 v15, v17, v14
	s_or_saveexec_b32 s5, s13
	v_mul_f32_e64 v18, 0x3f22f983, |v3|
	s_xor_b32 exec_lo, exec_lo, s5
	s_branch .LBB12_100
.LBB12_94:
	s_or_b32 exec_lo, exec_lo, s9
	s_and_saveexec_b32 s5, s4
	s_xor_b32 s4, exec_lo, s5
	s_cbranch_execz .LBB12_109
.LBB12_95:
	v_mov_b32_e32 v6, 0
	v_mov_b32_e32 v7, v8
	v_lshlrev_b64 v[5:6], 2, v[5:6]
	v_add_co_u32 v5, vcc_lo, v0, v5
	v_add_co_ci_u32_e64 v6, null, v1, v6, vcc_lo
	flat_store_dword v[5:6], v2
	s_or_b32 exec_lo, exec_lo, s4
	s_mov_b32 s4, exec_lo
	v_cmpx_lt_i32_e64 v7, v4
	s_cbranch_execnz .LBB12_110
.LBB12_96:
	s_or_b32 exec_lo, exec_lo, s4
	s_mov_b32 s4, exec_lo
	v_cmpx_lt_i32_e64 v7, v4
	s_cbranch_execz .LBB12_111
.LBB12_97:
	v_add_nc_u32_e32 v5, s8, v7
	v_mov_b32_e32 v6, 0
	v_add_nc_u32_e32 v7, 0x100, v7
	v_lshlrev_b64 v[5:6], 2, v[5:6]
	v_add_co_u32 v5, vcc_lo, v0, v5
	v_add_co_ci_u32_e64 v6, null, v1, v6, vcc_lo
	flat_store_dword v[5:6], v10
	s_or_b32 exec_lo, exec_lo, s4
	s_mov_b32 s4, exec_lo
	v_cmpx_lt_i32_e64 v7, v4
	s_cbranch_execnz .LBB12_112
.LBB12_98:
	s_or_b32 exec_lo, exec_lo, s4
	s_waitcnt lgkmcnt(0)
	s_setpc_b64 s[30:31]
.LBB12_99:
	s_or_saveexec_b32 s5, s13
	v_mul_f32_e64 v18, 0x3f22f983, |v3|
	s_xor_b32 exec_lo, exec_lo, s5
.LBB12_100:
	v_rndne_f32_e32 v14, v18
	v_fma_f32 v12, 0xbfc90fda, v14, |v3|
	v_cvt_i32_f32_e32 v15, v14
	v_fmamk_f32 v12, v14, 0xb3a22168, v12
	v_fmamk_f32 v12, v14, 0xa7c234c4, v12
; %bb.101:
	s_or_b32 exec_lo, exec_lo, s5
                                        ; implicit-def: $vgpr17
                                        ; implicit-def: $vgpr14
	s_and_saveexec_b32 s5, s7
	s_xor_b32 s7, exec_lo, s5
	s_cbranch_execz .LBB12_103
; %bb.102:
	s_mov_b32 s5, 0x7fffff
	v_mov_b32_e32 v19, 0
	v_and_or_b32 v14, v13, s5, 0x800000
	v_add_nc_u32_e32 v16, 0xffffff88, v16
	v_mad_u64_u32 v[17:18], null, 0xfe5163ab, v14, 0
	v_cmp_lt_u32_e32 vcc_lo, 63, v16
	v_cndmask_b32_e64 v25, 0, 0xffffffc0, vcc_lo
	v_mad_u64_u32 v[20:21], null, 0x3c439041, v14, v[18:19]
	v_add_nc_u32_e32 v16, v25, v16
	v_mov_b32_e32 v18, v21
	v_cmp_lt_u32_e64 s5, 31, v16
	v_mad_u64_u32 v[21:22], null, 0xdb629599, v14, v[18:19]
	v_cndmask_b32_e64 v26, 0, 0xffffffe0, s5
	v_add_nc_u32_e32 v16, v26, v16
	v_mov_b32_e32 v18, v22
	v_cndmask_b32_e32 v17, v21, v17, vcc_lo
	v_cmp_lt_u32_e64 s6, 31, v16
	v_mad_u64_u32 v[22:23], null, 0xf534ddc0, v14, v[18:19]
	v_mov_b32_e32 v18, v23
	v_mad_u64_u32 v[23:24], null, 0xfc2757d1, v14, v[18:19]
	v_mov_b32_e32 v18, v24
	v_mad_u64_u32 v[24:25], null, 0x4e441529, v14, v[18:19]
	v_mov_b32_e32 v18, v25
	v_cndmask_b32_e32 v25, v24, v22, vcc_lo
	v_mad_u64_u32 v[18:19], null, 0xa2f9836e, v14, v[18:19]
	v_cndmask_b32_e64 v14, 0, 0xffffffe0, s6
	v_add_nc_u32_e32 v14, v14, v16
	v_cndmask_b32_e32 v18, v18, v23, vcc_lo
	v_cndmask_b32_e32 v19, v19, v24, vcc_lo
	;; [unrolled: 1-line block ×4, first 2 shown]
	v_sub_nc_u32_e32 v22, 32, v14
	v_cndmask_b32_e64 v20, v18, v25, s5
	v_cndmask_b32_e64 v18, v19, v18, s5
	;; [unrolled: 1-line block ×4, first 2 shown]
	v_cmp_eq_u32_e32 vcc_lo, 0, v14
	v_cndmask_b32_e64 v16, v16, v17, s5
	v_cndmask_b32_e64 v18, v18, v20, s6
	;; [unrolled: 1-line block ×5, first 2 shown]
	v_alignbit_b32 v24, v18, v20, v22
	v_alignbit_b32 v21, v20, v19, v22
	;; [unrolled: 1-line block ×3, first 2 shown]
	v_cndmask_b32_e32 v14, v24, v18, vcc_lo
	v_cndmask_b32_e32 v17, v21, v20, vcc_lo
	v_cndmask_b32_e32 v19, v22, v19, vcc_lo
	v_bfe_u32 v18, v14, 29, 1
	v_alignbit_b32 v20, v14, v17, 30
	v_alignbit_b32 v17, v17, v19, 30
	;; [unrolled: 1-line block ×3, first 2 shown]
	v_sub_nc_u32_e32 v21, 0, v18
	v_xor_b32_e32 v20, v20, v21
	v_xor_b32_e32 v17, v17, v21
	;; [unrolled: 1-line block ×3, first 2 shown]
	v_lshrrev_b32_e32 v21, 29, v14
	v_ffbh_u32_e32 v22, v20
	v_min_u32_e32 v22, 32, v22
	v_sub_nc_u32_e32 v19, 31, v22
	v_lshlrev_b32_e32 v23, 23, v22
	v_alignbit_b32 v20, v20, v17, v19
	v_alignbit_b32 v16, v17, v16, v19
	v_lshlrev_b32_e32 v17, 31, v21
	v_alignbit_b32 v19, v20, v16, 9
	v_or_b32_e32 v21, 0.5, v17
	v_lshrrev_b32_e32 v20, 9, v20
	v_or_b32_e32 v17, 0x33000000, v17
	v_ffbh_u32_e32 v24, v19
	v_sub_nc_u32_e32 v21, v21, v23
	v_min_u32_e32 v23, 32, v24
	v_or_b32_e32 v20, v20, v21
	v_not_b32_e32 v21, v23
	v_mul_f32_e32 v24, 0x3fc90fda, v20
	v_add_lshl_u32 v22, v23, v22, 23
	v_alignbit_b32 v16, v19, v16, v21
	v_fma_f32 v19, 0x3fc90fda, v20, -v24
	v_sub_nc_u32_e32 v17, v17, v22
	v_lshrrev_b32_e32 v16, 9, v16
	v_fmamk_f32 v19, v20, 0x33a22168, v19
	v_or_b32_e32 v16, v17, v16
	v_fmac_f32_e32 v19, 0x3fc90fda, v16
	v_lshrrev_b32_e32 v16, 30, v14
	v_add_f32_e32 v14, v24, v19
	v_add_nc_u32_e32 v17, v18, v16
                                        ; implicit-def: $vgpr18
	s_andn2_saveexec_b32 s5, s7
	s_cbranch_execnz .LBB12_104
	s_branch .LBB12_105
.LBB12_103:
	s_andn2_saveexec_b32 s5, s7
.LBB12_104:
	v_rndne_f32_e32 v16, v18
	v_fma_f32 v14, 0xbfc90fda, v16, |v3|
	v_cvt_i32_f32_e32 v17, v16
	v_fmamk_f32 v14, v16, 0xb3a22168, v14
	v_fmamk_f32 v14, v16, 0xa7c234c4, v14
.LBB12_105:
	s_or_b32 exec_lo, exec_lo, s5
	v_div_scale_f32 v16, null, v9, v9, 1.0
	v_div_scale_f32 v20, vcc_lo, 1.0, v9, 1.0
	v_mul_f32_e32 v23, 0x4f800000, v6
	v_rcp_f32_e32 v18, v16
	v_mul_f32_e32 v22, v12, v12
	s_mov_b32 s5, 0xb94c1982
	s_mov_b32 s6, 0x37d75334
	v_and_b32_e32 v24, 1, v17
	v_xor_b32_e32 v13, v13, v3
	v_lshlrev_b32_e32 v17, 30, v17
	v_fma_f32 v19, -v16, v18, 1.0
	v_and_b32_e32 v17, 0x80000000, v17
	v_fmac_f32_e32 v18, v19, v18
	v_mul_f32_e32 v19, v20, v18
	v_fma_f32 v21, -v16, v19, v20
	v_fmac_f32_e32 v19, v21, v18
	v_and_b32_e32 v21, 1, v15
	v_lshlrev_b32_e32 v15, 30, v15
	v_fma_f32 v16, -v16, v19, v20
	v_mul_f32_e32 v20, v14, v14
	v_cmp_eq_u32_e64 s7, 0, v21
	v_and_b32_e32 v15, 0x80000000, v15
	v_div_fmas_f32 v16, v16, v18, v19
	v_cmp_gt_f32_e32 vcc_lo, 0xf800000, v6
	v_fmaak_f32 v18, s5, v22, 0x3c0881c4
	v_fmaak_f32 v19, s6, v22, 0xbab64f3b
	v_div_fixup_f32 v9, v16, v9, 1.0
	v_cndmask_b32_e32 v6, v6, v23, vcc_lo
	v_fmaak_f32 v16, s5, v20, 0x3c0881c4
	v_fmaak_f32 v23, s6, v20, 0xbab64f3b
	;; [unrolled: 1-line block ×3, first 2 shown]
	v_mul_f32_e32 v25, v9, v9
	v_sqrt_f32_e32 v26, v6
	v_fmaak_f32 v19, v22, v19, 0x3d2aabf7
	v_fmaak_f32 v16, v20, v16, 0xbe2aaa9d
	;; [unrolled: 1-line block ×7, first 2 shown]
	v_mul_f32_e32 v18, v22, v18
	v_fmaak_f32 v27, v25, v27, 0x3ec83ea8
	v_fmaak_f32 v28, v25, v28, 0xbf205f75
	;; [unrolled: 1-line block ×4, first 2 shown]
	v_add_nc_u32_e32 v31, -1, v26
	v_fmaak_f32 v27, v25, v27, 0x3f886c1a
	v_fmaak_f32 v28, v25, v28, 0xbf3172ce
	;; [unrolled: 1-line block ×4, first 2 shown]
	v_add_nc_u32_e32 v32, 1, v26
	v_fmaak_f32 v27, v25, v27, 0x3f706d65
	v_fmaak_f32 v28, v25, v28, 0xbe8f3f52
	v_fma_f32 v33, -v31, v26, v6
	v_fmaak_f32 v29, v25, v29, 0x4112fe41
	v_fmaak_f32 v30, v25, v30, 0x40af4271
	;; [unrolled: 1-line block ×4, first 2 shown]
	v_fma_f32 v34, -v32, v26, v6
	v_cmp_ge_f32_e64 s5, 0, v33
	v_fmaak_f32 v29, v25, v29, 0x3fbcd65a
	v_fmaak_f32 v27, v25, v27, 0x3d81d209
	;; [unrolled: 1-line block ×4, first 2 shown]
	v_cndmask_b32_e64 v26, v26, v31, s5
	v_cmp_lt_f32_e64 s5, 0, v34
	v_fmaak_f32 v27, v25, v27, 0x3bbff4d0
	v_fmaak_f32 v29, v25, v29, 0x3deced66
	;; [unrolled: 1-line block ×4, first 2 shown]
	v_cndmask_b32_e64 v26, v26, v32, s5
	v_fmaak_f32 v27, v25, v27, 0x39944bb3
	v_fmaak_f32 v29, v25, v29, 0x3b904657
	;; [unrolled: 1-line block ×4, first 2 shown]
	v_mul_f32_e32 v31, 0x37800000, v26
	v_fmaak_f32 v27, v25, v27, 0x36ea79eb
	v_fmaak_f32 v29, v25, v29, 0x389e46bd
	;; [unrolled: 1-line block ×4, first 2 shown]
	v_cndmask_b32_e32 v26, v26, v31, vcc_lo
	v_fmaak_f32 v27, v25, v27, 0x33ae5496
	v_cmp_class_f32_e64 vcc_lo, v6, 0x260
	v_fmaak_f32 v29, v25, v29, 0x34f295ce
	v_fmaak_f32 v30, v25, v30, 0x359d422f
	v_mul_f32_e32 v28, v25, v28
	v_fmaak_f32 v27, v25, v27, 0x2fbbc524
	v_cndmask_b32_e32 v6, v26, v6, vcc_lo
	v_fmaak_f32 v19, v22, v19, 0xbf000004
	v_fmaak_f32 v25, v25, v30, 0x31a8fe3a
	v_div_scale_f32 v26, null, v29, v29, v28
	v_mul_f32_e32 v9, v9, v27
	v_div_scale_f32 v27, null, v6, v6, 0x3f106ebb
	v_rcp_f32_e32 v30, v26
	v_mul_f32_e32 v16, v20, v16
	v_div_scale_f32 v31, null, v25, v25, v9
	v_rcp_f32_e32 v32, v27
	v_fmaak_f32 v23, v20, v23, 0xbf000004
	v_fmac_f32_e32 v12, v12, v18
	v_fma_f32 v18, v22, v19, 1.0
	v_rcp_f32_e32 v19, v31
	v_fmac_f32_e32 v14, v14, v16
	v_fma_f32 v16, v20, v23, 1.0
	v_fma_f32 v20, -v26, v30, 1.0
	v_div_scale_f32 v33, vcc_lo, v28, v29, v28
	v_fma_f32 v23, -v27, v32, 1.0
	v_div_scale_f32 v22, s5, 0x3f106ebb, v6, 0x3f106ebb
	v_fmac_f32_e32 v30, v20, v30
	v_fma_f32 v20, -v31, v19, 1.0
	v_fmac_f32_e32 v32, v23, v32
	v_div_scale_f32 v23, s6, v9, v25, v9
	v_mul_f32_e32 v34, v33, v30
	v_fmac_f32_e32 v19, v20, v19
	v_mul_f32_e32 v20, v22, v32
	v_cndmask_b32_e64 v12, v18, v12, s7
	v_cmp_eq_u32_e64 s7, 0, v24
	v_fma_f32 v18, -v26, v34, v33
	v_mul_f32_e32 v21, v23, v19
	v_fma_f32 v35, -v27, v20, v22
	v_xor3_b32 v12, v13, v15, v12
	v_cndmask_b32_e64 v14, -v14, v16, s7
	v_fmac_f32_e32 v34, v18, v30
	v_fma_f32 v16, -v31, v21, v23
	v_fmac_f32_e32 v20, v35, v32
	v_cmp_class_f32_e64 s7, v3, 0x1f8
	v_xor_b32_e32 v14, v17, v14
	v_fma_f32 v3, -v26, v34, v33
	v_fmac_f32_e32 v21, v16, v19
	v_fma_f32 v13, -v27, v20, v22
	v_cndmask_b32_e64 v12, 0x7fc00000, v12, s7
	v_cndmask_b32_e64 v14, 0x7fc00000, v14, s7
	v_div_fmas_f32 v3, v3, v30, v34
	v_fma_f32 v15, -v31, v21, v23
	s_mov_b32 vcc_lo, s5
	v_div_fmas_f32 v13, v13, v32, v20
	s_mov_b32 vcc_lo, s6
	v_div_fixup_f32 v3, v3, v29, v28
	v_div_fmas_f32 v15, v15, v19, v21
	v_div_fixup_f32 v6, v13, v6, 0x3f106ebb
	v_add_f32_e32 v3, 1.0, v3
	v_div_fixup_f32 v9, v15, v25, v9
	v_mul_f32_e32 v9, v9, v14
	v_fma_f32 v3, v3, v12, -v9
	v_mul_f32_e32 v3, v6, v3
.LBB12_106:
	s_or_b32 exec_lo, exec_lo, s12
.LBB12_107:
	s_or_b32 exec_lo, exec_lo, s11
.LBB12_108:
	s_or_b32 exec_lo, exec_lo, s10
	s_or_b32 exec_lo, exec_lo, s9
	s_and_saveexec_b32 s5, s4
	s_xor_b32 s4, exec_lo, s5
	s_cbranch_execnz .LBB12_95
.LBB12_109:
	s_or_b32 exec_lo, exec_lo, s4
	s_mov_b32 s4, exec_lo
	v_cmpx_lt_i32_e64 v7, v4
	s_cbranch_execz .LBB12_96
.LBB12_110:
	v_add_nc_u32_e32 v5, s8, v7
	v_mov_b32_e32 v6, 0
	v_add_nc_u32_e32 v7, 0x100, v7
	v_lshlrev_b64 v[5:6], 2, v[5:6]
	v_add_co_u32 v5, vcc_lo, v0, v5
	v_add_co_ci_u32_e64 v6, null, v1, v6, vcc_lo
	flat_store_dword v[5:6], v11
	s_or_b32 exec_lo, exec_lo, s4
	s_mov_b32 s4, exec_lo
	v_cmpx_lt_i32_e64 v7, v4
	s_cbranch_execnz .LBB12_97
.LBB12_111:
	s_or_b32 exec_lo, exec_lo, s4
	s_mov_b32 s4, exec_lo
	v_cmpx_lt_i32_e64 v7, v4
	s_cbranch_execz .LBB12_98
.LBB12_112:
	v_add_nc_u32_e32 v4, s8, v7
	v_mov_b32_e32 v5, 0
	v_lshlrev_b64 v[4:5], 2, v[4:5]
	v_add_co_u32 v0, vcc_lo, v0, v4
	v_add_co_ci_u32_e64 v1, null, v1, v5, vcc_lo
	flat_store_dword v[0:1], v3
	s_or_b32 exec_lo, exec_lo, s4
	s_waitcnt lgkmcnt(0)
	s_setpc_b64 s[30:31]
.Lfunc_end12:
	.size	_ZN2at6native25elementwise_kernel_helperILb0EZZZNS0_12_GLOBAL__N_119airy_ai_kernel_cudaERNS_18TensorIteratorBaseEENKUlvE_clEvENKUlvE0_clEvEUlfE_NS0_6memory8policies11unroll_baseILi256ESt5arrayIPcLm2EE23TrivialOffsetCalculatorILi1EjESF_NS8_15LoadWithoutCastENS8_16StoreWithoutCastELi4ELi1EEEEEvT0_T1_, .Lfunc_end12-_ZN2at6native25elementwise_kernel_helperILb0EZZZNS0_12_GLOBAL__N_119airy_ai_kernel_cudaERNS_18TensorIteratorBaseEENKUlvE_clEvENKUlvE0_clEvEUlfE_NS0_6memory8policies11unroll_baseILi256ESt5arrayIPcLm2EE23TrivialOffsetCalculatorILi1EjESF_NS8_15LoadWithoutCastENS8_16StoreWithoutCastELi4ELi1EEEEEvT0_T1_
                                        ; -- End function
	.set .L_ZN2at6native25elementwise_kernel_helperILb0EZZZNS0_12_GLOBAL__N_119airy_ai_kernel_cudaERNS_18TensorIteratorBaseEENKUlvE_clEvENKUlvE0_clEvEUlfE_NS0_6memory8policies11unroll_baseILi256ESt5arrayIPcLm2EE23TrivialOffsetCalculatorILi1EjESF_NS8_15LoadWithoutCastENS8_16StoreWithoutCastELi4ELi1EEEEEvT0_T1_.num_vgpr, 38
	.set .L_ZN2at6native25elementwise_kernel_helperILb0EZZZNS0_12_GLOBAL__N_119airy_ai_kernel_cudaERNS_18TensorIteratorBaseEENKUlvE_clEvENKUlvE0_clEvEUlfE_NS0_6memory8policies11unroll_baseILi256ESt5arrayIPcLm2EE23TrivialOffsetCalculatorILi1EjESF_NS8_15LoadWithoutCastENS8_16StoreWithoutCastELi4ELi1EEEEEvT0_T1_.num_agpr, 0
	.set .L_ZN2at6native25elementwise_kernel_helperILb0EZZZNS0_12_GLOBAL__N_119airy_ai_kernel_cudaERNS_18TensorIteratorBaseEENKUlvE_clEvENKUlvE0_clEvEUlfE_NS0_6memory8policies11unroll_baseILi256ESt5arrayIPcLm2EE23TrivialOffsetCalculatorILi1EjESF_NS8_15LoadWithoutCastENS8_16StoreWithoutCastELi4ELi1EEEEEvT0_T1_.numbered_sgpr, 32
	.set .L_ZN2at6native25elementwise_kernel_helperILb0EZZZNS0_12_GLOBAL__N_119airy_ai_kernel_cudaERNS_18TensorIteratorBaseEENKUlvE_clEvENKUlvE0_clEvEUlfE_NS0_6memory8policies11unroll_baseILi256ESt5arrayIPcLm2EE23TrivialOffsetCalculatorILi1EjESF_NS8_15LoadWithoutCastENS8_16StoreWithoutCastELi4ELi1EEEEEvT0_T1_.num_named_barrier, 0
	.set .L_ZN2at6native25elementwise_kernel_helperILb0EZZZNS0_12_GLOBAL__N_119airy_ai_kernel_cudaERNS_18TensorIteratorBaseEENKUlvE_clEvENKUlvE0_clEvEUlfE_NS0_6memory8policies11unroll_baseILi256ESt5arrayIPcLm2EE23TrivialOffsetCalculatorILi1EjESF_NS8_15LoadWithoutCastENS8_16StoreWithoutCastELi4ELi1EEEEEvT0_T1_.private_seg_size, 0
	.set .L_ZN2at6native25elementwise_kernel_helperILb0EZZZNS0_12_GLOBAL__N_119airy_ai_kernel_cudaERNS_18TensorIteratorBaseEENKUlvE_clEvENKUlvE0_clEvEUlfE_NS0_6memory8policies11unroll_baseILi256ESt5arrayIPcLm2EE23TrivialOffsetCalculatorILi1EjESF_NS8_15LoadWithoutCastENS8_16StoreWithoutCastELi4ELi1EEEEEvT0_T1_.uses_vcc, 1
	.set .L_ZN2at6native25elementwise_kernel_helperILb0EZZZNS0_12_GLOBAL__N_119airy_ai_kernel_cudaERNS_18TensorIteratorBaseEENKUlvE_clEvENKUlvE0_clEvEUlfE_NS0_6memory8policies11unroll_baseILi256ESt5arrayIPcLm2EE23TrivialOffsetCalculatorILi1EjESF_NS8_15LoadWithoutCastENS8_16StoreWithoutCastELi4ELi1EEEEEvT0_T1_.uses_flat_scratch, 0
	.set .L_ZN2at6native25elementwise_kernel_helperILb0EZZZNS0_12_GLOBAL__N_119airy_ai_kernel_cudaERNS_18TensorIteratorBaseEENKUlvE_clEvENKUlvE0_clEvEUlfE_NS0_6memory8policies11unroll_baseILi256ESt5arrayIPcLm2EE23TrivialOffsetCalculatorILi1EjESF_NS8_15LoadWithoutCastENS8_16StoreWithoutCastELi4ELi1EEEEEvT0_T1_.has_dyn_sized_stack, 0
	.set .L_ZN2at6native25elementwise_kernel_helperILb0EZZZNS0_12_GLOBAL__N_119airy_ai_kernel_cudaERNS_18TensorIteratorBaseEENKUlvE_clEvENKUlvE0_clEvEUlfE_NS0_6memory8policies11unroll_baseILi256ESt5arrayIPcLm2EE23TrivialOffsetCalculatorILi1EjESF_NS8_15LoadWithoutCastENS8_16StoreWithoutCastELi4ELi1EEEEEvT0_T1_.has_recursion, 0
	.set .L_ZN2at6native25elementwise_kernel_helperILb0EZZZNS0_12_GLOBAL__N_119airy_ai_kernel_cudaERNS_18TensorIteratorBaseEENKUlvE_clEvENKUlvE0_clEvEUlfE_NS0_6memory8policies11unroll_baseILi256ESt5arrayIPcLm2EE23TrivialOffsetCalculatorILi1EjESF_NS8_15LoadWithoutCastENS8_16StoreWithoutCastELi4ELi1EEEEEvT0_T1_.has_indirect_call, 0
	.section	.AMDGPU.csdata,"",@progbits
; Function info:
; codeLenInByte = 16432
; TotalNumSgprs: 34
; NumVgprs: 38
; ScratchSize: 0
; MemoryBound: 0
	.text
	.p2align	2                               ; -- Begin function _ZN2at6native25elementwise_kernel_helperILb0EZZZNS0_12_GLOBAL__N_119airy_ai_kernel_cudaERNS_18TensorIteratorBaseEENKUlvE_clEvENKUlvE0_clEvEUlfE_NS0_6memory8policies10vectorizedILi4ESt5arrayIPcLm2EELi4EEEEEvT0_T1_
	.type	_ZN2at6native25elementwise_kernel_helperILb0EZZZNS0_12_GLOBAL__N_119airy_ai_kernel_cudaERNS_18TensorIteratorBaseEENKUlvE_clEvENKUlvE0_clEvEUlfE_NS0_6memory8policies10vectorizedILi4ESt5arrayIPcLm2EELi4EEEEEvT0_T1_,@function
_ZN2at6native25elementwise_kernel_helperILb0EZZZNS0_12_GLOBAL__N_119airy_ai_kernel_cudaERNS_18TensorIteratorBaseEENKUlvE_clEvENKUlvE0_clEvEUlfE_NS0_6memory8policies10vectorizedILi4ESt5arrayIPcLm2EELi4EEEEEvT0_T1_: ; @_ZN2at6native25elementwise_kernel_helperILb0EZZZNS0_12_GLOBAL__N_119airy_ai_kernel_cudaERNS_18TensorIteratorBaseEENKUlvE_clEvENKUlvE0_clEvEUlfE_NS0_6memory8policies10vectorizedILi4ESt5arrayIPcLm2EELi4EEEEEvT0_T1_
; %bb.0:
	s_waitcnt vmcnt(0) expcnt(0) lgkmcnt(0)
	s_lshl_b32 s4, s12, 10
	v_and_b32_e32 v4, 0x3ff, v31
	s_ashr_i32 s5, s4, 31
	s_mov_b32 s7, exec_lo
	s_lshl_b64 s[8:9], s[4:5], 2
	v_lshlrev_b32_e32 v10, 4, v4
	v_add_co_u32 v2, vcc_lo, v2, s8
	v_add_co_ci_u32_e64 v3, null, s9, v3, vcc_lo
	v_mov_b32_e32 v4, 0
	v_add_co_u32 v2, vcc_lo, v2, v10
	v_add_co_ci_u32_e64 v3, null, 0, v3, vcc_lo
	flat_load_dwordx4 v[6:9], v[2:3]
	v_mov_b32_e32 v3, 0x7fc00000
	v_mov_b32_e32 v2, 0x7fc00000
	s_waitcnt vmcnt(0) lgkmcnt(0)
	v_cmpx_neq_f32_e64 0x7f800000, |v6|
	s_cbranch_execz .LBB13_22
; %bb.1:
	s_mov_b32 s10, exec_lo
	v_cmpx_nlt_f32_e32 0x42cfc8b4, v6
	s_cbranch_execz .LBB13_21
; %bb.2:
                                        ; implicit-def: $vgpr4
	s_mov_b32 s4, exec_lo
	v_cmpx_ngt_f32_e32 0xc005c28f, v6
	s_xor_b32 s6, exec_lo, s4
	s_cbranch_execz .LBB13_10
; %bb.3:
	v_cmp_nle_f32_e64 s11, 0x4005c28f, v6
	v_mov_b32_e32 v4, 0
	s_mov_b32 s12, exec_lo
	s_mov_b32 s4, s11
	v_cmpx_le_f32_e32 0x4005c28f, v6
	s_cbranch_execz .LBB13_5
; %bb.4:
	v_mul_f32_e32 v2, 0x4f800000, v6
	v_cmp_gt_f32_e32 vcc_lo, 0xf800000, v6
	v_cndmask_b32_e32 v2, v6, v2, vcc_lo
	v_sqrt_f32_e32 v4, v2
	v_add_nc_u32_e32 v5, -1, v4
	v_add_nc_u32_e32 v11, 1, v4
	v_fma_f32 v12, -v5, v4, v2
	v_fma_f32 v13, -v11, v4, v2
	v_cmp_ge_f32_e64 s4, 0, v12
	v_cndmask_b32_e64 v4, v4, v5, s4
	v_cmp_lt_f32_e64 s4, 0, v13
	v_cndmask_b32_e64 v4, v4, v11, s4
	v_mul_f32_e32 v5, 0x37800000, v4
	v_cndmask_b32_e32 v4, v4, v5, vcc_lo
	v_cmp_class_f32_e64 vcc_lo, v2, 0x260
	v_add_f32_e32 v5, v6, v6
	v_cndmask_b32_e32 v2, v4, v2, vcc_lo
	v_mul_f32_e32 v4, v5, v2
	v_div_scale_f32 v5, null, 0x40400000, 0x40400000, v4
	v_div_scale_f32 v13, vcc_lo, v4, 0x40400000, v4
	v_rcp_f32_e32 v11, v5
	v_fma_f32 v12, -v5, v11, 1.0
	v_fmac_f32_e32 v11, v12, v11
	v_mul_f32_e32 v12, v13, v11
	v_fma_f32 v14, -v5, v12, v13
	v_fmac_f32_e32 v12, v14, v11
	v_fma_f32 v5, -v5, v12, v13
	v_div_fmas_f32 v5, v5, v11, v12
	v_div_fixup_f32 v4, v5, 0x40400000, v4
	v_div_scale_f32 v5, null, v4, v4, 1.0
	v_div_scale_f32 v13, vcc_lo, 1.0, v4, 1.0
	v_mul_f32_e32 v17, 0x3fb8aa3b, v4
	v_rcp_f32_e32 v11, v5
	v_fma_f32 v20, 0x3fb8aa3b, v4, -v17
	v_rndne_f32_e32 v21, v17
	v_sub_f32_e32 v17, v17, v21
	v_fma_f32 v12, -v5, v11, 1.0
	v_fmac_f32_e32 v11, v12, v11
	v_mul_f32_e32 v12, v13, v11
	v_fma_f32 v14, -v5, v12, v13
	v_fmac_f32_e32 v12, v14, v11
	v_fma_f32 v5, -v5, v12, v13
	v_mul_f32_e32 v13, 0x4f800000, v2
	v_div_fmas_f32 v5, v5, v11, v12
	v_cmp_gt_f32_e32 vcc_lo, 0xf800000, v2
	v_div_fixup_f32 v5, v5, v4, 1.0
	v_cndmask_b32_e32 v2, v2, v13, vcc_lo
	v_fmaak_f32 v11, 0, v5, 0x3f114de0
	v_fmaak_f32 v12, 0, v5, 0x3eb16d71
	v_sqrt_f32_e32 v13, v2
	v_fmaak_f32 v11, v5, v11, 0x416c19a0
	v_fmaak_f32 v12, v5, v12, 0x41401f1c
	;; [unrolled: 1-line block ×4, first 2 shown]
	v_add_nc_u32_e32 v14, -1, v13
	v_add_nc_u32_e32 v15, 1, v13
	v_fmaak_f32 v11, v5, v11, 0x4331516e
	v_fmaak_f32 v12, v5, v12, 0x432816d7
	v_fma_f32 v18, -v14, v13, v2
	v_fma_f32 v19, -v15, v13, v2
	v_fmaak_f32 v11, v5, v11, 0x43243c15
	v_fmaak_f32 v12, v5, v12, 0x431fc1a3
	v_cmp_ge_f32_e64 s4, 0, v18
	v_fmamk_f32 v18, v4, 0x32a5705f, v20
	v_cmp_lt_f32_e64 s5, 0, v19
	v_fmaak_f32 v11, v5, v11, 0x428ef4a7
	v_fmaak_f32 v12, v5, v12, 0x428d127a
	v_cndmask_b32_e64 v13, v13, v14, s4
	v_cvt_i32_f32_e32 v19, v21
	v_fmaak_f32 v11, v5, v11, 0x416188dd
	v_fmaak_f32 v12, v5, v12, 0x41606c6b
	v_cndmask_b32_e64 v13, v13, v15, s5
	v_fma_f32 v11, v5, v11, 1.0
	v_fma_f32 v5, v5, v12, 1.0
	v_div_scale_f32 v12, null, v11, v11, v5
	v_div_scale_f32 v20, s4, v5, v11, v5
	v_rcp_f32_e32 v16, v12
	v_fma_f32 v14, -v12, v16, 1.0
	v_fmac_f32_e32 v16, v14, v16
	v_add_f32_e32 v14, v17, v18
	v_mul_f32_e32 v17, 0x37800000, v13
	v_mul_f32_e32 v15, v20, v16
	v_exp_f32_e32 v14, v14
	v_cndmask_b32_e32 v13, v13, v17, vcc_lo
	v_cmp_class_f32_e64 vcc_lo, v2, 0x260
	v_fma_f32 v18, -v12, v15, v20
	v_cndmask_b32_e32 v2, v13, v2, vcc_lo
	v_cmp_ngt_f32_e32 vcc_lo, 0xc2ce8ed0, v4
	v_fmac_f32_e32 v15, v18, v16
	v_ldexp_f32 v14, v14, v19
	v_add_f32_e32 v2, v2, v2
	v_fma_f32 v12, -v12, v15, v20
	v_cndmask_b32_e32 v13, 0, v14, vcc_lo
	s_mov_b32 vcc_lo, s4
	s_andn2_b32 s4, s11, exec_lo
	v_div_fmas_f32 v12, v12, v16, v15
	v_cmp_nlt_f32_e32 vcc_lo, 0x42b17218, v4
	v_div_fixup_f32 v5, v12, v11, v5
	v_cndmask_b32_e32 v4, 0x7f800000, v13, vcc_lo
	v_mul_f32_e32 v2, v2, v4
	v_mul_f32_e32 v4, 0x3f106ebb, v5
	v_div_scale_f32 v5, null, v2, v2, v4
	v_div_scale_f32 v13, vcc_lo, v4, v2, v4
	v_rcp_f32_e32 v11, v5
	v_fma_f32 v12, -v5, v11, 1.0
	v_fmac_f32_e32 v11, v12, v11
	v_mul_f32_e32 v12, v13, v11
	v_fma_f32 v14, -v5, v12, v13
	v_fmac_f32_e32 v12, v14, v11
	v_fma_f32 v5, -v5, v12, v13
	v_div_fmas_f32 v5, v5, v11, v12
	v_cmp_nlt_f32_e32 vcc_lo, 0x41052018, v6
	v_div_fixup_f32 v4, v5, v2, v4
	s_and_b32 s5, vcc_lo, exec_lo
	s_or_b32 s4, s4, s5
.LBB13_5:
	s_or_b32 exec_lo, exec_lo, s12
	s_and_saveexec_b32 s5, s4
	s_cbranch_execz .LBB13_9
; %bb.6:
	v_mul_f32_e32 v5, v6, v6
	v_mov_b32_e32 v12, 1.0
	v_mov_b32_e32 v13, 1.0
	v_mov_b32_e32 v14, v6
	v_mov_b32_e32 v2, v6
	v_mul_f32_e32 v11, v6, v5
	v_mov_b32_e32 v5, 1.0
	s_mov_b32 s12, 0
.LBB13_7:                               ; =>This Inner Loop Header: Depth=1
	v_mul_f32_e32 v12, v11, v12
	v_add_f32_e32 v13, 1.0, v13
	v_mul_f32_e32 v14, v11, v14
	v_div_scale_f32 v15, null, v13, v13, v12
	v_div_scale_f32 v18, vcc_lo, v12, v13, v12
	v_add_f32_e32 v17, 1.0, v13
	v_rcp_f32_e32 v16, v15
	v_div_scale_f32 v19, null, v17, v17, v14
	v_fma_f32 v20, -v15, v16, 1.0
	v_fmac_f32_e32 v16, v20, v16
	v_mul_f32_e32 v20, v18, v16
	v_fma_f32 v21, -v15, v20, v18
	v_fmac_f32_e32 v20, v21, v16
	v_fma_f32 v15, -v15, v20, v18
	v_div_fmas_f32 v15, v15, v16, v20
	v_div_scale_f32 v18, vcc_lo, v14, v17, v14
	v_div_fixup_f32 v12, v15, v13, v12
	v_rcp_f32_e32 v15, v19
	v_div_scale_f32 v13, null, v17, v17, v12
	v_div_scale_f32 v21, s4, v12, v17, v12
	v_rcp_f32_e32 v16, v13
	v_fma_f32 v20, -v19, v15, 1.0
	v_fmac_f32_e32 v15, v20, v15
	v_fma_f32 v20, -v13, v16, 1.0
	v_fmac_f32_e32 v16, v20, v16
	v_mul_f32_e32 v20, v18, v15
	v_mul_f32_e32 v22, v21, v16
	v_fma_f32 v23, -v19, v20, v18
	v_fma_f32 v24, -v13, v22, v21
	v_fmac_f32_e32 v20, v23, v15
	v_fmac_f32_e32 v22, v24, v16
	v_fma_f32 v18, -v19, v20, v18
	v_fma_f32 v13, -v13, v22, v21
	v_div_fmas_f32 v15, v18, v15, v20
	s_mov_b32 vcc_lo, s4
	v_div_fmas_f32 v16, v13, v16, v22
	v_add_f32_e32 v13, 1.0, v17
	v_div_fixup_f32 v14, v15, v17, v14
	v_div_fixup_f32 v12, v16, v17, v12
	v_div_scale_f32 v15, null, v13, v13, v14
	v_div_scale_f32 v19, vcc_lo, v14, v13, v14
	v_add_f32_e32 v5, v5, v12
	v_rcp_f32_e32 v17, v15
	v_div_scale_f32 v16, null, v5, v5, v12
	v_rcp_f32_e32 v18, v16
	v_fma_f32 v20, -v15, v17, 1.0
	v_fmac_f32_e32 v17, v20, v17
	v_div_scale_f32 v20, s4, v12, v5, v12
	v_fma_f32 v21, -v16, v18, 1.0
	v_fmac_f32_e32 v18, v21, v18
	v_mul_f32_e32 v21, v19, v17
	v_mul_f32_e32 v22, v20, v18
	v_fma_f32 v23, -v15, v21, v19
	v_fma_f32 v24, -v16, v22, v20
	v_fmac_f32_e32 v21, v23, v17
	v_fmac_f32_e32 v22, v24, v18
	v_fma_f32 v15, -v15, v21, v19
	v_fma_f32 v16, -v16, v22, v20
	v_div_fmas_f32 v15, v15, v17, v21
	s_mov_b32 vcc_lo, s4
	v_div_fmas_f32 v16, v16, v18, v22
	v_div_fixup_f32 v14, v15, v13, v14
	v_div_fixup_f32 v16, v16, v5, v12
	v_add_f32_e32 v2, v2, v14
	v_cmp_nlt_f32_e64 s4, 0x34000000, |v16|
	s_or_b32 s12, s4, s12
	s_andn2_b32 exec_lo, exec_lo, s12
	s_cbranch_execnz .LBB13_7
; %bb.8:
	s_or_b32 exec_lo, exec_lo, s12
	v_mul_f32_e32 v2, 0xbe8483fa, v2
	v_fmamk_f32 v2, v5, 0x3eb5c63d, v2
	v_cndmask_b32_e64 v4, v4, v2, s11
.LBB13_9:
	s_or_b32 exec_lo, exec_lo, s5
.LBB13_10:
	s_andn2_saveexec_b32 s11, s6
	s_cbranch_execz .LBB13_20
; %bb.11:
	v_mul_f32_e32 v2, 0xcf800000, v6
	v_cmp_lt_f32_e32 vcc_lo, 0x8f800000, v6
	v_cndmask_b32_e64 v2, -v6, v2, vcc_lo
	v_sqrt_f32_e32 v4, v2
	v_add_nc_u32_e32 v5, -1, v4
	v_add_nc_u32_e32 v11, 1, v4
	v_fma_f32 v12, -v5, v4, v2
	v_fma_f32 v13, -v11, v4, v2
	v_cmp_ge_f32_e64 s4, 0, v12
	v_cndmask_b32_e64 v4, v4, v5, s4
	v_cmp_lt_f32_e64 s4, 0, v13
	v_cndmask_b32_e64 v4, v4, v11, s4
	v_mul_f32_e32 v5, 0x37800000, v4
	v_cndmask_b32_e32 v4, v4, v5, vcc_lo
	v_cmp_class_f32_e64 vcc_lo, v2, 0x260
	v_mul_f32_e32 v5, -2.0, v6
	v_cndmask_b32_e32 v4, v4, v2, vcc_lo
	v_mul_f32_e32 v2, v5, v4
	v_div_scale_f32 v5, null, 0x40400000, 0x40400000, v2
	v_rcp_f32_e32 v6, v5
	v_fma_f32 v11, -v5, v6, 1.0
	v_fmac_f32_e32 v6, v11, v6
	v_div_scale_f32 v11, vcc_lo, v2, 0x40400000, v2
	v_mul_f32_e32 v12, v11, v6
	v_fma_f32 v13, -v5, v12, v11
	v_fmac_f32_e32 v12, v13, v6
                                        ; implicit-def: $vgpr13
	v_fma_f32 v5, -v5, v12, v11
	v_div_fmas_f32 v5, v5, v6, v12
                                        ; implicit-def: $vgpr6
	v_div_fixup_f32 v5, v5, 0x40400000, v2
	v_add_f32_e32 v2, 0x3f490fdb, v5
	v_and_b32_e32 v11, 0x7fffffff, v2
	v_cmp_ngt_f32_e64 s6, 0x48000000, |v2|
	v_lshrrev_b32_e32 v14, 23, v11
	s_and_saveexec_b32 s4, s6
	s_xor_b32 s12, exec_lo, s4
	s_cbranch_execz .LBB13_13
; %bb.12:
	s_mov_b32 s4, 0x7fffff
	v_mov_b32_e32 v16, 0
	v_and_or_b32 v6, v11, s4, 0x800000
	v_mad_u64_u32 v[12:13], null, 0xfe5163ab, v6, 0
	v_mov_b32_e32 v15, v13
	v_add_nc_u32_e32 v13, 0xffffff88, v14
	v_mad_u64_u32 v[17:18], null, 0x3c439041, v6, v[15:16]
	v_cmp_lt_u32_e32 vcc_lo, 63, v13
	v_cndmask_b32_e64 v22, 0, 0xffffffc0, vcc_lo
	v_mov_b32_e32 v15, v18
	v_add_nc_u32_e32 v13, v22, v13
	v_mad_u64_u32 v[18:19], null, 0xdb629599, v6, v[15:16]
	v_cmp_lt_u32_e64 s4, 31, v13
	v_mov_b32_e32 v15, v19
	v_cndmask_b32_e64 v23, 0, 0xffffffe0, s4
	v_cndmask_b32_e32 v12, v18, v12, vcc_lo
	v_mad_u64_u32 v[19:20], null, 0xf534ddc0, v6, v[15:16]
	v_add_nc_u32_e32 v13, v23, v13
	v_cmp_lt_u32_e64 s5, 31, v13
	v_mov_b32_e32 v15, v20
	v_mad_u64_u32 v[20:21], null, 0xfc2757d1, v6, v[15:16]
	v_mov_b32_e32 v15, v21
	v_mad_u64_u32 v[21:22], null, 0x4e441529, v6, v[15:16]
	v_mov_b32_e32 v15, v22
	v_cndmask_b32_e32 v22, v21, v19, vcc_lo
	v_mad_u64_u32 v[15:16], null, 0xa2f9836e, v6, v[15:16]
	v_cndmask_b32_e64 v6, 0, 0xffffffe0, s5
	v_add_nc_u32_e32 v6, v6, v13
	v_cndmask_b32_e32 v15, v15, v20, vcc_lo
	v_cndmask_b32_e32 v16, v16, v21, vcc_lo
	;; [unrolled: 1-line block ×4, first 2 shown]
	v_sub_nc_u32_e32 v19, 32, v6
	v_cndmask_b32_e64 v17, v15, v22, s4
	v_cndmask_b32_e64 v15, v16, v15, s4
	;; [unrolled: 1-line block ×4, first 2 shown]
	v_cmp_eq_u32_e32 vcc_lo, 0, v6
	v_cndmask_b32_e64 v12, v13, v12, s4
	v_cndmask_b32_e64 v15, v15, v17, s5
	v_cndmask_b32_e64 v17, v17, v16, s5
	v_cndmask_b32_e64 v16, v16, v20, s5
	v_cndmask_b32_e64 v12, v20, v12, s5
	v_alignbit_b32 v21, v15, v17, v19
	v_alignbit_b32 v18, v17, v16, v19
	;; [unrolled: 1-line block ×3, first 2 shown]
	v_cndmask_b32_e32 v6, v21, v15, vcc_lo
	v_cndmask_b32_e32 v13, v18, v17, vcc_lo
	;; [unrolled: 1-line block ×3, first 2 shown]
	v_bfe_u32 v15, v6, 29, 1
	v_alignbit_b32 v17, v6, v13, 30
	v_alignbit_b32 v13, v13, v16, 30
	;; [unrolled: 1-line block ×3, first 2 shown]
	v_sub_nc_u32_e32 v18, 0, v15
	v_xor_b32_e32 v17, v17, v18
	v_xor_b32_e32 v13, v13, v18
	;; [unrolled: 1-line block ×3, first 2 shown]
	v_lshrrev_b32_e32 v18, 29, v6
	v_ffbh_u32_e32 v19, v17
	v_min_u32_e32 v19, 32, v19
	v_sub_nc_u32_e32 v16, 31, v19
	v_lshlrev_b32_e32 v20, 23, v19
	v_alignbit_b32 v17, v17, v13, v16
	v_alignbit_b32 v12, v13, v12, v16
	v_lshlrev_b32_e32 v13, 31, v18
	v_alignbit_b32 v16, v17, v12, 9
	v_or_b32_e32 v18, 0.5, v13
	v_lshrrev_b32_e32 v17, 9, v17
	v_or_b32_e32 v13, 0x33000000, v13
	v_ffbh_u32_e32 v21, v16
	v_sub_nc_u32_e32 v18, v18, v20
	v_min_u32_e32 v20, 32, v21
	v_or_b32_e32 v17, v17, v18
	v_not_b32_e32 v18, v20
	v_mul_f32_e32 v21, 0x3fc90fda, v17
	v_add_lshl_u32 v19, v20, v19, 23
	v_alignbit_b32 v12, v16, v12, v18
	v_fma_f32 v16, 0x3fc90fda, v17, -v21
	v_sub_nc_u32_e32 v13, v13, v19
	v_lshrrev_b32_e32 v12, 9, v12
	v_fmamk_f32 v16, v17, 0x33a22168, v16
	v_or_b32_e32 v12, v13, v12
	v_fmac_f32_e32 v16, 0x3fc90fda, v12
	v_lshrrev_b32_e32 v12, 30, v6
	v_add_f32_e32 v6, v21, v16
	v_add_nc_u32_e32 v13, v15, v12
	s_or_saveexec_b32 s4, s12
	v_mul_f32_e64 v16, 0x3f22f983, |v2|
	s_xor_b32 exec_lo, exec_lo, s4
	s_branch .LBB13_14
.LBB13_13:
	s_or_saveexec_b32 s4, s12
	v_mul_f32_e64 v16, 0x3f22f983, |v2|
	s_xor_b32 exec_lo, exec_lo, s4
.LBB13_14:
	v_rndne_f32_e32 v12, v16
	v_fma_f32 v6, 0xbfc90fda, v12, |v2|
	v_cvt_i32_f32_e32 v13, v12
	v_fmamk_f32 v6, v12, 0xb3a22168, v6
	v_fmamk_f32 v6, v12, 0xa7c234c4, v6
; %bb.15:
	s_or_b32 exec_lo, exec_lo, s4
                                        ; implicit-def: $vgpr15
                                        ; implicit-def: $vgpr12
	s_and_saveexec_b32 s4, s6
	s_xor_b32 s6, exec_lo, s4
	s_cbranch_execz .LBB13_17
; %bb.16:
	s_mov_b32 s4, 0x7fffff
	v_mov_b32_e32 v17, 0
	v_and_or_b32 v12, v11, s4, 0x800000
	v_add_nc_u32_e32 v14, 0xffffff88, v14
	v_mad_u64_u32 v[15:16], null, 0xfe5163ab, v12, 0
	v_cmp_lt_u32_e32 vcc_lo, 63, v14
	v_cndmask_b32_e64 v23, 0, 0xffffffc0, vcc_lo
	v_mad_u64_u32 v[18:19], null, 0x3c439041, v12, v[16:17]
	v_add_nc_u32_e32 v14, v23, v14
	v_mov_b32_e32 v16, v19
	v_cmp_lt_u32_e64 s4, 31, v14
	v_mad_u64_u32 v[19:20], null, 0xdb629599, v12, v[16:17]
	v_cndmask_b32_e64 v24, 0, 0xffffffe0, s4
	v_add_nc_u32_e32 v14, v24, v14
	v_mov_b32_e32 v16, v20
	v_cndmask_b32_e32 v15, v19, v15, vcc_lo
	v_cmp_lt_u32_e64 s5, 31, v14
	v_mad_u64_u32 v[20:21], null, 0xf534ddc0, v12, v[16:17]
	v_mov_b32_e32 v16, v21
	v_mad_u64_u32 v[21:22], null, 0xfc2757d1, v12, v[16:17]
	v_mov_b32_e32 v16, v22
	;; [unrolled: 2-line block ×3, first 2 shown]
	v_cndmask_b32_e32 v23, v22, v20, vcc_lo
	v_mad_u64_u32 v[16:17], null, 0xa2f9836e, v12, v[16:17]
	v_cndmask_b32_e64 v12, 0, 0xffffffe0, s5
	v_add_nc_u32_e32 v12, v12, v14
	v_cndmask_b32_e32 v16, v16, v21, vcc_lo
	v_cndmask_b32_e32 v17, v17, v22, vcc_lo
	;; [unrolled: 1-line block ×4, first 2 shown]
	v_sub_nc_u32_e32 v20, 32, v12
	v_cndmask_b32_e64 v18, v16, v23, s4
	v_cndmask_b32_e64 v16, v17, v16, s4
	v_cndmask_b32_e64 v17, v23, v21, s4
	v_cndmask_b32_e64 v21, v21, v14, s4
	v_cmp_eq_u32_e32 vcc_lo, 0, v12
	v_cndmask_b32_e64 v14, v14, v15, s4
	v_cndmask_b32_e64 v16, v16, v18, s5
	;; [unrolled: 1-line block ×5, first 2 shown]
	v_alignbit_b32 v22, v16, v18, v20
	v_alignbit_b32 v19, v18, v17, v20
	;; [unrolled: 1-line block ×3, first 2 shown]
	v_cndmask_b32_e32 v12, v22, v16, vcc_lo
	v_cndmask_b32_e32 v15, v19, v18, vcc_lo
	;; [unrolled: 1-line block ×3, first 2 shown]
	v_bfe_u32 v16, v12, 29, 1
	v_alignbit_b32 v18, v12, v15, 30
	v_alignbit_b32 v15, v15, v17, 30
	;; [unrolled: 1-line block ×3, first 2 shown]
	v_sub_nc_u32_e32 v19, 0, v16
	v_xor_b32_e32 v18, v18, v19
	v_xor_b32_e32 v15, v15, v19
	;; [unrolled: 1-line block ×3, first 2 shown]
	v_lshrrev_b32_e32 v19, 29, v12
	v_ffbh_u32_e32 v20, v18
	v_min_u32_e32 v20, 32, v20
	v_sub_nc_u32_e32 v17, 31, v20
	v_lshlrev_b32_e32 v21, 23, v20
	v_alignbit_b32 v18, v18, v15, v17
	v_alignbit_b32 v14, v15, v14, v17
	v_lshlrev_b32_e32 v15, 31, v19
	v_alignbit_b32 v17, v18, v14, 9
	v_or_b32_e32 v19, 0.5, v15
	v_lshrrev_b32_e32 v18, 9, v18
	v_or_b32_e32 v15, 0x33000000, v15
	v_ffbh_u32_e32 v22, v17
	v_sub_nc_u32_e32 v19, v19, v21
	v_min_u32_e32 v21, 32, v22
	v_or_b32_e32 v18, v18, v19
	v_not_b32_e32 v19, v21
	v_mul_f32_e32 v22, 0x3fc90fda, v18
	v_add_lshl_u32 v20, v21, v20, 23
	v_alignbit_b32 v14, v17, v14, v19
	v_fma_f32 v17, 0x3fc90fda, v18, -v22
	v_sub_nc_u32_e32 v15, v15, v20
	v_lshrrev_b32_e32 v14, 9, v14
	v_fmamk_f32 v17, v18, 0x33a22168, v17
	v_or_b32_e32 v14, v15, v14
	v_fmac_f32_e32 v17, 0x3fc90fda, v14
	v_lshrrev_b32_e32 v14, 30, v12
	v_add_f32_e32 v12, v22, v17
	v_add_nc_u32_e32 v15, v16, v14
                                        ; implicit-def: $vgpr16
	s_andn2_saveexec_b32 s4, s6
	s_cbranch_execnz .LBB13_18
	s_branch .LBB13_19
.LBB13_17:
	s_andn2_saveexec_b32 s4, s6
.LBB13_18:
	v_rndne_f32_e32 v14, v16
	v_fma_f32 v12, 0xbfc90fda, v14, |v2|
	v_cvt_i32_f32_e32 v15, v14
	v_fmamk_f32 v12, v14, 0xb3a22168, v12
	v_fmamk_f32 v12, v14, 0xa7c234c4, v12
.LBB13_19:
	s_or_b32 exec_lo, exec_lo, s4
	v_div_scale_f32 v14, null, v5, v5, 1.0
	v_div_scale_f32 v18, vcc_lo, 1.0, v5, 1.0
	v_mul_f32_e32 v21, 0x4f800000, v4
	v_rcp_f32_e32 v16, v14
	v_mul_f32_e32 v20, v6, v6
	s_mov_b32 s4, 0xb94c1982
	s_mov_b32 s5, 0x37d75334
	v_and_b32_e32 v22, 1, v15
	v_xor_b32_e32 v11, v11, v2
	v_lshlrev_b32_e32 v15, 30, v15
	v_fma_f32 v17, -v14, v16, 1.0
	v_and_b32_e32 v15, 0x80000000, v15
	v_fmac_f32_e32 v16, v17, v16
	v_mul_f32_e32 v17, v18, v16
	v_fma_f32 v19, -v14, v17, v18
	v_fmac_f32_e32 v17, v19, v16
	v_and_b32_e32 v19, 1, v13
	v_lshlrev_b32_e32 v13, 30, v13
	v_fma_f32 v14, -v14, v17, v18
	v_mul_f32_e32 v18, v12, v12
	v_cmp_eq_u32_e64 s6, 0, v19
	v_and_b32_e32 v13, 0x80000000, v13
	v_div_fmas_f32 v14, v14, v16, v17
	v_cmp_gt_f32_e32 vcc_lo, 0xf800000, v4
	v_fmaak_f32 v16, s4, v20, 0x3c0881c4
	v_fmaak_f32 v17, s5, v20, 0xbab64f3b
	v_div_fixup_f32 v5, v14, v5, 1.0
	v_cndmask_b32_e32 v4, v4, v21, vcc_lo
	v_fmaak_f32 v14, s4, v18, 0x3c0881c4
	v_fmaak_f32 v21, s5, v18, 0xbab64f3b
	;; [unrolled: 1-line block ×3, first 2 shown]
	v_mul_f32_e32 v23, v5, v5
	v_sqrt_f32_e32 v24, v4
	v_fmaak_f32 v17, v20, v17, 0x3d2aabf7
	v_fmaak_f32 v14, v18, v14, 0xbe2aaa9d
	;; [unrolled: 1-line block ×7, first 2 shown]
	v_mul_f32_e32 v16, v20, v16
	v_fmaak_f32 v25, v23, v25, 0x3ec83ea8
	v_fmaak_f32 v26, v23, v26, 0xbf205f75
	;; [unrolled: 1-line block ×4, first 2 shown]
	v_add_nc_u32_e32 v29, -1, v24
	v_fmaak_f32 v25, v23, v25, 0x3f886c1a
	v_fmaak_f32 v26, v23, v26, 0xbf3172ce
	;; [unrolled: 1-line block ×4, first 2 shown]
	v_add_nc_u32_e32 v30, 1, v24
	v_fmaak_f32 v25, v23, v25, 0x3f706d65
	v_fmaak_f32 v26, v23, v26, 0xbe8f3f52
	v_fma_f32 v31, -v29, v24, v4
	v_fmaak_f32 v27, v23, v27, 0x4112fe41
	v_fmaak_f32 v28, v23, v28, 0x40af4271
	;; [unrolled: 1-line block ×4, first 2 shown]
	v_fma_f32 v32, -v30, v24, v4
	v_cmp_ge_f32_e64 s4, 0, v31
	v_fmaak_f32 v27, v23, v27, 0x3fbcd65a
	v_fmaak_f32 v25, v23, v25, 0x3d81d209
	;; [unrolled: 1-line block ×4, first 2 shown]
	v_cndmask_b32_e64 v24, v24, v29, s4
	v_cmp_lt_f32_e64 s4, 0, v32
	v_fmaak_f32 v25, v23, v25, 0x3bbff4d0
	v_fmaak_f32 v27, v23, v27, 0x3deced66
	;; [unrolled: 1-line block ×4, first 2 shown]
	v_cndmask_b32_e64 v24, v24, v30, s4
	v_fmaak_f32 v25, v23, v25, 0x39944bb3
	v_fmaak_f32 v27, v23, v27, 0x3b904657
	;; [unrolled: 1-line block ×4, first 2 shown]
	v_mul_f32_e32 v29, 0x37800000, v24
	v_fmaak_f32 v25, v23, v25, 0x36ea79eb
	v_fmaak_f32 v27, v23, v27, 0x389e46bd
	;; [unrolled: 1-line block ×4, first 2 shown]
	v_cndmask_b32_e32 v24, v24, v29, vcc_lo
	v_fmaak_f32 v25, v23, v25, 0x33ae5496
	v_cmp_class_f32_e64 vcc_lo, v4, 0x260
	v_fmaak_f32 v27, v23, v27, 0x34f295ce
	v_fmaak_f32 v28, v23, v28, 0x359d422f
	v_mul_f32_e32 v26, v23, v26
	v_fmaak_f32 v25, v23, v25, 0x2fbbc524
	v_cndmask_b32_e32 v4, v24, v4, vcc_lo
	v_fmaak_f32 v17, v20, v17, 0xbf000004
	v_fmaak_f32 v23, v23, v28, 0x31a8fe3a
	v_div_scale_f32 v24, null, v27, v27, v26
	v_mul_f32_e32 v5, v5, v25
	v_div_scale_f32 v25, null, v4, v4, 0x3f106ebb
	v_rcp_f32_e32 v28, v24
	v_mul_f32_e32 v14, v18, v14
	v_div_scale_f32 v29, null, v23, v23, v5
	v_rcp_f32_e32 v30, v25
	v_fmaak_f32 v21, v18, v21, 0xbf000004
	v_fmac_f32_e32 v6, v6, v16
	v_fma_f32 v16, v20, v17, 1.0
	v_rcp_f32_e32 v17, v29
	v_fmac_f32_e32 v12, v12, v14
	v_fma_f32 v14, v18, v21, 1.0
	v_fma_f32 v18, -v24, v28, 1.0
	v_div_scale_f32 v31, vcc_lo, v26, v27, v26
	v_fma_f32 v21, -v25, v30, 1.0
	v_div_scale_f32 v20, s4, 0x3f106ebb, v4, 0x3f106ebb
	v_fmac_f32_e32 v28, v18, v28
	v_fma_f32 v18, -v29, v17, 1.0
	v_fmac_f32_e32 v30, v21, v30
	v_div_scale_f32 v21, s5, v5, v23, v5
	v_mul_f32_e32 v32, v31, v28
	v_fmac_f32_e32 v17, v18, v17
	v_mul_f32_e32 v18, v20, v30
	v_cndmask_b32_e64 v6, v16, v6, s6
	v_cmp_eq_u32_e64 s6, 0, v22
	v_fma_f32 v16, -v24, v32, v31
	v_mul_f32_e32 v19, v21, v17
	v_fma_f32 v33, -v25, v18, v20
	v_xor3_b32 v6, v11, v13, v6
	v_cndmask_b32_e64 v12, -v12, v14, s6
	v_fmac_f32_e32 v32, v16, v28
	v_fma_f32 v14, -v29, v19, v21
	v_fmac_f32_e32 v18, v33, v30
	v_cmp_class_f32_e64 s6, v2, 0x1f8
	v_xor_b32_e32 v12, v15, v12
	v_fma_f32 v2, -v24, v32, v31
	v_fmac_f32_e32 v19, v14, v17
	v_fma_f32 v11, -v25, v18, v20
	v_cndmask_b32_e64 v6, 0x7fc00000, v6, s6
	v_cndmask_b32_e64 v12, 0x7fc00000, v12, s6
	v_div_fmas_f32 v2, v2, v28, v32
	v_fma_f32 v13, -v29, v19, v21
	s_mov_b32 vcc_lo, s4
	v_div_fmas_f32 v11, v11, v30, v18
	s_mov_b32 vcc_lo, s5
	v_div_fixup_f32 v2, v2, v27, v26
	v_div_fmas_f32 v13, v13, v17, v19
	v_div_fixup_f32 v4, v11, v4, 0x3f106ebb
	v_add_f32_e32 v2, 1.0, v2
	v_div_fixup_f32 v5, v13, v23, v5
	v_mul_f32_e32 v5, v5, v12
	v_fma_f32 v2, v2, v6, -v5
	v_mul_f32_e32 v4, v4, v2
.LBB13_20:
	s_or_b32 exec_lo, exec_lo, s11
.LBB13_21:
	s_or_b32 exec_lo, exec_lo, s10
	v_mov_b32_e32 v2, v4
.LBB13_22:
	s_or_b32 exec_lo, exec_lo, s7
	s_mov_b32 s7, exec_lo
	v_cmpx_neq_f32_e64 0x7f800000, |v7|
	s_cbranch_execz .LBB13_44
; %bb.23:
	v_mov_b32_e32 v3, 0
	s_mov_b32 s10, exec_lo
	v_cmpx_nlt_f32_e32 0x42cfc8b4, v7
	s_cbranch_execz .LBB13_43
; %bb.24:
	s_mov_b32 s4, exec_lo
	v_cmpx_ngt_f32_e32 0xc005c28f, v7
	s_xor_b32 s6, exec_lo, s4
	s_cbranch_execz .LBB13_32
; %bb.25:
	v_cmp_nle_f32_e64 s11, 0x4005c28f, v7
	v_mov_b32_e32 v3, 0
	s_mov_b32 s12, exec_lo
	s_mov_b32 s4, s11
	v_cmpx_le_f32_e32 0x4005c28f, v7
	s_cbranch_execz .LBB13_27
; %bb.26:
	v_mul_f32_e32 v3, 0x4f800000, v7
	v_cmp_gt_f32_e32 vcc_lo, 0xf800000, v7
	v_cndmask_b32_e32 v3, v7, v3, vcc_lo
	v_sqrt_f32_e32 v4, v3
	v_add_nc_u32_e32 v5, -1, v4
	v_add_nc_u32_e32 v6, 1, v4
	v_fma_f32 v11, -v5, v4, v3
	v_fma_f32 v12, -v6, v4, v3
	v_cmp_ge_f32_e64 s4, 0, v11
	v_cndmask_b32_e64 v4, v4, v5, s4
	v_cmp_lt_f32_e64 s4, 0, v12
	v_cndmask_b32_e64 v4, v4, v6, s4
	v_mul_f32_e32 v5, 0x37800000, v4
	v_cndmask_b32_e32 v4, v4, v5, vcc_lo
	v_cmp_class_f32_e64 vcc_lo, v3, 0x260
	v_add_f32_e32 v5, v7, v7
	v_cndmask_b32_e32 v3, v4, v3, vcc_lo
	v_mul_f32_e32 v4, v5, v3
	v_div_scale_f32 v5, null, 0x40400000, 0x40400000, v4
	v_div_scale_f32 v12, vcc_lo, v4, 0x40400000, v4
	v_rcp_f32_e32 v6, v5
	v_fma_f32 v11, -v5, v6, 1.0
	v_fmac_f32_e32 v6, v11, v6
	v_mul_f32_e32 v11, v12, v6
	v_fma_f32 v13, -v5, v11, v12
	v_fmac_f32_e32 v11, v13, v6
	v_fma_f32 v5, -v5, v11, v12
	v_div_fmas_f32 v5, v5, v6, v11
	v_div_fixup_f32 v4, v5, 0x40400000, v4
	v_div_scale_f32 v5, null, v4, v4, 1.0
	v_div_scale_f32 v12, vcc_lo, 1.0, v4, 1.0
	v_mul_f32_e32 v16, 0x3fb8aa3b, v4
	v_rcp_f32_e32 v6, v5
	v_fma_f32 v19, 0x3fb8aa3b, v4, -v16
	v_rndne_f32_e32 v20, v16
	v_sub_f32_e32 v16, v16, v20
	v_fma_f32 v11, -v5, v6, 1.0
	v_fmac_f32_e32 v6, v11, v6
	v_mul_f32_e32 v11, v12, v6
	v_fma_f32 v13, -v5, v11, v12
	v_fmac_f32_e32 v11, v13, v6
	v_fma_f32 v5, -v5, v11, v12
	v_mul_f32_e32 v12, 0x4f800000, v3
	v_div_fmas_f32 v5, v5, v6, v11
	v_cmp_gt_f32_e32 vcc_lo, 0xf800000, v3
	v_div_fixup_f32 v5, v5, v4, 1.0
	v_cndmask_b32_e32 v3, v3, v12, vcc_lo
	v_fmaak_f32 v6, 0, v5, 0x3f114de0
	v_fmaak_f32 v11, 0, v5, 0x3eb16d71
	v_sqrt_f32_e32 v12, v3
	v_fmaak_f32 v6, v5, v6, 0x416c19a0
	v_fmaak_f32 v11, v5, v11, 0x41401f1c
	;; [unrolled: 1-line block ×4, first 2 shown]
	v_add_nc_u32_e32 v13, -1, v12
	v_add_nc_u32_e32 v14, 1, v12
	v_fmaak_f32 v6, v5, v6, 0x4331516e
	v_fmaak_f32 v11, v5, v11, 0x432816d7
	v_fma_f32 v17, -v13, v12, v3
	v_fma_f32 v18, -v14, v12, v3
	v_fmaak_f32 v6, v5, v6, 0x43243c15
	v_fmaak_f32 v11, v5, v11, 0x431fc1a3
	v_cmp_ge_f32_e64 s4, 0, v17
	v_fmamk_f32 v17, v4, 0x32a5705f, v19
	v_cmp_lt_f32_e64 s5, 0, v18
	v_fmaak_f32 v6, v5, v6, 0x428ef4a7
	v_fmaak_f32 v11, v5, v11, 0x428d127a
	v_cndmask_b32_e64 v12, v12, v13, s4
	v_cvt_i32_f32_e32 v18, v20
	v_fmaak_f32 v6, v5, v6, 0x416188dd
	v_fmaak_f32 v11, v5, v11, 0x41606c6b
	v_cndmask_b32_e64 v12, v12, v14, s5
	v_fma_f32 v6, v5, v6, 1.0
	v_fma_f32 v5, v5, v11, 1.0
	v_div_scale_f32 v11, null, v6, v6, v5
	v_div_scale_f32 v19, s4, v5, v6, v5
	v_rcp_f32_e32 v15, v11
	v_fma_f32 v13, -v11, v15, 1.0
	v_fmac_f32_e32 v15, v13, v15
	v_add_f32_e32 v13, v16, v17
	v_mul_f32_e32 v16, 0x37800000, v12
	v_mul_f32_e32 v14, v19, v15
	v_exp_f32_e32 v13, v13
	v_cndmask_b32_e32 v12, v12, v16, vcc_lo
	v_cmp_class_f32_e64 vcc_lo, v3, 0x260
	v_fma_f32 v17, -v11, v14, v19
	v_cndmask_b32_e32 v3, v12, v3, vcc_lo
	v_cmp_ngt_f32_e32 vcc_lo, 0xc2ce8ed0, v4
	v_fmac_f32_e32 v14, v17, v15
	v_ldexp_f32 v13, v13, v18
	v_add_f32_e32 v3, v3, v3
	v_fma_f32 v11, -v11, v14, v19
	v_cndmask_b32_e32 v12, 0, v13, vcc_lo
	s_mov_b32 vcc_lo, s4
	s_andn2_b32 s4, s11, exec_lo
	v_div_fmas_f32 v11, v11, v15, v14
	v_cmp_nlt_f32_e32 vcc_lo, 0x42b17218, v4
	v_div_fixup_f32 v5, v11, v6, v5
	v_cndmask_b32_e32 v4, 0x7f800000, v12, vcc_lo
	v_mul_f32_e32 v3, v3, v4
	v_mul_f32_e32 v4, 0x3f106ebb, v5
	v_div_scale_f32 v5, null, v3, v3, v4
	v_div_scale_f32 v12, vcc_lo, v4, v3, v4
	v_rcp_f32_e32 v6, v5
	v_fma_f32 v11, -v5, v6, 1.0
	v_fmac_f32_e32 v6, v11, v6
	v_mul_f32_e32 v11, v12, v6
	v_fma_f32 v13, -v5, v11, v12
	v_fmac_f32_e32 v11, v13, v6
	v_fma_f32 v5, -v5, v11, v12
	v_div_fmas_f32 v5, v5, v6, v11
	v_cmp_nlt_f32_e32 vcc_lo, 0x41052018, v7
	v_div_fixup_f32 v3, v5, v3, v4
	s_and_b32 s5, vcc_lo, exec_lo
	s_or_b32 s4, s4, s5
.LBB13_27:
	s_or_b32 exec_lo, exec_lo, s12
	s_and_saveexec_b32 s5, s4
	s_cbranch_execz .LBB13_31
; %bb.28:
	v_mul_f32_e32 v5, v7, v7
	v_mov_b32_e32 v11, 1.0
	v_mov_b32_e32 v12, 1.0
	v_mov_b32_e32 v13, v7
	v_mov_b32_e32 v4, v7
	v_mul_f32_e32 v6, v7, v5
	v_mov_b32_e32 v5, 1.0
	s_mov_b32 s12, 0
.LBB13_29:                              ; =>This Inner Loop Header: Depth=1
	v_mul_f32_e32 v11, v6, v11
	v_add_f32_e32 v12, 1.0, v12
	v_mul_f32_e32 v13, v6, v13
	v_div_scale_f32 v14, null, v12, v12, v11
	v_div_scale_f32 v17, vcc_lo, v11, v12, v11
	v_add_f32_e32 v16, 1.0, v12
	v_rcp_f32_e32 v15, v14
	v_div_scale_f32 v18, null, v16, v16, v13
	v_fma_f32 v19, -v14, v15, 1.0
	v_fmac_f32_e32 v15, v19, v15
	v_mul_f32_e32 v19, v17, v15
	v_fma_f32 v20, -v14, v19, v17
	v_fmac_f32_e32 v19, v20, v15
	v_fma_f32 v14, -v14, v19, v17
	v_div_fmas_f32 v14, v14, v15, v19
	v_div_scale_f32 v17, vcc_lo, v13, v16, v13
	v_div_fixup_f32 v11, v14, v12, v11
	v_rcp_f32_e32 v14, v18
	v_div_scale_f32 v12, null, v16, v16, v11
	v_div_scale_f32 v20, s4, v11, v16, v11
	v_rcp_f32_e32 v15, v12
	v_fma_f32 v19, -v18, v14, 1.0
	v_fmac_f32_e32 v14, v19, v14
	v_fma_f32 v19, -v12, v15, 1.0
	v_fmac_f32_e32 v15, v19, v15
	v_mul_f32_e32 v19, v17, v14
	v_mul_f32_e32 v21, v20, v15
	v_fma_f32 v22, -v18, v19, v17
	v_fma_f32 v23, -v12, v21, v20
	v_fmac_f32_e32 v19, v22, v14
	v_fmac_f32_e32 v21, v23, v15
	v_fma_f32 v17, -v18, v19, v17
	v_fma_f32 v12, -v12, v21, v20
	v_div_fmas_f32 v14, v17, v14, v19
	s_mov_b32 vcc_lo, s4
	v_div_fmas_f32 v15, v12, v15, v21
	v_add_f32_e32 v12, 1.0, v16
	v_div_fixup_f32 v13, v14, v16, v13
	v_div_fixup_f32 v11, v15, v16, v11
	v_div_scale_f32 v14, null, v12, v12, v13
	v_div_scale_f32 v18, vcc_lo, v13, v12, v13
	v_add_f32_e32 v5, v5, v11
	v_rcp_f32_e32 v16, v14
	v_div_scale_f32 v15, null, v5, v5, v11
	v_rcp_f32_e32 v17, v15
	v_fma_f32 v19, -v14, v16, 1.0
	v_fmac_f32_e32 v16, v19, v16
	v_div_scale_f32 v19, s4, v11, v5, v11
	v_fma_f32 v20, -v15, v17, 1.0
	v_fmac_f32_e32 v17, v20, v17
	v_mul_f32_e32 v20, v18, v16
	v_mul_f32_e32 v21, v19, v17
	v_fma_f32 v22, -v14, v20, v18
	v_fma_f32 v23, -v15, v21, v19
	v_fmac_f32_e32 v20, v22, v16
	v_fmac_f32_e32 v21, v23, v17
	v_fma_f32 v14, -v14, v20, v18
	v_fma_f32 v15, -v15, v21, v19
	v_div_fmas_f32 v14, v14, v16, v20
	s_mov_b32 vcc_lo, s4
	v_div_fmas_f32 v15, v15, v17, v21
	v_div_fixup_f32 v13, v14, v12, v13
	v_div_fixup_f32 v15, v15, v5, v11
	v_add_f32_e32 v4, v4, v13
	v_cmp_nlt_f32_e64 s4, 0x34000000, |v15|
	s_or_b32 s12, s4, s12
	s_andn2_b32 exec_lo, exec_lo, s12
	s_cbranch_execnz .LBB13_29
; %bb.30:
	s_or_b32 exec_lo, exec_lo, s12
	v_mul_f32_e32 v4, 0xbe8483fa, v4
	v_fmamk_f32 v4, v5, 0x3eb5c63d, v4
	v_cndmask_b32_e64 v3, v3, v4, s11
.LBB13_31:
	s_or_b32 exec_lo, exec_lo, s5
.LBB13_32:
	s_andn2_saveexec_b32 s11, s6
	s_cbranch_execz .LBB13_42
; %bb.33:
	v_mul_f32_e32 v3, 0xcf800000, v7
	v_cmp_lt_f32_e32 vcc_lo, 0x8f800000, v7
	v_cndmask_b32_e64 v3, -v7, v3, vcc_lo
	v_sqrt_f32_e32 v4, v3
	v_add_nc_u32_e32 v5, -1, v4
	v_add_nc_u32_e32 v6, 1, v4
	v_fma_f32 v11, -v5, v4, v3
	v_fma_f32 v12, -v6, v4, v3
	v_cmp_ge_f32_e64 s4, 0, v11
	v_cndmask_b32_e64 v4, v4, v5, s4
	v_cmp_lt_f32_e64 s4, 0, v12
	v_cndmask_b32_e64 v4, v4, v6, s4
	v_mul_f32_e32 v5, 0x37800000, v4
	v_cndmask_b32_e32 v4, v4, v5, vcc_lo
	v_cmp_class_f32_e64 vcc_lo, v3, 0x260
	v_mul_f32_e32 v5, -2.0, v7
	v_cndmask_b32_e32 v4, v4, v3, vcc_lo
	v_mul_f32_e32 v3, v5, v4
	v_div_scale_f32 v5, null, 0x40400000, 0x40400000, v3
	v_rcp_f32_e32 v6, v5
	v_fma_f32 v7, -v5, v6, 1.0
	v_fmac_f32_e32 v6, v7, v6
	v_div_scale_f32 v7, vcc_lo, v3, 0x40400000, v3
	v_mul_f32_e32 v11, v7, v6
	v_fma_f32 v12, -v5, v11, v7
	v_fmac_f32_e32 v11, v12, v6
                                        ; implicit-def: $vgpr12
	v_fma_f32 v5, -v5, v11, v7
	v_div_fmas_f32 v5, v5, v6, v11
                                        ; implicit-def: $vgpr6
	v_div_fixup_f32 v5, v5, 0x40400000, v3
	v_add_f32_e32 v3, 0x3f490fdb, v5
	v_and_b32_e32 v7, 0x7fffffff, v3
	v_cmp_ngt_f32_e64 s6, 0x48000000, |v3|
	v_lshrrev_b32_e32 v13, 23, v7
	s_and_saveexec_b32 s4, s6
	s_xor_b32 s12, exec_lo, s4
	s_cbranch_execz .LBB13_35
; %bb.34:
	s_mov_b32 s4, 0x7fffff
	v_mov_b32_e32 v15, 0
	v_and_or_b32 v6, v7, s4, 0x800000
	v_mad_u64_u32 v[11:12], null, 0xfe5163ab, v6, 0
	v_mov_b32_e32 v14, v12
	v_add_nc_u32_e32 v12, 0xffffff88, v13
	v_mad_u64_u32 v[16:17], null, 0x3c439041, v6, v[14:15]
	v_cmp_lt_u32_e32 vcc_lo, 63, v12
	v_cndmask_b32_e64 v21, 0, 0xffffffc0, vcc_lo
	v_mov_b32_e32 v14, v17
	v_add_nc_u32_e32 v12, v21, v12
	v_mad_u64_u32 v[17:18], null, 0xdb629599, v6, v[14:15]
	v_cmp_lt_u32_e64 s4, 31, v12
	v_mov_b32_e32 v14, v18
	v_cndmask_b32_e64 v22, 0, 0xffffffe0, s4
	v_cndmask_b32_e32 v11, v17, v11, vcc_lo
	v_mad_u64_u32 v[18:19], null, 0xf534ddc0, v6, v[14:15]
	v_add_nc_u32_e32 v12, v22, v12
	v_cmp_lt_u32_e64 s5, 31, v12
	v_mov_b32_e32 v14, v19
	v_mad_u64_u32 v[19:20], null, 0xfc2757d1, v6, v[14:15]
	v_mov_b32_e32 v14, v20
	v_mad_u64_u32 v[20:21], null, 0x4e441529, v6, v[14:15]
	v_mov_b32_e32 v14, v21
	v_cndmask_b32_e32 v21, v20, v18, vcc_lo
	v_mad_u64_u32 v[14:15], null, 0xa2f9836e, v6, v[14:15]
	v_cndmask_b32_e64 v6, 0, 0xffffffe0, s5
	v_add_nc_u32_e32 v6, v6, v12
	v_cndmask_b32_e32 v14, v14, v19, vcc_lo
	v_cndmask_b32_e32 v15, v15, v20, vcc_lo
	;; [unrolled: 1-line block ×4, first 2 shown]
	v_sub_nc_u32_e32 v18, 32, v6
	v_cndmask_b32_e64 v16, v14, v21, s4
	v_cndmask_b32_e64 v14, v15, v14, s4
	;; [unrolled: 1-line block ×4, first 2 shown]
	v_cmp_eq_u32_e32 vcc_lo, 0, v6
	v_cndmask_b32_e64 v11, v12, v11, s4
	v_cndmask_b32_e64 v14, v14, v16, s5
	;; [unrolled: 1-line block ×5, first 2 shown]
	v_alignbit_b32 v20, v14, v16, v18
	v_alignbit_b32 v17, v16, v15, v18
	;; [unrolled: 1-line block ×3, first 2 shown]
	v_cndmask_b32_e32 v6, v20, v14, vcc_lo
	v_cndmask_b32_e32 v12, v17, v16, vcc_lo
	;; [unrolled: 1-line block ×3, first 2 shown]
	v_bfe_u32 v14, v6, 29, 1
	v_alignbit_b32 v16, v6, v12, 30
	v_alignbit_b32 v12, v12, v15, 30
	v_alignbit_b32 v11, v15, v11, 30
	v_sub_nc_u32_e32 v17, 0, v14
	v_xor_b32_e32 v16, v16, v17
	v_xor_b32_e32 v12, v12, v17
	;; [unrolled: 1-line block ×3, first 2 shown]
	v_lshrrev_b32_e32 v17, 29, v6
	v_ffbh_u32_e32 v18, v16
	v_min_u32_e32 v18, 32, v18
	v_sub_nc_u32_e32 v15, 31, v18
	v_lshlrev_b32_e32 v19, 23, v18
	v_alignbit_b32 v16, v16, v12, v15
	v_alignbit_b32 v11, v12, v11, v15
	v_lshlrev_b32_e32 v12, 31, v17
	v_alignbit_b32 v15, v16, v11, 9
	v_or_b32_e32 v17, 0.5, v12
	v_lshrrev_b32_e32 v16, 9, v16
	v_or_b32_e32 v12, 0x33000000, v12
	v_ffbh_u32_e32 v20, v15
	v_sub_nc_u32_e32 v17, v17, v19
	v_min_u32_e32 v19, 32, v20
	v_or_b32_e32 v16, v16, v17
	v_not_b32_e32 v17, v19
	v_mul_f32_e32 v20, 0x3fc90fda, v16
	v_add_lshl_u32 v18, v19, v18, 23
	v_alignbit_b32 v11, v15, v11, v17
	v_fma_f32 v15, 0x3fc90fda, v16, -v20
	v_sub_nc_u32_e32 v12, v12, v18
	v_lshrrev_b32_e32 v11, 9, v11
	v_fmamk_f32 v15, v16, 0x33a22168, v15
	v_or_b32_e32 v11, v12, v11
	v_fmac_f32_e32 v15, 0x3fc90fda, v11
	v_lshrrev_b32_e32 v11, 30, v6
	v_add_f32_e32 v6, v20, v15
	v_add_nc_u32_e32 v12, v14, v11
	s_or_saveexec_b32 s4, s12
	v_mul_f32_e64 v15, 0x3f22f983, |v3|
	s_xor_b32 exec_lo, exec_lo, s4
	s_branch .LBB13_36
.LBB13_35:
	s_or_saveexec_b32 s4, s12
	v_mul_f32_e64 v15, 0x3f22f983, |v3|
	s_xor_b32 exec_lo, exec_lo, s4
.LBB13_36:
	v_rndne_f32_e32 v11, v15
	v_fma_f32 v6, 0xbfc90fda, v11, |v3|
	v_cvt_i32_f32_e32 v12, v11
	v_fmamk_f32 v6, v11, 0xb3a22168, v6
	v_fmamk_f32 v6, v11, 0xa7c234c4, v6
; %bb.37:
	s_or_b32 exec_lo, exec_lo, s4
                                        ; implicit-def: $vgpr14
                                        ; implicit-def: $vgpr11
	s_and_saveexec_b32 s4, s6
	s_xor_b32 s6, exec_lo, s4
	s_cbranch_execz .LBB13_39
; %bb.38:
	s_mov_b32 s4, 0x7fffff
	v_mov_b32_e32 v16, 0
	v_and_or_b32 v11, v7, s4, 0x800000
	v_add_nc_u32_e32 v13, 0xffffff88, v13
	v_mad_u64_u32 v[14:15], null, 0xfe5163ab, v11, 0
	v_cmp_lt_u32_e32 vcc_lo, 63, v13
	v_cndmask_b32_e64 v22, 0, 0xffffffc0, vcc_lo
	v_mad_u64_u32 v[17:18], null, 0x3c439041, v11, v[15:16]
	v_add_nc_u32_e32 v13, v22, v13
	v_mov_b32_e32 v15, v18
	v_cmp_lt_u32_e64 s4, 31, v13
	v_mad_u64_u32 v[18:19], null, 0xdb629599, v11, v[15:16]
	v_cndmask_b32_e64 v23, 0, 0xffffffe0, s4
	v_add_nc_u32_e32 v13, v23, v13
	v_mov_b32_e32 v15, v19
	v_cndmask_b32_e32 v14, v18, v14, vcc_lo
	v_cmp_lt_u32_e64 s5, 31, v13
	v_mad_u64_u32 v[19:20], null, 0xf534ddc0, v11, v[15:16]
	v_mov_b32_e32 v15, v20
	v_mad_u64_u32 v[20:21], null, 0xfc2757d1, v11, v[15:16]
	v_mov_b32_e32 v15, v21
	;; [unrolled: 2-line block ×3, first 2 shown]
	v_cndmask_b32_e32 v22, v21, v19, vcc_lo
	v_mad_u64_u32 v[15:16], null, 0xa2f9836e, v11, v[15:16]
	v_cndmask_b32_e64 v11, 0, 0xffffffe0, s5
	v_add_nc_u32_e32 v11, v11, v13
	v_cndmask_b32_e32 v15, v15, v20, vcc_lo
	v_cndmask_b32_e32 v16, v16, v21, vcc_lo
	;; [unrolled: 1-line block ×4, first 2 shown]
	v_sub_nc_u32_e32 v19, 32, v11
	v_cndmask_b32_e64 v17, v15, v22, s4
	v_cndmask_b32_e64 v15, v16, v15, s4
	;; [unrolled: 1-line block ×4, first 2 shown]
	v_cmp_eq_u32_e32 vcc_lo, 0, v11
	v_cndmask_b32_e64 v13, v13, v14, s4
	v_cndmask_b32_e64 v15, v15, v17, s5
	;; [unrolled: 1-line block ×5, first 2 shown]
	v_alignbit_b32 v21, v15, v17, v19
	v_alignbit_b32 v18, v17, v16, v19
	;; [unrolled: 1-line block ×3, first 2 shown]
	v_cndmask_b32_e32 v11, v21, v15, vcc_lo
	v_cndmask_b32_e32 v14, v18, v17, vcc_lo
	v_cndmask_b32_e32 v16, v19, v16, vcc_lo
	v_bfe_u32 v15, v11, 29, 1
	v_alignbit_b32 v17, v11, v14, 30
	v_alignbit_b32 v14, v14, v16, 30
	v_alignbit_b32 v13, v16, v13, 30
	v_sub_nc_u32_e32 v18, 0, v15
	v_xor_b32_e32 v17, v17, v18
	v_xor_b32_e32 v14, v14, v18
	;; [unrolled: 1-line block ×3, first 2 shown]
	v_lshrrev_b32_e32 v18, 29, v11
	v_ffbh_u32_e32 v19, v17
	v_min_u32_e32 v19, 32, v19
	v_sub_nc_u32_e32 v16, 31, v19
	v_lshlrev_b32_e32 v20, 23, v19
	v_alignbit_b32 v17, v17, v14, v16
	v_alignbit_b32 v13, v14, v13, v16
	v_lshlrev_b32_e32 v14, 31, v18
	v_alignbit_b32 v16, v17, v13, 9
	v_or_b32_e32 v18, 0.5, v14
	v_lshrrev_b32_e32 v17, 9, v17
	v_or_b32_e32 v14, 0x33000000, v14
	v_ffbh_u32_e32 v21, v16
	v_sub_nc_u32_e32 v18, v18, v20
	v_min_u32_e32 v20, 32, v21
	v_or_b32_e32 v17, v17, v18
	v_not_b32_e32 v18, v20
	v_mul_f32_e32 v21, 0x3fc90fda, v17
	v_add_lshl_u32 v19, v20, v19, 23
	v_alignbit_b32 v13, v16, v13, v18
	v_fma_f32 v16, 0x3fc90fda, v17, -v21
	v_sub_nc_u32_e32 v14, v14, v19
	v_lshrrev_b32_e32 v13, 9, v13
	v_fmamk_f32 v16, v17, 0x33a22168, v16
	v_or_b32_e32 v13, v14, v13
	v_fmac_f32_e32 v16, 0x3fc90fda, v13
	v_lshrrev_b32_e32 v13, 30, v11
	v_add_f32_e32 v11, v21, v16
	v_add_nc_u32_e32 v14, v15, v13
                                        ; implicit-def: $vgpr15
	s_andn2_saveexec_b32 s4, s6
	s_cbranch_execnz .LBB13_40
	s_branch .LBB13_41
.LBB13_39:
	s_andn2_saveexec_b32 s4, s6
.LBB13_40:
	v_rndne_f32_e32 v13, v15
	v_fma_f32 v11, 0xbfc90fda, v13, |v3|
	v_cvt_i32_f32_e32 v14, v13
	v_fmamk_f32 v11, v13, 0xb3a22168, v11
	v_fmamk_f32 v11, v13, 0xa7c234c4, v11
.LBB13_41:
	s_or_b32 exec_lo, exec_lo, s4
	v_div_scale_f32 v13, null, v5, v5, 1.0
	v_div_scale_f32 v17, vcc_lo, 1.0, v5, 1.0
	v_mul_f32_e32 v20, 0x4f800000, v4
	v_rcp_f32_e32 v15, v13
	v_mul_f32_e32 v19, v6, v6
	s_mov_b32 s4, 0xb94c1982
	s_mov_b32 s5, 0x37d75334
	v_and_b32_e32 v21, 1, v14
	v_xor_b32_e32 v7, v7, v3
	v_lshlrev_b32_e32 v14, 30, v14
	v_fma_f32 v16, -v13, v15, 1.0
	v_and_b32_e32 v14, 0x80000000, v14
	v_fmac_f32_e32 v15, v16, v15
	v_mul_f32_e32 v16, v17, v15
	v_fma_f32 v18, -v13, v16, v17
	v_fmac_f32_e32 v16, v18, v15
	v_and_b32_e32 v18, 1, v12
	v_lshlrev_b32_e32 v12, 30, v12
	v_fma_f32 v13, -v13, v16, v17
	v_mul_f32_e32 v17, v11, v11
	v_cmp_eq_u32_e64 s6, 0, v18
	v_and_b32_e32 v12, 0x80000000, v12
	v_div_fmas_f32 v13, v13, v15, v16
	v_cmp_gt_f32_e32 vcc_lo, 0xf800000, v4
	v_fmaak_f32 v15, s4, v19, 0x3c0881c4
	v_fmaak_f32 v16, s5, v19, 0xbab64f3b
	v_div_fixup_f32 v5, v13, v5, 1.0
	v_cndmask_b32_e32 v4, v4, v20, vcc_lo
	v_fmaak_f32 v13, s4, v17, 0x3c0881c4
	v_fmaak_f32 v20, s5, v17, 0xbab64f3b
	;; [unrolled: 1-line block ×3, first 2 shown]
	v_mul_f32_e32 v22, v5, v5
	v_sqrt_f32_e32 v23, v4
	v_fmaak_f32 v16, v19, v16, 0x3d2aabf7
	v_fmaak_f32 v13, v17, v13, 0xbe2aaa9d
	;; [unrolled: 1-line block ×7, first 2 shown]
	v_mul_f32_e32 v15, v19, v15
	v_fmaak_f32 v24, v22, v24, 0x3ec83ea8
	v_fmaak_f32 v25, v22, v25, 0xbf205f75
	;; [unrolled: 1-line block ×4, first 2 shown]
	v_add_nc_u32_e32 v28, -1, v23
	v_fmaak_f32 v24, v22, v24, 0x3f886c1a
	v_fmaak_f32 v25, v22, v25, 0xbf3172ce
	;; [unrolled: 1-line block ×4, first 2 shown]
	v_add_nc_u32_e32 v29, 1, v23
	v_fmaak_f32 v24, v22, v24, 0x3f706d65
	v_fmaak_f32 v25, v22, v25, 0xbe8f3f52
	v_fma_f32 v30, -v28, v23, v4
	v_fmaak_f32 v26, v22, v26, 0x4112fe41
	v_fmaak_f32 v27, v22, v27, 0x40af4271
	;; [unrolled: 1-line block ×4, first 2 shown]
	v_fma_f32 v31, -v29, v23, v4
	v_cmp_ge_f32_e64 s4, 0, v30
	v_fmaak_f32 v26, v22, v26, 0x3fbcd65a
	v_fmaak_f32 v24, v22, v24, 0x3d81d209
	;; [unrolled: 1-line block ×4, first 2 shown]
	v_cndmask_b32_e64 v23, v23, v28, s4
	v_cmp_lt_f32_e64 s4, 0, v31
	v_fmaak_f32 v24, v22, v24, 0x3bbff4d0
	v_fmaak_f32 v26, v22, v26, 0x3deced66
	;; [unrolled: 1-line block ×4, first 2 shown]
	v_cndmask_b32_e64 v23, v23, v29, s4
	v_fmaak_f32 v24, v22, v24, 0x39944bb3
	v_fmaak_f32 v26, v22, v26, 0x3b904657
	;; [unrolled: 1-line block ×4, first 2 shown]
	v_mul_f32_e32 v28, 0x37800000, v23
	v_fmaak_f32 v24, v22, v24, 0x36ea79eb
	v_fmaak_f32 v26, v22, v26, 0x389e46bd
	;; [unrolled: 1-line block ×4, first 2 shown]
	v_cndmask_b32_e32 v23, v23, v28, vcc_lo
	v_fmaak_f32 v24, v22, v24, 0x33ae5496
	v_cmp_class_f32_e64 vcc_lo, v4, 0x260
	v_fmaak_f32 v26, v22, v26, 0x34f295ce
	v_fmaak_f32 v27, v22, v27, 0x359d422f
	v_mul_f32_e32 v25, v22, v25
	v_fmaak_f32 v24, v22, v24, 0x2fbbc524
	v_cndmask_b32_e32 v4, v23, v4, vcc_lo
	v_fmaak_f32 v16, v19, v16, 0xbf000004
	v_fmaak_f32 v22, v22, v27, 0x31a8fe3a
	v_div_scale_f32 v23, null, v26, v26, v25
	v_mul_f32_e32 v5, v5, v24
	v_div_scale_f32 v24, null, v4, v4, 0x3f106ebb
	v_rcp_f32_e32 v27, v23
	v_mul_f32_e32 v13, v17, v13
	v_div_scale_f32 v28, null, v22, v22, v5
	v_rcp_f32_e32 v29, v24
	v_fmaak_f32 v20, v17, v20, 0xbf000004
	v_fmac_f32_e32 v6, v6, v15
	v_fma_f32 v15, v19, v16, 1.0
	v_rcp_f32_e32 v16, v28
	v_fmac_f32_e32 v11, v11, v13
	v_fma_f32 v13, v17, v20, 1.0
	v_fma_f32 v17, -v23, v27, 1.0
	v_div_scale_f32 v30, vcc_lo, v25, v26, v25
	v_fma_f32 v20, -v24, v29, 1.0
	v_div_scale_f32 v19, s4, 0x3f106ebb, v4, 0x3f106ebb
	v_fmac_f32_e32 v27, v17, v27
	v_fma_f32 v17, -v28, v16, 1.0
	v_fmac_f32_e32 v29, v20, v29
	v_div_scale_f32 v20, s5, v5, v22, v5
	v_mul_f32_e32 v31, v30, v27
	v_fmac_f32_e32 v16, v17, v16
	v_mul_f32_e32 v17, v19, v29
	v_cndmask_b32_e64 v6, v15, v6, s6
	v_cmp_eq_u32_e64 s6, 0, v21
	v_fma_f32 v15, -v23, v31, v30
	v_mul_f32_e32 v18, v20, v16
	v_fma_f32 v32, -v24, v17, v19
	v_xor3_b32 v6, v7, v12, v6
	v_cndmask_b32_e64 v11, -v11, v13, s6
	v_fmac_f32_e32 v31, v15, v27
	v_fma_f32 v13, -v28, v18, v20
	v_fmac_f32_e32 v17, v32, v29
	v_cmp_class_f32_e64 s6, v3, 0x1f8
	v_xor_b32_e32 v11, v14, v11
	v_fma_f32 v3, -v23, v31, v30
	v_fmac_f32_e32 v18, v13, v16
	v_fma_f32 v7, -v24, v17, v19
	v_cndmask_b32_e64 v6, 0x7fc00000, v6, s6
	v_cndmask_b32_e64 v11, 0x7fc00000, v11, s6
	v_div_fmas_f32 v3, v3, v27, v31
	v_fma_f32 v12, -v28, v18, v20
	s_mov_b32 vcc_lo, s4
	v_div_fmas_f32 v7, v7, v29, v17
	s_mov_b32 vcc_lo, s5
	v_div_fixup_f32 v3, v3, v26, v25
	v_div_fmas_f32 v12, v12, v16, v18
	v_div_fixup_f32 v4, v7, v4, 0x3f106ebb
	v_add_f32_e32 v3, 1.0, v3
	v_div_fixup_f32 v5, v12, v22, v5
	v_mul_f32_e32 v5, v5, v11
	v_fma_f32 v3, v3, v6, -v5
	v_mul_f32_e32 v3, v4, v3
.LBB13_42:
	s_or_b32 exec_lo, exec_lo, s11
.LBB13_43:
	s_or_b32 exec_lo, exec_lo, s10
.LBB13_44:
	s_or_b32 exec_lo, exec_lo, s7
	v_mov_b32_e32 v5, 0x7fc00000
	v_mov_b32_e32 v4, 0x7fc00000
	s_mov_b32 s7, exec_lo
	v_cmpx_neq_f32_e64 0x7f800000, |v8|
	s_cbranch_execz .LBB13_66
; %bb.45:
	v_mov_b32_e32 v4, 0
	s_mov_b32 s10, exec_lo
	v_cmpx_nlt_f32_e32 0x42cfc8b4, v8
	s_cbranch_execz .LBB13_65
; %bb.46:
	s_mov_b32 s4, exec_lo
	v_cmpx_ngt_f32_e32 0xc005c28f, v8
	s_xor_b32 s6, exec_lo, s4
	s_cbranch_execz .LBB13_54
; %bb.47:
	v_cmp_nle_f32_e64 s11, 0x4005c28f, v8
	v_mov_b32_e32 v4, 0
	s_mov_b32 s12, exec_lo
	s_mov_b32 s4, s11
	v_cmpx_le_f32_e32 0x4005c28f, v8
	s_cbranch_execz .LBB13_49
; %bb.48:
	v_mul_f32_e32 v4, 0x4f800000, v8
	v_cmp_gt_f32_e32 vcc_lo, 0xf800000, v8
	v_cndmask_b32_e32 v4, v8, v4, vcc_lo
	v_sqrt_f32_e32 v6, v4
	v_add_nc_u32_e32 v7, -1, v6
	v_add_nc_u32_e32 v11, 1, v6
	v_fma_f32 v12, -v7, v6, v4
	v_fma_f32 v13, -v11, v6, v4
	v_cmp_ge_f32_e64 s4, 0, v12
	v_cndmask_b32_e64 v6, v6, v7, s4
	v_cmp_lt_f32_e64 s4, 0, v13
	v_cndmask_b32_e64 v6, v6, v11, s4
	v_mul_f32_e32 v7, 0x37800000, v6
	v_cndmask_b32_e32 v6, v6, v7, vcc_lo
	v_cmp_class_f32_e64 vcc_lo, v4, 0x260
	v_add_f32_e32 v7, v8, v8
	v_cndmask_b32_e32 v4, v6, v4, vcc_lo
	v_mul_f32_e32 v6, v7, v4
	v_div_scale_f32 v7, null, 0x40400000, 0x40400000, v6
	v_div_scale_f32 v13, vcc_lo, v6, 0x40400000, v6
	v_rcp_f32_e32 v11, v7
	v_fma_f32 v12, -v7, v11, 1.0
	v_fmac_f32_e32 v11, v12, v11
	v_mul_f32_e32 v12, v13, v11
	v_fma_f32 v14, -v7, v12, v13
	v_fmac_f32_e32 v12, v14, v11
	v_fma_f32 v7, -v7, v12, v13
	v_div_fmas_f32 v7, v7, v11, v12
	v_div_fixup_f32 v6, v7, 0x40400000, v6
	v_div_scale_f32 v7, null, v6, v6, 1.0
	v_div_scale_f32 v13, vcc_lo, 1.0, v6, 1.0
	v_mul_f32_e32 v17, 0x3fb8aa3b, v6
	v_rcp_f32_e32 v11, v7
	v_fma_f32 v20, 0x3fb8aa3b, v6, -v17
	v_rndne_f32_e32 v21, v17
	v_sub_f32_e32 v17, v17, v21
	v_fma_f32 v12, -v7, v11, 1.0
	v_fmac_f32_e32 v11, v12, v11
	v_mul_f32_e32 v12, v13, v11
	v_fma_f32 v14, -v7, v12, v13
	v_fmac_f32_e32 v12, v14, v11
	v_fma_f32 v7, -v7, v12, v13
	v_mul_f32_e32 v13, 0x4f800000, v4
	v_div_fmas_f32 v7, v7, v11, v12
	v_cmp_gt_f32_e32 vcc_lo, 0xf800000, v4
	v_div_fixup_f32 v7, v7, v6, 1.0
	v_cndmask_b32_e32 v4, v4, v13, vcc_lo
	v_fmaak_f32 v11, 0, v7, 0x3f114de0
	v_fmaak_f32 v12, 0, v7, 0x3eb16d71
	v_sqrt_f32_e32 v13, v4
	v_fmaak_f32 v11, v7, v11, 0x416c19a0
	v_fmaak_f32 v12, v7, v12, 0x41401f1c
	;; [unrolled: 1-line block ×4, first 2 shown]
	v_add_nc_u32_e32 v14, -1, v13
	v_add_nc_u32_e32 v15, 1, v13
	v_fmaak_f32 v11, v7, v11, 0x4331516e
	v_fmaak_f32 v12, v7, v12, 0x432816d7
	v_fma_f32 v18, -v14, v13, v4
	v_fma_f32 v19, -v15, v13, v4
	v_fmaak_f32 v11, v7, v11, 0x43243c15
	v_fmaak_f32 v12, v7, v12, 0x431fc1a3
	v_cmp_ge_f32_e64 s4, 0, v18
	v_fmamk_f32 v18, v6, 0x32a5705f, v20
	v_cmp_lt_f32_e64 s5, 0, v19
	v_fmaak_f32 v11, v7, v11, 0x428ef4a7
	v_fmaak_f32 v12, v7, v12, 0x428d127a
	v_cndmask_b32_e64 v13, v13, v14, s4
	v_cvt_i32_f32_e32 v19, v21
	v_fmaak_f32 v11, v7, v11, 0x416188dd
	v_fmaak_f32 v12, v7, v12, 0x41606c6b
	v_cndmask_b32_e64 v13, v13, v15, s5
	v_fma_f32 v11, v7, v11, 1.0
	v_fma_f32 v7, v7, v12, 1.0
	v_div_scale_f32 v12, null, v11, v11, v7
	v_div_scale_f32 v20, s4, v7, v11, v7
	v_rcp_f32_e32 v16, v12
	v_fma_f32 v14, -v12, v16, 1.0
	v_fmac_f32_e32 v16, v14, v16
	v_add_f32_e32 v14, v17, v18
	v_mul_f32_e32 v17, 0x37800000, v13
	v_mul_f32_e32 v15, v20, v16
	v_exp_f32_e32 v14, v14
	v_cndmask_b32_e32 v13, v13, v17, vcc_lo
	v_cmp_class_f32_e64 vcc_lo, v4, 0x260
	v_fma_f32 v18, -v12, v15, v20
	v_cndmask_b32_e32 v4, v13, v4, vcc_lo
	v_cmp_ngt_f32_e32 vcc_lo, 0xc2ce8ed0, v6
	v_fmac_f32_e32 v15, v18, v16
	v_ldexp_f32 v14, v14, v19
	v_add_f32_e32 v4, v4, v4
	v_fma_f32 v12, -v12, v15, v20
	v_cndmask_b32_e32 v13, 0, v14, vcc_lo
	s_mov_b32 vcc_lo, s4
	s_andn2_b32 s4, s11, exec_lo
	v_div_fmas_f32 v12, v12, v16, v15
	v_cmp_nlt_f32_e32 vcc_lo, 0x42b17218, v6
	v_div_fixup_f32 v7, v12, v11, v7
	v_cndmask_b32_e32 v6, 0x7f800000, v13, vcc_lo
	v_mul_f32_e32 v4, v4, v6
	v_mul_f32_e32 v6, 0x3f106ebb, v7
	v_div_scale_f32 v7, null, v4, v4, v6
	v_div_scale_f32 v13, vcc_lo, v6, v4, v6
	v_rcp_f32_e32 v11, v7
	v_fma_f32 v12, -v7, v11, 1.0
	v_fmac_f32_e32 v11, v12, v11
	v_mul_f32_e32 v12, v13, v11
	v_fma_f32 v14, -v7, v12, v13
	v_fmac_f32_e32 v12, v14, v11
	v_fma_f32 v7, -v7, v12, v13
	v_div_fmas_f32 v7, v7, v11, v12
	v_cmp_nlt_f32_e32 vcc_lo, 0x41052018, v8
	v_div_fixup_f32 v4, v7, v4, v6
	s_and_b32 s5, vcc_lo, exec_lo
	s_or_b32 s4, s4, s5
.LBB13_49:
	s_or_b32 exec_lo, exec_lo, s12
	s_and_saveexec_b32 s5, s4
	s_cbranch_execz .LBB13_53
; %bb.50:
	v_mul_f32_e32 v7, v8, v8
	v_mov_b32_e32 v12, 1.0
	v_mov_b32_e32 v13, 1.0
	v_mov_b32_e32 v14, v8
	v_mov_b32_e32 v6, v8
	v_mul_f32_e32 v11, v8, v7
	v_mov_b32_e32 v7, 1.0
	s_mov_b32 s12, 0
.LBB13_51:                              ; =>This Inner Loop Header: Depth=1
	v_mul_f32_e32 v12, v11, v12
	v_add_f32_e32 v13, 1.0, v13
	v_mul_f32_e32 v14, v11, v14
	v_div_scale_f32 v15, null, v13, v13, v12
	v_div_scale_f32 v18, vcc_lo, v12, v13, v12
	v_add_f32_e32 v17, 1.0, v13
	v_rcp_f32_e32 v16, v15
	v_div_scale_f32 v19, null, v17, v17, v14
	v_fma_f32 v20, -v15, v16, 1.0
	v_fmac_f32_e32 v16, v20, v16
	v_mul_f32_e32 v20, v18, v16
	v_fma_f32 v21, -v15, v20, v18
	v_fmac_f32_e32 v20, v21, v16
	v_fma_f32 v15, -v15, v20, v18
	v_div_fmas_f32 v15, v15, v16, v20
	v_div_scale_f32 v18, vcc_lo, v14, v17, v14
	v_div_fixup_f32 v12, v15, v13, v12
	v_rcp_f32_e32 v15, v19
	v_div_scale_f32 v13, null, v17, v17, v12
	v_div_scale_f32 v21, s4, v12, v17, v12
	v_rcp_f32_e32 v16, v13
	v_fma_f32 v20, -v19, v15, 1.0
	v_fmac_f32_e32 v15, v20, v15
	v_fma_f32 v20, -v13, v16, 1.0
	v_fmac_f32_e32 v16, v20, v16
	v_mul_f32_e32 v20, v18, v15
	v_mul_f32_e32 v22, v21, v16
	v_fma_f32 v23, -v19, v20, v18
	v_fma_f32 v24, -v13, v22, v21
	v_fmac_f32_e32 v20, v23, v15
	v_fmac_f32_e32 v22, v24, v16
	v_fma_f32 v18, -v19, v20, v18
	v_fma_f32 v13, -v13, v22, v21
	v_div_fmas_f32 v15, v18, v15, v20
	s_mov_b32 vcc_lo, s4
	v_div_fmas_f32 v16, v13, v16, v22
	v_add_f32_e32 v13, 1.0, v17
	v_div_fixup_f32 v14, v15, v17, v14
	v_div_fixup_f32 v12, v16, v17, v12
	v_div_scale_f32 v15, null, v13, v13, v14
	v_div_scale_f32 v19, vcc_lo, v14, v13, v14
	v_add_f32_e32 v7, v7, v12
	v_rcp_f32_e32 v17, v15
	v_div_scale_f32 v16, null, v7, v7, v12
	v_rcp_f32_e32 v18, v16
	v_fma_f32 v20, -v15, v17, 1.0
	v_fmac_f32_e32 v17, v20, v17
	v_div_scale_f32 v20, s4, v12, v7, v12
	v_fma_f32 v21, -v16, v18, 1.0
	v_fmac_f32_e32 v18, v21, v18
	v_mul_f32_e32 v21, v19, v17
	v_mul_f32_e32 v22, v20, v18
	v_fma_f32 v23, -v15, v21, v19
	v_fma_f32 v24, -v16, v22, v20
	v_fmac_f32_e32 v21, v23, v17
	v_fmac_f32_e32 v22, v24, v18
	v_fma_f32 v15, -v15, v21, v19
	v_fma_f32 v16, -v16, v22, v20
	v_div_fmas_f32 v15, v15, v17, v21
	s_mov_b32 vcc_lo, s4
	v_div_fmas_f32 v16, v16, v18, v22
	v_div_fixup_f32 v14, v15, v13, v14
	v_div_fixup_f32 v16, v16, v7, v12
	v_add_f32_e32 v6, v6, v14
	v_cmp_nlt_f32_e64 s4, 0x34000000, |v16|
	s_or_b32 s12, s4, s12
	s_andn2_b32 exec_lo, exec_lo, s12
	s_cbranch_execnz .LBB13_51
; %bb.52:
	s_or_b32 exec_lo, exec_lo, s12
	v_mul_f32_e32 v6, 0xbe8483fa, v6
	v_fmamk_f32 v6, v7, 0x3eb5c63d, v6
	v_cndmask_b32_e64 v4, v4, v6, s11
.LBB13_53:
	s_or_b32 exec_lo, exec_lo, s5
.LBB13_54:
	s_andn2_saveexec_b32 s11, s6
	s_cbranch_execz .LBB13_64
; %bb.55:
	v_mul_f32_e32 v4, 0xcf800000, v8
	v_cmp_lt_f32_e32 vcc_lo, 0x8f800000, v8
	v_cndmask_b32_e64 v4, -v8, v4, vcc_lo
	v_sqrt_f32_e32 v6, v4
	v_add_nc_u32_e32 v7, -1, v6
	v_add_nc_u32_e32 v11, 1, v6
	v_fma_f32 v12, -v7, v6, v4
	v_fma_f32 v13, -v11, v6, v4
	v_cmp_ge_f32_e64 s4, 0, v12
	v_cndmask_b32_e64 v6, v6, v7, s4
	v_cmp_lt_f32_e64 s4, 0, v13
	v_cndmask_b32_e64 v6, v6, v11, s4
	v_mul_f32_e32 v7, 0x37800000, v6
	v_cndmask_b32_e32 v6, v6, v7, vcc_lo
	v_cmp_class_f32_e64 vcc_lo, v4, 0x260
	v_mul_f32_e32 v7, -2.0, v8
	v_cndmask_b32_e32 v6, v6, v4, vcc_lo
	v_mul_f32_e32 v4, v7, v6
	v_div_scale_f32 v7, null, 0x40400000, 0x40400000, v4
	v_rcp_f32_e32 v8, v7
	v_fma_f32 v11, -v7, v8, 1.0
	v_fmac_f32_e32 v8, v11, v8
	v_div_scale_f32 v11, vcc_lo, v4, 0x40400000, v4
	v_mul_f32_e32 v12, v11, v8
	v_fma_f32 v13, -v7, v12, v11
	v_fmac_f32_e32 v12, v13, v8
                                        ; implicit-def: $vgpr13
	v_fma_f32 v7, -v7, v12, v11
	v_div_fmas_f32 v7, v7, v8, v12
                                        ; implicit-def: $vgpr8
	v_div_fixup_f32 v7, v7, 0x40400000, v4
	v_add_f32_e32 v4, 0x3f490fdb, v7
	v_and_b32_e32 v11, 0x7fffffff, v4
	v_cmp_ngt_f32_e64 s6, 0x48000000, |v4|
	v_lshrrev_b32_e32 v14, 23, v11
	s_and_saveexec_b32 s4, s6
	s_xor_b32 s12, exec_lo, s4
	s_cbranch_execz .LBB13_57
; %bb.56:
	s_mov_b32 s4, 0x7fffff
	v_mov_b32_e32 v16, 0
	v_and_or_b32 v8, v11, s4, 0x800000
	v_mad_u64_u32 v[12:13], null, 0xfe5163ab, v8, 0
	v_mov_b32_e32 v15, v13
	v_add_nc_u32_e32 v13, 0xffffff88, v14
	v_mad_u64_u32 v[17:18], null, 0x3c439041, v8, v[15:16]
	v_cmp_lt_u32_e32 vcc_lo, 63, v13
	v_cndmask_b32_e64 v22, 0, 0xffffffc0, vcc_lo
	v_mov_b32_e32 v15, v18
	v_add_nc_u32_e32 v13, v22, v13
	v_mad_u64_u32 v[18:19], null, 0xdb629599, v8, v[15:16]
	v_cmp_lt_u32_e64 s4, 31, v13
	v_mov_b32_e32 v15, v19
	v_cndmask_b32_e64 v23, 0, 0xffffffe0, s4
	v_cndmask_b32_e32 v12, v18, v12, vcc_lo
	v_mad_u64_u32 v[19:20], null, 0xf534ddc0, v8, v[15:16]
	v_add_nc_u32_e32 v13, v23, v13
	v_cmp_lt_u32_e64 s5, 31, v13
	v_mov_b32_e32 v15, v20
	v_mad_u64_u32 v[20:21], null, 0xfc2757d1, v8, v[15:16]
	v_mov_b32_e32 v15, v21
	v_mad_u64_u32 v[21:22], null, 0x4e441529, v8, v[15:16]
	v_mov_b32_e32 v15, v22
	v_cndmask_b32_e32 v22, v21, v19, vcc_lo
	v_mad_u64_u32 v[15:16], null, 0xa2f9836e, v8, v[15:16]
	v_cndmask_b32_e64 v8, 0, 0xffffffe0, s5
	v_add_nc_u32_e32 v8, v8, v13
	v_cndmask_b32_e32 v15, v15, v20, vcc_lo
	v_cndmask_b32_e32 v16, v16, v21, vcc_lo
	;; [unrolled: 1-line block ×4, first 2 shown]
	v_sub_nc_u32_e32 v19, 32, v8
	v_cndmask_b32_e64 v17, v15, v22, s4
	v_cndmask_b32_e64 v15, v16, v15, s4
	;; [unrolled: 1-line block ×4, first 2 shown]
	v_cmp_eq_u32_e32 vcc_lo, 0, v8
	v_cndmask_b32_e64 v12, v13, v12, s4
	v_cndmask_b32_e64 v15, v15, v17, s5
	;; [unrolled: 1-line block ×5, first 2 shown]
	v_alignbit_b32 v21, v15, v17, v19
	v_alignbit_b32 v18, v17, v16, v19
	;; [unrolled: 1-line block ×3, first 2 shown]
	v_cndmask_b32_e32 v8, v21, v15, vcc_lo
	v_cndmask_b32_e32 v13, v18, v17, vcc_lo
	;; [unrolled: 1-line block ×3, first 2 shown]
	v_bfe_u32 v15, v8, 29, 1
	v_alignbit_b32 v17, v8, v13, 30
	v_alignbit_b32 v13, v13, v16, 30
	;; [unrolled: 1-line block ×3, first 2 shown]
	v_sub_nc_u32_e32 v18, 0, v15
	v_xor_b32_e32 v17, v17, v18
	v_xor_b32_e32 v13, v13, v18
	;; [unrolled: 1-line block ×3, first 2 shown]
	v_lshrrev_b32_e32 v18, 29, v8
	v_ffbh_u32_e32 v19, v17
	v_min_u32_e32 v19, 32, v19
	v_sub_nc_u32_e32 v16, 31, v19
	v_lshlrev_b32_e32 v20, 23, v19
	v_alignbit_b32 v17, v17, v13, v16
	v_alignbit_b32 v12, v13, v12, v16
	v_lshlrev_b32_e32 v13, 31, v18
	v_alignbit_b32 v16, v17, v12, 9
	v_or_b32_e32 v18, 0.5, v13
	v_lshrrev_b32_e32 v17, 9, v17
	v_or_b32_e32 v13, 0x33000000, v13
	v_ffbh_u32_e32 v21, v16
	v_sub_nc_u32_e32 v18, v18, v20
	v_min_u32_e32 v20, 32, v21
	v_or_b32_e32 v17, v17, v18
	v_not_b32_e32 v18, v20
	v_mul_f32_e32 v21, 0x3fc90fda, v17
	v_add_lshl_u32 v19, v20, v19, 23
	v_alignbit_b32 v12, v16, v12, v18
	v_fma_f32 v16, 0x3fc90fda, v17, -v21
	v_sub_nc_u32_e32 v13, v13, v19
	v_lshrrev_b32_e32 v12, 9, v12
	v_fmamk_f32 v16, v17, 0x33a22168, v16
	v_or_b32_e32 v12, v13, v12
	v_fmac_f32_e32 v16, 0x3fc90fda, v12
	v_lshrrev_b32_e32 v12, 30, v8
	v_add_f32_e32 v8, v21, v16
	v_add_nc_u32_e32 v13, v15, v12
	s_or_saveexec_b32 s4, s12
	v_mul_f32_e64 v16, 0x3f22f983, |v4|
	s_xor_b32 exec_lo, exec_lo, s4
	s_branch .LBB13_58
.LBB13_57:
	s_or_saveexec_b32 s4, s12
	v_mul_f32_e64 v16, 0x3f22f983, |v4|
	s_xor_b32 exec_lo, exec_lo, s4
.LBB13_58:
	v_rndne_f32_e32 v12, v16
	v_fma_f32 v8, 0xbfc90fda, v12, |v4|
	v_cvt_i32_f32_e32 v13, v12
	v_fmamk_f32 v8, v12, 0xb3a22168, v8
	v_fmamk_f32 v8, v12, 0xa7c234c4, v8
; %bb.59:
	s_or_b32 exec_lo, exec_lo, s4
                                        ; implicit-def: $vgpr15
                                        ; implicit-def: $vgpr12
	s_and_saveexec_b32 s4, s6
	s_xor_b32 s6, exec_lo, s4
	s_cbranch_execz .LBB13_61
; %bb.60:
	s_mov_b32 s4, 0x7fffff
	v_mov_b32_e32 v17, 0
	v_and_or_b32 v12, v11, s4, 0x800000
	v_add_nc_u32_e32 v14, 0xffffff88, v14
	v_mad_u64_u32 v[15:16], null, 0xfe5163ab, v12, 0
	v_cmp_lt_u32_e32 vcc_lo, 63, v14
	v_cndmask_b32_e64 v23, 0, 0xffffffc0, vcc_lo
	v_mad_u64_u32 v[18:19], null, 0x3c439041, v12, v[16:17]
	v_add_nc_u32_e32 v14, v23, v14
	v_mov_b32_e32 v16, v19
	v_cmp_lt_u32_e64 s4, 31, v14
	v_mad_u64_u32 v[19:20], null, 0xdb629599, v12, v[16:17]
	v_cndmask_b32_e64 v24, 0, 0xffffffe0, s4
	v_add_nc_u32_e32 v14, v24, v14
	v_mov_b32_e32 v16, v20
	v_cndmask_b32_e32 v15, v19, v15, vcc_lo
	v_cmp_lt_u32_e64 s5, 31, v14
	v_mad_u64_u32 v[20:21], null, 0xf534ddc0, v12, v[16:17]
	v_mov_b32_e32 v16, v21
	v_mad_u64_u32 v[21:22], null, 0xfc2757d1, v12, v[16:17]
	v_mov_b32_e32 v16, v22
	;; [unrolled: 2-line block ×3, first 2 shown]
	v_cndmask_b32_e32 v23, v22, v20, vcc_lo
	v_mad_u64_u32 v[16:17], null, 0xa2f9836e, v12, v[16:17]
	v_cndmask_b32_e64 v12, 0, 0xffffffe0, s5
	v_add_nc_u32_e32 v12, v12, v14
	v_cndmask_b32_e32 v16, v16, v21, vcc_lo
	v_cndmask_b32_e32 v17, v17, v22, vcc_lo
	;; [unrolled: 1-line block ×4, first 2 shown]
	v_sub_nc_u32_e32 v20, 32, v12
	v_cndmask_b32_e64 v18, v16, v23, s4
	v_cndmask_b32_e64 v16, v17, v16, s4
	;; [unrolled: 1-line block ×4, first 2 shown]
	v_cmp_eq_u32_e32 vcc_lo, 0, v12
	v_cndmask_b32_e64 v14, v14, v15, s4
	v_cndmask_b32_e64 v16, v16, v18, s5
	;; [unrolled: 1-line block ×5, first 2 shown]
	v_alignbit_b32 v22, v16, v18, v20
	v_alignbit_b32 v19, v18, v17, v20
	;; [unrolled: 1-line block ×3, first 2 shown]
	v_cndmask_b32_e32 v12, v22, v16, vcc_lo
	v_cndmask_b32_e32 v15, v19, v18, vcc_lo
	v_cndmask_b32_e32 v17, v20, v17, vcc_lo
	v_bfe_u32 v16, v12, 29, 1
	v_alignbit_b32 v18, v12, v15, 30
	v_alignbit_b32 v15, v15, v17, 30
	;; [unrolled: 1-line block ×3, first 2 shown]
	v_sub_nc_u32_e32 v19, 0, v16
	v_xor_b32_e32 v18, v18, v19
	v_xor_b32_e32 v15, v15, v19
	v_xor_b32_e32 v14, v14, v19
	v_lshrrev_b32_e32 v19, 29, v12
	v_ffbh_u32_e32 v20, v18
	v_min_u32_e32 v20, 32, v20
	v_sub_nc_u32_e32 v17, 31, v20
	v_lshlrev_b32_e32 v21, 23, v20
	v_alignbit_b32 v18, v18, v15, v17
	v_alignbit_b32 v14, v15, v14, v17
	v_lshlrev_b32_e32 v15, 31, v19
	v_alignbit_b32 v17, v18, v14, 9
	v_or_b32_e32 v19, 0.5, v15
	v_lshrrev_b32_e32 v18, 9, v18
	v_or_b32_e32 v15, 0x33000000, v15
	v_ffbh_u32_e32 v22, v17
	v_sub_nc_u32_e32 v19, v19, v21
	v_min_u32_e32 v21, 32, v22
	v_or_b32_e32 v18, v18, v19
	v_not_b32_e32 v19, v21
	v_mul_f32_e32 v22, 0x3fc90fda, v18
	v_add_lshl_u32 v20, v21, v20, 23
	v_alignbit_b32 v14, v17, v14, v19
	v_fma_f32 v17, 0x3fc90fda, v18, -v22
	v_sub_nc_u32_e32 v15, v15, v20
	v_lshrrev_b32_e32 v14, 9, v14
	v_fmamk_f32 v17, v18, 0x33a22168, v17
	v_or_b32_e32 v14, v15, v14
	v_fmac_f32_e32 v17, 0x3fc90fda, v14
	v_lshrrev_b32_e32 v14, 30, v12
	v_add_f32_e32 v12, v22, v17
	v_add_nc_u32_e32 v15, v16, v14
                                        ; implicit-def: $vgpr16
	s_andn2_saveexec_b32 s4, s6
	s_cbranch_execnz .LBB13_62
	s_branch .LBB13_63
.LBB13_61:
	s_andn2_saveexec_b32 s4, s6
.LBB13_62:
	v_rndne_f32_e32 v14, v16
	v_fma_f32 v12, 0xbfc90fda, v14, |v4|
	v_cvt_i32_f32_e32 v15, v14
	v_fmamk_f32 v12, v14, 0xb3a22168, v12
	v_fmamk_f32 v12, v14, 0xa7c234c4, v12
.LBB13_63:
	s_or_b32 exec_lo, exec_lo, s4
	v_div_scale_f32 v14, null, v7, v7, 1.0
	v_div_scale_f32 v18, vcc_lo, 1.0, v7, 1.0
	v_mul_f32_e32 v21, 0x4f800000, v6
	v_rcp_f32_e32 v16, v14
	v_mul_f32_e32 v20, v8, v8
	s_mov_b32 s4, 0xb94c1982
	s_mov_b32 s5, 0x37d75334
	v_and_b32_e32 v22, 1, v15
	v_xor_b32_e32 v11, v11, v4
	v_lshlrev_b32_e32 v15, 30, v15
	v_fma_f32 v17, -v14, v16, 1.0
	v_and_b32_e32 v15, 0x80000000, v15
	v_fmac_f32_e32 v16, v17, v16
	v_mul_f32_e32 v17, v18, v16
	v_fma_f32 v19, -v14, v17, v18
	v_fmac_f32_e32 v17, v19, v16
	v_and_b32_e32 v19, 1, v13
	v_lshlrev_b32_e32 v13, 30, v13
	v_fma_f32 v14, -v14, v17, v18
	v_mul_f32_e32 v18, v12, v12
	v_cmp_eq_u32_e64 s6, 0, v19
	v_and_b32_e32 v13, 0x80000000, v13
	v_div_fmas_f32 v14, v14, v16, v17
	v_cmp_gt_f32_e32 vcc_lo, 0xf800000, v6
	v_fmaak_f32 v16, s4, v20, 0x3c0881c4
	v_fmaak_f32 v17, s5, v20, 0xbab64f3b
	v_div_fixup_f32 v7, v14, v7, 1.0
	v_cndmask_b32_e32 v6, v6, v21, vcc_lo
	v_fmaak_f32 v14, s4, v18, 0x3c0881c4
	v_fmaak_f32 v21, s5, v18, 0xbab64f3b
	;; [unrolled: 1-line block ×3, first 2 shown]
	v_mul_f32_e32 v23, v7, v7
	v_sqrt_f32_e32 v24, v6
	v_fmaak_f32 v17, v20, v17, 0x3d2aabf7
	v_fmaak_f32 v14, v18, v14, 0xbe2aaa9d
	;; [unrolled: 1-line block ×7, first 2 shown]
	v_mul_f32_e32 v16, v20, v16
	v_fmaak_f32 v25, v23, v25, 0x3ec83ea8
	v_fmaak_f32 v26, v23, v26, 0xbf205f75
	;; [unrolled: 1-line block ×4, first 2 shown]
	v_add_nc_u32_e32 v29, -1, v24
	v_fmaak_f32 v25, v23, v25, 0x3f886c1a
	v_fmaak_f32 v26, v23, v26, 0xbf3172ce
	;; [unrolled: 1-line block ×4, first 2 shown]
	v_add_nc_u32_e32 v30, 1, v24
	v_fmaak_f32 v25, v23, v25, 0x3f706d65
	v_fmaak_f32 v26, v23, v26, 0xbe8f3f52
	v_fma_f32 v31, -v29, v24, v6
	v_fmaak_f32 v27, v23, v27, 0x4112fe41
	v_fmaak_f32 v28, v23, v28, 0x40af4271
	;; [unrolled: 1-line block ×4, first 2 shown]
	v_fma_f32 v32, -v30, v24, v6
	v_cmp_ge_f32_e64 s4, 0, v31
	v_fmaak_f32 v27, v23, v27, 0x3fbcd65a
	v_fmaak_f32 v25, v23, v25, 0x3d81d209
	;; [unrolled: 1-line block ×4, first 2 shown]
	v_cndmask_b32_e64 v24, v24, v29, s4
	v_cmp_lt_f32_e64 s4, 0, v32
	v_fmaak_f32 v25, v23, v25, 0x3bbff4d0
	v_fmaak_f32 v27, v23, v27, 0x3deced66
	;; [unrolled: 1-line block ×4, first 2 shown]
	v_cndmask_b32_e64 v24, v24, v30, s4
	v_fmaak_f32 v25, v23, v25, 0x39944bb3
	v_fmaak_f32 v27, v23, v27, 0x3b904657
	v_fmaak_f32 v28, v23, v28, 0x3b873823
	v_fmaak_f32 v26, v23, v26, 0xb63a53c1
	v_mul_f32_e32 v29, 0x37800000, v24
	v_fmaak_f32 v25, v23, v25, 0x36ea79eb
	v_fmaak_f32 v27, v23, v27, 0x389e46bd
	;; [unrolled: 1-line block ×4, first 2 shown]
	v_cndmask_b32_e32 v24, v24, v29, vcc_lo
	v_fmaak_f32 v25, v23, v25, 0x33ae5496
	v_cmp_class_f32_e64 vcc_lo, v6, 0x260
	v_fmaak_f32 v27, v23, v27, 0x34f295ce
	v_fmaak_f32 v28, v23, v28, 0x359d422f
	v_mul_f32_e32 v26, v23, v26
	v_fmaak_f32 v25, v23, v25, 0x2fbbc524
	v_cndmask_b32_e32 v6, v24, v6, vcc_lo
	v_fmaak_f32 v17, v20, v17, 0xbf000004
	v_fmaak_f32 v23, v23, v28, 0x31a8fe3a
	v_div_scale_f32 v24, null, v27, v27, v26
	v_mul_f32_e32 v7, v7, v25
	v_div_scale_f32 v25, null, v6, v6, 0x3f106ebb
	v_rcp_f32_e32 v28, v24
	v_mul_f32_e32 v14, v18, v14
	v_div_scale_f32 v29, null, v23, v23, v7
	v_rcp_f32_e32 v30, v25
	v_fmaak_f32 v21, v18, v21, 0xbf000004
	v_fmac_f32_e32 v8, v8, v16
	v_fma_f32 v16, v20, v17, 1.0
	v_rcp_f32_e32 v17, v29
	v_fmac_f32_e32 v12, v12, v14
	v_fma_f32 v14, v18, v21, 1.0
	v_fma_f32 v18, -v24, v28, 1.0
	v_div_scale_f32 v31, vcc_lo, v26, v27, v26
	v_fma_f32 v21, -v25, v30, 1.0
	v_div_scale_f32 v20, s4, 0x3f106ebb, v6, 0x3f106ebb
	v_fmac_f32_e32 v28, v18, v28
	v_fma_f32 v18, -v29, v17, 1.0
	v_fmac_f32_e32 v30, v21, v30
	v_div_scale_f32 v21, s5, v7, v23, v7
	v_mul_f32_e32 v32, v31, v28
	v_fmac_f32_e32 v17, v18, v17
	v_mul_f32_e32 v18, v20, v30
	v_cndmask_b32_e64 v8, v16, v8, s6
	v_cmp_eq_u32_e64 s6, 0, v22
	v_fma_f32 v16, -v24, v32, v31
	v_mul_f32_e32 v19, v21, v17
	v_fma_f32 v33, -v25, v18, v20
	v_xor3_b32 v8, v11, v13, v8
	v_cndmask_b32_e64 v12, -v12, v14, s6
	v_fmac_f32_e32 v32, v16, v28
	v_fma_f32 v14, -v29, v19, v21
	v_fmac_f32_e32 v18, v33, v30
	v_cmp_class_f32_e64 s6, v4, 0x1f8
	v_xor_b32_e32 v12, v15, v12
	v_fma_f32 v4, -v24, v32, v31
	v_fmac_f32_e32 v19, v14, v17
	v_fma_f32 v11, -v25, v18, v20
	v_cndmask_b32_e64 v8, 0x7fc00000, v8, s6
	v_cndmask_b32_e64 v12, 0x7fc00000, v12, s6
	v_div_fmas_f32 v4, v4, v28, v32
	v_fma_f32 v13, -v29, v19, v21
	s_mov_b32 vcc_lo, s4
	v_div_fmas_f32 v11, v11, v30, v18
	s_mov_b32 vcc_lo, s5
	v_div_fixup_f32 v4, v4, v27, v26
	v_div_fmas_f32 v13, v13, v17, v19
	v_div_fixup_f32 v6, v11, v6, 0x3f106ebb
	v_add_f32_e32 v4, 1.0, v4
	v_div_fixup_f32 v7, v13, v23, v7
	v_mul_f32_e32 v7, v7, v12
	v_fma_f32 v4, v4, v8, -v7
	v_mul_f32_e32 v4, v6, v4
.LBB13_64:
	s_or_b32 exec_lo, exec_lo, s11
.LBB13_65:
	s_or_b32 exec_lo, exec_lo, s10
.LBB13_66:
	s_or_b32 exec_lo, exec_lo, s7
	s_mov_b32 s7, exec_lo
	v_cmpx_neq_f32_e64 0x7f800000, |v9|
	s_cbranch_execz .LBB13_88
; %bb.67:
	v_mov_b32_e32 v5, 0
	s_mov_b32 s10, exec_lo
	v_cmpx_nlt_f32_e32 0x42cfc8b4, v9
	s_cbranch_execz .LBB13_87
; %bb.68:
	s_mov_b32 s4, exec_lo
	v_cmpx_ngt_f32_e32 0xc005c28f, v9
	s_xor_b32 s6, exec_lo, s4
	s_cbranch_execz .LBB13_76
; %bb.69:
	v_cmp_nle_f32_e64 s11, 0x4005c28f, v9
	v_mov_b32_e32 v5, 0
	s_mov_b32 s12, exec_lo
	s_mov_b32 s4, s11
	v_cmpx_le_f32_e32 0x4005c28f, v9
	s_cbranch_execz .LBB13_71
; %bb.70:
	v_mul_f32_e32 v5, 0x4f800000, v9
	v_cmp_gt_f32_e32 vcc_lo, 0xf800000, v9
	v_cndmask_b32_e32 v5, v9, v5, vcc_lo
	v_sqrt_f32_e32 v6, v5
	v_add_nc_u32_e32 v7, -1, v6
	v_add_nc_u32_e32 v8, 1, v6
	v_fma_f32 v11, -v7, v6, v5
	v_fma_f32 v12, -v8, v6, v5
	v_cmp_ge_f32_e64 s4, 0, v11
	v_cndmask_b32_e64 v6, v6, v7, s4
	v_cmp_lt_f32_e64 s4, 0, v12
	v_cndmask_b32_e64 v6, v6, v8, s4
	v_mul_f32_e32 v7, 0x37800000, v6
	v_cndmask_b32_e32 v6, v6, v7, vcc_lo
	v_cmp_class_f32_e64 vcc_lo, v5, 0x260
	v_add_f32_e32 v7, v9, v9
	v_cndmask_b32_e32 v5, v6, v5, vcc_lo
	v_mul_f32_e32 v6, v7, v5
	v_div_scale_f32 v7, null, 0x40400000, 0x40400000, v6
	v_div_scale_f32 v12, vcc_lo, v6, 0x40400000, v6
	v_rcp_f32_e32 v8, v7
	v_fma_f32 v11, -v7, v8, 1.0
	v_fmac_f32_e32 v8, v11, v8
	v_mul_f32_e32 v11, v12, v8
	v_fma_f32 v13, -v7, v11, v12
	v_fmac_f32_e32 v11, v13, v8
	v_fma_f32 v7, -v7, v11, v12
	v_div_fmas_f32 v7, v7, v8, v11
	v_div_fixup_f32 v6, v7, 0x40400000, v6
	v_div_scale_f32 v7, null, v6, v6, 1.0
	v_div_scale_f32 v12, vcc_lo, 1.0, v6, 1.0
	v_mul_f32_e32 v16, 0x3fb8aa3b, v6
	v_rcp_f32_e32 v8, v7
	v_fma_f32 v19, 0x3fb8aa3b, v6, -v16
	v_rndne_f32_e32 v20, v16
	v_sub_f32_e32 v16, v16, v20
	v_fma_f32 v11, -v7, v8, 1.0
	v_fmac_f32_e32 v8, v11, v8
	v_mul_f32_e32 v11, v12, v8
	v_fma_f32 v13, -v7, v11, v12
	v_fmac_f32_e32 v11, v13, v8
	v_fma_f32 v7, -v7, v11, v12
	v_mul_f32_e32 v12, 0x4f800000, v5
	v_div_fmas_f32 v7, v7, v8, v11
	v_cmp_gt_f32_e32 vcc_lo, 0xf800000, v5
	v_div_fixup_f32 v7, v7, v6, 1.0
	v_cndmask_b32_e32 v5, v5, v12, vcc_lo
	v_fmaak_f32 v8, 0, v7, 0x3f114de0
	v_fmaak_f32 v11, 0, v7, 0x3eb16d71
	v_sqrt_f32_e32 v12, v5
	v_fmaak_f32 v8, v7, v8, 0x416c19a0
	v_fmaak_f32 v11, v7, v11, 0x41401f1c
	;; [unrolled: 1-line block ×4, first 2 shown]
	v_add_nc_u32_e32 v13, -1, v12
	v_add_nc_u32_e32 v14, 1, v12
	v_fmaak_f32 v8, v7, v8, 0x4331516e
	v_fmaak_f32 v11, v7, v11, 0x432816d7
	v_fma_f32 v17, -v13, v12, v5
	v_fma_f32 v18, -v14, v12, v5
	v_fmaak_f32 v8, v7, v8, 0x43243c15
	v_fmaak_f32 v11, v7, v11, 0x431fc1a3
	v_cmp_ge_f32_e64 s4, 0, v17
	v_fmamk_f32 v17, v6, 0x32a5705f, v19
	v_cmp_lt_f32_e64 s5, 0, v18
	v_fmaak_f32 v8, v7, v8, 0x428ef4a7
	v_fmaak_f32 v11, v7, v11, 0x428d127a
	v_cndmask_b32_e64 v12, v12, v13, s4
	v_cvt_i32_f32_e32 v18, v20
	v_fmaak_f32 v8, v7, v8, 0x416188dd
	v_fmaak_f32 v11, v7, v11, 0x41606c6b
	v_cndmask_b32_e64 v12, v12, v14, s5
	v_fma_f32 v8, v7, v8, 1.0
	v_fma_f32 v7, v7, v11, 1.0
	v_div_scale_f32 v11, null, v8, v8, v7
	v_div_scale_f32 v19, s4, v7, v8, v7
	v_rcp_f32_e32 v15, v11
	v_fma_f32 v13, -v11, v15, 1.0
	v_fmac_f32_e32 v15, v13, v15
	v_add_f32_e32 v13, v16, v17
	v_mul_f32_e32 v16, 0x37800000, v12
	v_mul_f32_e32 v14, v19, v15
	v_exp_f32_e32 v13, v13
	v_cndmask_b32_e32 v12, v12, v16, vcc_lo
	v_cmp_class_f32_e64 vcc_lo, v5, 0x260
	v_fma_f32 v17, -v11, v14, v19
	v_cndmask_b32_e32 v5, v12, v5, vcc_lo
	v_cmp_ngt_f32_e32 vcc_lo, 0xc2ce8ed0, v6
	v_fmac_f32_e32 v14, v17, v15
	v_ldexp_f32 v13, v13, v18
	v_add_f32_e32 v5, v5, v5
	v_fma_f32 v11, -v11, v14, v19
	v_cndmask_b32_e32 v12, 0, v13, vcc_lo
	s_mov_b32 vcc_lo, s4
	s_andn2_b32 s4, s11, exec_lo
	v_div_fmas_f32 v11, v11, v15, v14
	v_cmp_nlt_f32_e32 vcc_lo, 0x42b17218, v6
	v_div_fixup_f32 v7, v11, v8, v7
	v_cndmask_b32_e32 v6, 0x7f800000, v12, vcc_lo
	v_mul_f32_e32 v5, v5, v6
	v_mul_f32_e32 v6, 0x3f106ebb, v7
	v_div_scale_f32 v7, null, v5, v5, v6
	v_div_scale_f32 v12, vcc_lo, v6, v5, v6
	v_rcp_f32_e32 v8, v7
	v_fma_f32 v11, -v7, v8, 1.0
	v_fmac_f32_e32 v8, v11, v8
	v_mul_f32_e32 v11, v12, v8
	v_fma_f32 v13, -v7, v11, v12
	v_fmac_f32_e32 v11, v13, v8
	v_fma_f32 v7, -v7, v11, v12
	v_div_fmas_f32 v7, v7, v8, v11
	v_cmp_nlt_f32_e32 vcc_lo, 0x41052018, v9
	v_div_fixup_f32 v5, v7, v5, v6
	s_and_b32 s5, vcc_lo, exec_lo
	s_or_b32 s4, s4, s5
.LBB13_71:
	s_or_b32 exec_lo, exec_lo, s12
	s_and_saveexec_b32 s5, s4
	s_cbranch_execz .LBB13_75
; %bb.72:
	v_mul_f32_e32 v7, v9, v9
	v_mov_b32_e32 v11, 1.0
	v_mov_b32_e32 v12, 1.0
	v_mov_b32_e32 v6, v9
	s_mov_b32 s12, 0
	v_mul_f32_e32 v8, v9, v7
	v_mov_b32_e32 v7, 1.0
.LBB13_73:                              ; =>This Inner Loop Header: Depth=1
	v_mul_f32_e32 v11, v8, v11
	v_add_f32_e32 v12, 1.0, v12
	v_mul_f32_e32 v9, v8, v9
	v_div_scale_f32 v13, null, v12, v12, v11
	v_div_scale_f32 v16, vcc_lo, v11, v12, v11
	v_add_f32_e32 v15, 1.0, v12
	v_rcp_f32_e32 v14, v13
	v_div_scale_f32 v17, null, v15, v15, v9
	v_fma_f32 v18, -v13, v14, 1.0
	v_fmac_f32_e32 v14, v18, v14
	v_mul_f32_e32 v18, v16, v14
	v_fma_f32 v19, -v13, v18, v16
	v_fmac_f32_e32 v18, v19, v14
	v_fma_f32 v13, -v13, v18, v16
	v_div_fmas_f32 v13, v13, v14, v18
	v_div_scale_f32 v16, vcc_lo, v9, v15, v9
	v_div_fixup_f32 v11, v13, v12, v11
	v_rcp_f32_e32 v13, v17
	v_div_scale_f32 v12, null, v15, v15, v11
	v_div_scale_f32 v19, s4, v11, v15, v11
	v_rcp_f32_e32 v14, v12
	v_fma_f32 v18, -v17, v13, 1.0
	v_fmac_f32_e32 v13, v18, v13
	v_fma_f32 v18, -v12, v14, 1.0
	v_fmac_f32_e32 v14, v18, v14
	v_mul_f32_e32 v18, v16, v13
	v_mul_f32_e32 v20, v19, v14
	v_fma_f32 v21, -v17, v18, v16
	v_fma_f32 v22, -v12, v20, v19
	v_fmac_f32_e32 v18, v21, v13
	v_fmac_f32_e32 v20, v22, v14
	v_fma_f32 v16, -v17, v18, v16
	v_fma_f32 v12, -v12, v20, v19
	v_div_fmas_f32 v13, v16, v13, v18
	s_mov_b32 vcc_lo, s4
	v_div_fmas_f32 v14, v12, v14, v20
	v_add_f32_e32 v12, 1.0, v15
	v_div_fixup_f32 v9, v13, v15, v9
	v_div_fixup_f32 v11, v14, v15, v11
	v_div_scale_f32 v13, null, v12, v12, v9
	v_div_scale_f32 v17, vcc_lo, v9, v12, v9
	v_add_f32_e32 v7, v7, v11
	v_rcp_f32_e32 v15, v13
	v_div_scale_f32 v14, null, v7, v7, v11
	v_rcp_f32_e32 v16, v14
	v_fma_f32 v18, -v13, v15, 1.0
	v_fmac_f32_e32 v15, v18, v15
	v_div_scale_f32 v18, s4, v11, v7, v11
	v_fma_f32 v19, -v14, v16, 1.0
	v_fmac_f32_e32 v16, v19, v16
	v_mul_f32_e32 v19, v17, v15
	v_mul_f32_e32 v20, v18, v16
	v_fma_f32 v21, -v13, v19, v17
	v_fma_f32 v22, -v14, v20, v18
	v_fmac_f32_e32 v19, v21, v15
	v_fmac_f32_e32 v20, v22, v16
	v_fma_f32 v13, -v13, v19, v17
	v_fma_f32 v14, -v14, v20, v18
	v_div_fmas_f32 v13, v13, v15, v19
	s_mov_b32 vcc_lo, s4
	v_div_fmas_f32 v14, v14, v16, v20
	v_div_fixup_f32 v9, v13, v12, v9
	v_div_fixup_f32 v14, v14, v7, v11
	v_add_f32_e32 v6, v6, v9
	v_cmp_nlt_f32_e64 s4, 0x34000000, |v14|
	s_or_b32 s12, s4, s12
	s_andn2_b32 exec_lo, exec_lo, s12
	s_cbranch_execnz .LBB13_73
; %bb.74:
	s_or_b32 exec_lo, exec_lo, s12
	v_mul_f32_e32 v6, 0xbe8483fa, v6
	v_fmamk_f32 v6, v7, 0x3eb5c63d, v6
	v_cndmask_b32_e64 v5, v5, v6, s11
.LBB13_75:
	s_or_b32 exec_lo, exec_lo, s5
                                        ; implicit-def: $vgpr6_vgpr7_vgpr8_vgpr9
.LBB13_76:
	s_andn2_saveexec_b32 s11, s6
	s_cbranch_execz .LBB13_86
; %bb.77:
	v_mul_f32_e32 v5, 0xcf800000, v9
	v_cmp_lt_f32_e32 vcc_lo, 0x8f800000, v9
	v_cndmask_b32_e64 v5, -v9, v5, vcc_lo
	v_sqrt_f32_e32 v6, v5
	v_add_nc_u32_e32 v7, -1, v6
	v_add_nc_u32_e32 v8, 1, v6
	v_fma_f32 v11, -v7, v6, v5
	v_fma_f32 v12, -v8, v6, v5
	v_cmp_ge_f32_e64 s4, 0, v11
	v_cndmask_b32_e64 v6, v6, v7, s4
	v_cmp_lt_f32_e64 s4, 0, v12
	v_cndmask_b32_e64 v6, v6, v8, s4
	v_mul_f32_e32 v7, 0x37800000, v6
	v_cndmask_b32_e32 v6, v6, v7, vcc_lo
	v_cmp_class_f32_e64 vcc_lo, v5, 0x260
	v_mul_f32_e32 v7, -2.0, v9
	v_cndmask_b32_e32 v6, v6, v5, vcc_lo
	v_mul_f32_e32 v5, v7, v6
	v_div_scale_f32 v7, null, 0x40400000, 0x40400000, v5
	v_rcp_f32_e32 v8, v7
	v_fma_f32 v9, -v7, v8, 1.0
	v_fmac_f32_e32 v8, v9, v8
	v_div_scale_f32 v9, vcc_lo, v5, 0x40400000, v5
	v_mul_f32_e32 v11, v9, v8
	v_fma_f32 v12, -v7, v11, v9
	v_fmac_f32_e32 v11, v12, v8
                                        ; implicit-def: $vgpr12
	v_fma_f32 v7, -v7, v11, v9
	v_div_fmas_f32 v7, v7, v8, v11
                                        ; implicit-def: $vgpr8
	v_div_fixup_f32 v7, v7, 0x40400000, v5
	v_add_f32_e32 v5, 0x3f490fdb, v7
	v_and_b32_e32 v9, 0x7fffffff, v5
	v_cmp_ngt_f32_e64 s6, 0x48000000, |v5|
	v_lshrrev_b32_e32 v13, 23, v9
	s_and_saveexec_b32 s4, s6
	s_xor_b32 s12, exec_lo, s4
	s_cbranch_execz .LBB13_79
; %bb.78:
	s_mov_b32 s4, 0x7fffff
	v_mov_b32_e32 v15, 0
	v_and_or_b32 v8, v9, s4, 0x800000
	v_mad_u64_u32 v[11:12], null, 0xfe5163ab, v8, 0
	v_mov_b32_e32 v14, v12
	v_add_nc_u32_e32 v12, 0xffffff88, v13
	v_mad_u64_u32 v[16:17], null, 0x3c439041, v8, v[14:15]
	v_cmp_lt_u32_e32 vcc_lo, 63, v12
	v_cndmask_b32_e64 v21, 0, 0xffffffc0, vcc_lo
	v_mov_b32_e32 v14, v17
	v_add_nc_u32_e32 v12, v21, v12
	v_mad_u64_u32 v[17:18], null, 0xdb629599, v8, v[14:15]
	v_cmp_lt_u32_e64 s4, 31, v12
	v_mov_b32_e32 v14, v18
	v_cndmask_b32_e64 v22, 0, 0xffffffe0, s4
	v_cndmask_b32_e32 v11, v17, v11, vcc_lo
	v_mad_u64_u32 v[18:19], null, 0xf534ddc0, v8, v[14:15]
	v_add_nc_u32_e32 v12, v22, v12
	v_cmp_lt_u32_e64 s5, 31, v12
	v_mov_b32_e32 v14, v19
	v_mad_u64_u32 v[19:20], null, 0xfc2757d1, v8, v[14:15]
	v_mov_b32_e32 v14, v20
	v_mad_u64_u32 v[20:21], null, 0x4e441529, v8, v[14:15]
	v_mov_b32_e32 v14, v21
	v_cndmask_b32_e32 v21, v20, v18, vcc_lo
	v_mad_u64_u32 v[14:15], null, 0xa2f9836e, v8, v[14:15]
	v_cndmask_b32_e64 v8, 0, 0xffffffe0, s5
	v_add_nc_u32_e32 v8, v8, v12
	v_cndmask_b32_e32 v14, v14, v19, vcc_lo
	v_cndmask_b32_e32 v15, v15, v20, vcc_lo
	;; [unrolled: 1-line block ×4, first 2 shown]
	v_sub_nc_u32_e32 v18, 32, v8
	v_cndmask_b32_e64 v16, v14, v21, s4
	v_cndmask_b32_e64 v14, v15, v14, s4
	;; [unrolled: 1-line block ×4, first 2 shown]
	v_cmp_eq_u32_e32 vcc_lo, 0, v8
	v_cndmask_b32_e64 v11, v12, v11, s4
	v_cndmask_b32_e64 v14, v14, v16, s5
	;; [unrolled: 1-line block ×5, first 2 shown]
	v_alignbit_b32 v20, v14, v16, v18
	v_alignbit_b32 v17, v16, v15, v18
	;; [unrolled: 1-line block ×3, first 2 shown]
	v_cndmask_b32_e32 v8, v20, v14, vcc_lo
	v_cndmask_b32_e32 v12, v17, v16, vcc_lo
	;; [unrolled: 1-line block ×3, first 2 shown]
	v_bfe_u32 v14, v8, 29, 1
	v_alignbit_b32 v16, v8, v12, 30
	v_alignbit_b32 v12, v12, v15, 30
	;; [unrolled: 1-line block ×3, first 2 shown]
	v_sub_nc_u32_e32 v17, 0, v14
	v_xor_b32_e32 v16, v16, v17
	v_xor_b32_e32 v12, v12, v17
	;; [unrolled: 1-line block ×3, first 2 shown]
	v_lshrrev_b32_e32 v17, 29, v8
	v_ffbh_u32_e32 v18, v16
	v_min_u32_e32 v18, 32, v18
	v_sub_nc_u32_e32 v15, 31, v18
	v_lshlrev_b32_e32 v19, 23, v18
	v_alignbit_b32 v16, v16, v12, v15
	v_alignbit_b32 v11, v12, v11, v15
	v_lshlrev_b32_e32 v12, 31, v17
	v_alignbit_b32 v15, v16, v11, 9
	v_or_b32_e32 v17, 0.5, v12
	v_lshrrev_b32_e32 v16, 9, v16
	v_or_b32_e32 v12, 0x33000000, v12
	v_ffbh_u32_e32 v20, v15
	v_sub_nc_u32_e32 v17, v17, v19
	v_min_u32_e32 v19, 32, v20
	v_or_b32_e32 v16, v16, v17
	v_not_b32_e32 v17, v19
	v_mul_f32_e32 v20, 0x3fc90fda, v16
	v_add_lshl_u32 v18, v19, v18, 23
	v_alignbit_b32 v11, v15, v11, v17
	v_fma_f32 v15, 0x3fc90fda, v16, -v20
	v_sub_nc_u32_e32 v12, v12, v18
	v_lshrrev_b32_e32 v11, 9, v11
	v_fmamk_f32 v15, v16, 0x33a22168, v15
	v_or_b32_e32 v11, v12, v11
	v_fmac_f32_e32 v15, 0x3fc90fda, v11
	v_lshrrev_b32_e32 v11, 30, v8
	v_add_f32_e32 v8, v20, v15
	v_add_nc_u32_e32 v12, v14, v11
	s_or_saveexec_b32 s4, s12
	v_mul_f32_e64 v15, 0x3f22f983, |v5|
	s_xor_b32 exec_lo, exec_lo, s4
	s_branch .LBB13_80
.LBB13_79:
	s_or_saveexec_b32 s4, s12
	v_mul_f32_e64 v15, 0x3f22f983, |v5|
	s_xor_b32 exec_lo, exec_lo, s4
.LBB13_80:
	v_rndne_f32_e32 v11, v15
	v_fma_f32 v8, 0xbfc90fda, v11, |v5|
	v_cvt_i32_f32_e32 v12, v11
	v_fmamk_f32 v8, v11, 0xb3a22168, v8
	v_fmamk_f32 v8, v11, 0xa7c234c4, v8
; %bb.81:
	s_or_b32 exec_lo, exec_lo, s4
                                        ; implicit-def: $vgpr14
                                        ; implicit-def: $vgpr11
	s_and_saveexec_b32 s4, s6
	s_xor_b32 s6, exec_lo, s4
	s_cbranch_execz .LBB13_83
; %bb.82:
	s_mov_b32 s4, 0x7fffff
	v_mov_b32_e32 v16, 0
	v_and_or_b32 v11, v9, s4, 0x800000
	v_add_nc_u32_e32 v13, 0xffffff88, v13
	v_mad_u64_u32 v[14:15], null, 0xfe5163ab, v11, 0
	v_cmp_lt_u32_e32 vcc_lo, 63, v13
	v_cndmask_b32_e64 v22, 0, 0xffffffc0, vcc_lo
	v_mad_u64_u32 v[17:18], null, 0x3c439041, v11, v[15:16]
	v_add_nc_u32_e32 v13, v22, v13
	v_mov_b32_e32 v15, v18
	v_cmp_lt_u32_e64 s4, 31, v13
	v_mad_u64_u32 v[18:19], null, 0xdb629599, v11, v[15:16]
	v_cndmask_b32_e64 v23, 0, 0xffffffe0, s4
	v_add_nc_u32_e32 v13, v23, v13
	v_mov_b32_e32 v15, v19
	v_cndmask_b32_e32 v14, v18, v14, vcc_lo
	v_cmp_lt_u32_e64 s5, 31, v13
	v_mad_u64_u32 v[19:20], null, 0xf534ddc0, v11, v[15:16]
	v_mov_b32_e32 v15, v20
	v_mad_u64_u32 v[20:21], null, 0xfc2757d1, v11, v[15:16]
	v_mov_b32_e32 v15, v21
	v_mad_u64_u32 v[21:22], null, 0x4e441529, v11, v[15:16]
	v_mov_b32_e32 v15, v22
	v_cndmask_b32_e32 v22, v21, v19, vcc_lo
	v_mad_u64_u32 v[15:16], null, 0xa2f9836e, v11, v[15:16]
	v_cndmask_b32_e64 v11, 0, 0xffffffe0, s5
	v_add_nc_u32_e32 v11, v11, v13
	v_cndmask_b32_e32 v15, v15, v20, vcc_lo
	v_cndmask_b32_e32 v16, v16, v21, vcc_lo
	;; [unrolled: 1-line block ×4, first 2 shown]
	v_sub_nc_u32_e32 v19, 32, v11
	v_cndmask_b32_e64 v17, v15, v22, s4
	v_cndmask_b32_e64 v15, v16, v15, s4
	;; [unrolled: 1-line block ×4, first 2 shown]
	v_cmp_eq_u32_e32 vcc_lo, 0, v11
	v_cndmask_b32_e64 v13, v13, v14, s4
	v_cndmask_b32_e64 v15, v15, v17, s5
	;; [unrolled: 1-line block ×5, first 2 shown]
	v_alignbit_b32 v21, v15, v17, v19
	v_alignbit_b32 v18, v17, v16, v19
	v_alignbit_b32 v19, v16, v13, v19
	v_cndmask_b32_e32 v11, v21, v15, vcc_lo
	v_cndmask_b32_e32 v14, v18, v17, vcc_lo
	;; [unrolled: 1-line block ×3, first 2 shown]
	v_bfe_u32 v15, v11, 29, 1
	v_alignbit_b32 v17, v11, v14, 30
	v_alignbit_b32 v14, v14, v16, 30
	v_alignbit_b32 v13, v16, v13, 30
	v_sub_nc_u32_e32 v18, 0, v15
	v_xor_b32_e32 v17, v17, v18
	v_xor_b32_e32 v14, v14, v18
	;; [unrolled: 1-line block ×3, first 2 shown]
	v_lshrrev_b32_e32 v18, 29, v11
	v_ffbh_u32_e32 v19, v17
	v_min_u32_e32 v19, 32, v19
	v_sub_nc_u32_e32 v16, 31, v19
	v_lshlrev_b32_e32 v20, 23, v19
	v_alignbit_b32 v17, v17, v14, v16
	v_alignbit_b32 v13, v14, v13, v16
	v_lshlrev_b32_e32 v14, 31, v18
	v_alignbit_b32 v16, v17, v13, 9
	v_or_b32_e32 v18, 0.5, v14
	v_lshrrev_b32_e32 v17, 9, v17
	v_or_b32_e32 v14, 0x33000000, v14
	v_ffbh_u32_e32 v21, v16
	v_sub_nc_u32_e32 v18, v18, v20
	v_min_u32_e32 v20, 32, v21
	v_or_b32_e32 v17, v17, v18
	v_not_b32_e32 v18, v20
	v_mul_f32_e32 v21, 0x3fc90fda, v17
	v_add_lshl_u32 v19, v20, v19, 23
	v_alignbit_b32 v13, v16, v13, v18
	v_fma_f32 v16, 0x3fc90fda, v17, -v21
	v_sub_nc_u32_e32 v14, v14, v19
	v_lshrrev_b32_e32 v13, 9, v13
	v_fmamk_f32 v16, v17, 0x33a22168, v16
	v_or_b32_e32 v13, v14, v13
	v_fmac_f32_e32 v16, 0x3fc90fda, v13
	v_lshrrev_b32_e32 v13, 30, v11
	v_add_f32_e32 v11, v21, v16
	v_add_nc_u32_e32 v14, v15, v13
                                        ; implicit-def: $vgpr15
	s_andn2_saveexec_b32 s4, s6
	s_cbranch_execnz .LBB13_84
	s_branch .LBB13_85
.LBB13_83:
	s_andn2_saveexec_b32 s4, s6
.LBB13_84:
	v_rndne_f32_e32 v13, v15
	v_fma_f32 v11, 0xbfc90fda, v13, |v5|
	v_cvt_i32_f32_e32 v14, v13
	v_fmamk_f32 v11, v13, 0xb3a22168, v11
	v_fmamk_f32 v11, v13, 0xa7c234c4, v11
.LBB13_85:
	s_or_b32 exec_lo, exec_lo, s4
	v_div_scale_f32 v13, null, v7, v7, 1.0
	v_div_scale_f32 v17, vcc_lo, 1.0, v7, 1.0
	v_mul_f32_e32 v20, 0x4f800000, v6
	v_rcp_f32_e32 v15, v13
	v_mul_f32_e32 v19, v8, v8
	s_mov_b32 s4, 0xb94c1982
	s_mov_b32 s5, 0x37d75334
	v_and_b32_e32 v21, 1, v14
	v_xor_b32_e32 v9, v9, v5
	v_lshlrev_b32_e32 v14, 30, v14
	v_fma_f32 v16, -v13, v15, 1.0
	v_and_b32_e32 v14, 0x80000000, v14
	v_fmac_f32_e32 v15, v16, v15
	v_mul_f32_e32 v16, v17, v15
	v_fma_f32 v18, -v13, v16, v17
	v_fmac_f32_e32 v16, v18, v15
	v_and_b32_e32 v18, 1, v12
	v_lshlrev_b32_e32 v12, 30, v12
	v_fma_f32 v13, -v13, v16, v17
	v_mul_f32_e32 v17, v11, v11
	v_cmp_eq_u32_e64 s6, 0, v18
	v_and_b32_e32 v12, 0x80000000, v12
	v_div_fmas_f32 v13, v13, v15, v16
	v_cmp_gt_f32_e32 vcc_lo, 0xf800000, v6
	v_fmaak_f32 v15, s4, v19, 0x3c0881c4
	v_fmaak_f32 v16, s5, v19, 0xbab64f3b
	v_div_fixup_f32 v7, v13, v7, 1.0
	v_cndmask_b32_e32 v6, v6, v20, vcc_lo
	v_fmaak_f32 v13, s4, v17, 0x3c0881c4
	v_fmaak_f32 v20, s5, v17, 0xbab64f3b
	;; [unrolled: 1-line block ×3, first 2 shown]
	v_mul_f32_e32 v22, v7, v7
	v_sqrt_f32_e32 v23, v6
	v_fmaak_f32 v16, v19, v16, 0x3d2aabf7
	v_fmaak_f32 v13, v17, v13, 0xbe2aaa9d
	v_fmaak_f32 v20, v17, v20, 0x3d2aabf7
	v_fmaak_f32 v24, 0, v22, 0x3ca1a92f
	v_fmaak_f32 v25, 0, v22, 0xbe06db67
	v_fmaak_f32 v26, 0, v22, 0x4155b259
	v_fmaak_f32 v27, 0, v22, 0x4114f160
	v_mul_f32_e32 v15, v19, v15
	v_fmaak_f32 v24, v22, v24, 0x3ec83ea8
	v_fmaak_f32 v25, v22, v25, 0xbf205f75
	;; [unrolled: 1-line block ×4, first 2 shown]
	v_add_nc_u32_e32 v28, -1, v23
	v_fmaak_f32 v24, v22, v24, 0x3f886c1a
	v_fmaak_f32 v25, v22, v25, 0xbf3172ce
	;; [unrolled: 1-line block ×4, first 2 shown]
	v_add_nc_u32_e32 v29, 1, v23
	v_fmaak_f32 v24, v22, v24, 0x3f706d65
	v_fmaak_f32 v25, v22, v25, 0xbe8f3f52
	v_fma_f32 v30, -v28, v23, v6
	v_fmaak_f32 v26, v22, v26, 0x4112fe41
	v_fmaak_f32 v27, v22, v27, 0x40af4271
	;; [unrolled: 1-line block ×4, first 2 shown]
	v_fma_f32 v31, -v29, v23, v6
	v_cmp_ge_f32_e64 s4, 0, v30
	v_fmaak_f32 v26, v22, v26, 0x3fbcd65a
	v_fmaak_f32 v24, v22, v24, 0x3d81d209
	;; [unrolled: 1-line block ×4, first 2 shown]
	v_cndmask_b32_e64 v23, v23, v28, s4
	v_cmp_lt_f32_e64 s4, 0, v31
	v_fmaak_f32 v24, v22, v24, 0x3bbff4d0
	v_fmaak_f32 v26, v22, v26, 0x3deced66
	;; [unrolled: 1-line block ×4, first 2 shown]
	v_cndmask_b32_e64 v23, v23, v29, s4
	v_fmaak_f32 v24, v22, v24, 0x39944bb3
	v_fmaak_f32 v26, v22, v26, 0x3b904657
	;; [unrolled: 1-line block ×4, first 2 shown]
	v_mul_f32_e32 v28, 0x37800000, v23
	v_fmaak_f32 v24, v22, v24, 0x36ea79eb
	v_fmaak_f32 v26, v22, v26, 0x389e46bd
	v_fmaak_f32 v27, v22, v27, 0x38d45b0f
	v_fmaak_f32 v25, v22, v25, 0xb29020e8
	v_cndmask_b32_e32 v23, v23, v28, vcc_lo
	v_fmaak_f32 v24, v22, v24, 0x33ae5496
	v_cmp_class_f32_e64 vcc_lo, v6, 0x260
	v_fmaak_f32 v26, v22, v26, 0x34f295ce
	v_fmaak_f32 v27, v22, v27, 0x359d422f
	v_mul_f32_e32 v25, v22, v25
	v_fmaak_f32 v24, v22, v24, 0x2fbbc524
	v_cndmask_b32_e32 v6, v23, v6, vcc_lo
	v_fmaak_f32 v16, v19, v16, 0xbf000004
	v_fmaak_f32 v22, v22, v27, 0x31a8fe3a
	v_div_scale_f32 v23, null, v26, v26, v25
	v_mul_f32_e32 v7, v7, v24
	v_div_scale_f32 v24, null, v6, v6, 0x3f106ebb
	v_rcp_f32_e32 v27, v23
	v_mul_f32_e32 v13, v17, v13
	v_div_scale_f32 v28, null, v22, v22, v7
	v_rcp_f32_e32 v29, v24
	v_fmaak_f32 v20, v17, v20, 0xbf000004
	v_fmac_f32_e32 v8, v8, v15
	v_fma_f32 v15, v19, v16, 1.0
	v_rcp_f32_e32 v16, v28
	v_fmac_f32_e32 v11, v11, v13
	v_fma_f32 v13, v17, v20, 1.0
	v_fma_f32 v17, -v23, v27, 1.0
	v_div_scale_f32 v30, vcc_lo, v25, v26, v25
	v_fma_f32 v20, -v24, v29, 1.0
	v_div_scale_f32 v19, s4, 0x3f106ebb, v6, 0x3f106ebb
	v_fmac_f32_e32 v27, v17, v27
	v_fma_f32 v17, -v28, v16, 1.0
	v_fmac_f32_e32 v29, v20, v29
	v_div_scale_f32 v20, s5, v7, v22, v7
	v_mul_f32_e32 v31, v30, v27
	v_fmac_f32_e32 v16, v17, v16
	v_mul_f32_e32 v17, v19, v29
	v_cndmask_b32_e64 v8, v15, v8, s6
	v_cmp_eq_u32_e64 s6, 0, v21
	v_fma_f32 v15, -v23, v31, v30
	v_mul_f32_e32 v18, v20, v16
	v_fma_f32 v32, -v24, v17, v19
	v_xor3_b32 v8, v9, v12, v8
	v_cndmask_b32_e64 v11, -v11, v13, s6
	v_fmac_f32_e32 v31, v15, v27
	v_fma_f32 v13, -v28, v18, v20
	v_fmac_f32_e32 v17, v32, v29
	v_cmp_class_f32_e64 s6, v5, 0x1f8
	v_xor_b32_e32 v11, v14, v11
	v_fma_f32 v5, -v23, v31, v30
	v_fmac_f32_e32 v18, v13, v16
	v_fma_f32 v9, -v24, v17, v19
	v_cndmask_b32_e64 v8, 0x7fc00000, v8, s6
	v_cndmask_b32_e64 v11, 0x7fc00000, v11, s6
	v_div_fmas_f32 v5, v5, v27, v31
	v_fma_f32 v12, -v28, v18, v20
	s_mov_b32 vcc_lo, s4
	v_div_fmas_f32 v9, v9, v29, v17
	s_mov_b32 vcc_lo, s5
	v_div_fixup_f32 v5, v5, v26, v25
	v_div_fmas_f32 v12, v12, v16, v18
	v_div_fixup_f32 v6, v9, v6, 0x3f106ebb
	v_add_f32_e32 v5, 1.0, v5
	v_div_fixup_f32 v7, v12, v22, v7
	v_mul_f32_e32 v7, v7, v11
	v_fma_f32 v5, v5, v8, -v7
	v_mul_f32_e32 v5, v6, v5
.LBB13_86:
	s_or_b32 exec_lo, exec_lo, s11
.LBB13_87:
	s_or_b32 exec_lo, exec_lo, s10
.LBB13_88:
	s_or_b32 exec_lo, exec_lo, s7
	v_add_co_u32 v0, vcc_lo, v0, s8
	v_add_co_ci_u32_e64 v1, null, s9, v1, vcc_lo
	v_add_co_u32 v0, vcc_lo, v0, v10
	v_add_co_ci_u32_e64 v1, null, 0, v1, vcc_lo
	flat_store_dwordx4 v[0:1], v[2:5]
	s_waitcnt lgkmcnt(0)
	s_setpc_b64 s[30:31]
.Lfunc_end13:
	.size	_ZN2at6native25elementwise_kernel_helperILb0EZZZNS0_12_GLOBAL__N_119airy_ai_kernel_cudaERNS_18TensorIteratorBaseEENKUlvE_clEvENKUlvE0_clEvEUlfE_NS0_6memory8policies10vectorizedILi4ESt5arrayIPcLm2EELi4EEEEEvT0_T1_, .Lfunc_end13-_ZN2at6native25elementwise_kernel_helperILb0EZZZNS0_12_GLOBAL__N_119airy_ai_kernel_cudaERNS_18TensorIteratorBaseEENKUlvE_clEvENKUlvE0_clEvEUlfE_NS0_6memory8policies10vectorizedILi4ESt5arrayIPcLm2EELi4EEEEEvT0_T1_
                                        ; -- End function
	.set .L_ZN2at6native25elementwise_kernel_helperILb0EZZZNS0_12_GLOBAL__N_119airy_ai_kernel_cudaERNS_18TensorIteratorBaseEENKUlvE_clEvENKUlvE0_clEvEUlfE_NS0_6memory8policies10vectorizedILi4ESt5arrayIPcLm2EELi4EEEEEvT0_T1_.num_vgpr, 34
	.set .L_ZN2at6native25elementwise_kernel_helperILb0EZZZNS0_12_GLOBAL__N_119airy_ai_kernel_cudaERNS_18TensorIteratorBaseEENKUlvE_clEvENKUlvE0_clEvEUlfE_NS0_6memory8policies10vectorizedILi4ESt5arrayIPcLm2EELi4EEEEEvT0_T1_.num_agpr, 0
	.set .L_ZN2at6native25elementwise_kernel_helperILb0EZZZNS0_12_GLOBAL__N_119airy_ai_kernel_cudaERNS_18TensorIteratorBaseEENKUlvE_clEvENKUlvE0_clEvEUlfE_NS0_6memory8policies10vectorizedILi4ESt5arrayIPcLm2EELi4EEEEEvT0_T1_.numbered_sgpr, 32
	.set .L_ZN2at6native25elementwise_kernel_helperILb0EZZZNS0_12_GLOBAL__N_119airy_ai_kernel_cudaERNS_18TensorIteratorBaseEENKUlvE_clEvENKUlvE0_clEvEUlfE_NS0_6memory8policies10vectorizedILi4ESt5arrayIPcLm2EELi4EEEEEvT0_T1_.num_named_barrier, 0
	.set .L_ZN2at6native25elementwise_kernel_helperILb0EZZZNS0_12_GLOBAL__N_119airy_ai_kernel_cudaERNS_18TensorIteratorBaseEENKUlvE_clEvENKUlvE0_clEvEUlfE_NS0_6memory8policies10vectorizedILi4ESt5arrayIPcLm2EELi4EEEEEvT0_T1_.private_seg_size, 0
	.set .L_ZN2at6native25elementwise_kernel_helperILb0EZZZNS0_12_GLOBAL__N_119airy_ai_kernel_cudaERNS_18TensorIteratorBaseEENKUlvE_clEvENKUlvE0_clEvEUlfE_NS0_6memory8policies10vectorizedILi4ESt5arrayIPcLm2EELi4EEEEEvT0_T1_.uses_vcc, 1
	.set .L_ZN2at6native25elementwise_kernel_helperILb0EZZZNS0_12_GLOBAL__N_119airy_ai_kernel_cudaERNS_18TensorIteratorBaseEENKUlvE_clEvENKUlvE0_clEvEUlfE_NS0_6memory8policies10vectorizedILi4ESt5arrayIPcLm2EELi4EEEEEvT0_T1_.uses_flat_scratch, 0
	.set .L_ZN2at6native25elementwise_kernel_helperILb0EZZZNS0_12_GLOBAL__N_119airy_ai_kernel_cudaERNS_18TensorIteratorBaseEENKUlvE_clEvENKUlvE0_clEvEUlfE_NS0_6memory8policies10vectorizedILi4ESt5arrayIPcLm2EELi4EEEEEvT0_T1_.has_dyn_sized_stack, 0
	.set .L_ZN2at6native25elementwise_kernel_helperILb0EZZZNS0_12_GLOBAL__N_119airy_ai_kernel_cudaERNS_18TensorIteratorBaseEENKUlvE_clEvENKUlvE0_clEvEUlfE_NS0_6memory8policies10vectorizedILi4ESt5arrayIPcLm2EELi4EEEEEvT0_T1_.has_recursion, 0
	.set .L_ZN2at6native25elementwise_kernel_helperILb0EZZZNS0_12_GLOBAL__N_119airy_ai_kernel_cudaERNS_18TensorIteratorBaseEENKUlvE_clEvENKUlvE0_clEvEUlfE_NS0_6memory8policies10vectorizedILi4ESt5arrayIPcLm2EELi4EEEEEvT0_T1_.has_indirect_call, 0
	.section	.AMDGPU.csdata,"",@progbits
; Function info:
; codeLenInByte = 15784
; TotalNumSgprs: 34
; NumVgprs: 34
; ScratchSize: 0
; MemoryBound: 0
	.section	.text._ZN2at6native29vectorized_elementwise_kernelILi16EZZZNS0_12_GLOBAL__N_119airy_ai_kernel_cudaERNS_18TensorIteratorBaseEENKUlvE_clEvENKUlvE0_clEvEUlfE_St5arrayIPcLm2EEEEviT0_T1_,"axG",@progbits,_ZN2at6native29vectorized_elementwise_kernelILi16EZZZNS0_12_GLOBAL__N_119airy_ai_kernel_cudaERNS_18TensorIteratorBaseEENKUlvE_clEvENKUlvE0_clEvEUlfE_St5arrayIPcLm2EEEEviT0_T1_,comdat
	.globl	_ZN2at6native29vectorized_elementwise_kernelILi16EZZZNS0_12_GLOBAL__N_119airy_ai_kernel_cudaERNS_18TensorIteratorBaseEENKUlvE_clEvENKUlvE0_clEvEUlfE_St5arrayIPcLm2EEEEviT0_T1_ ; -- Begin function _ZN2at6native29vectorized_elementwise_kernelILi16EZZZNS0_12_GLOBAL__N_119airy_ai_kernel_cudaERNS_18TensorIteratorBaseEENKUlvE_clEvENKUlvE0_clEvEUlfE_St5arrayIPcLm2EEEEviT0_T1_
	.p2align	8
	.type	_ZN2at6native29vectorized_elementwise_kernelILi16EZZZNS0_12_GLOBAL__N_119airy_ai_kernel_cudaERNS_18TensorIteratorBaseEENKUlvE_clEvENKUlvE0_clEvEUlfE_St5arrayIPcLm2EEEEviT0_T1_,@function
_ZN2at6native29vectorized_elementwise_kernelILi16EZZZNS0_12_GLOBAL__N_119airy_ai_kernel_cudaERNS_18TensorIteratorBaseEENKUlvE_clEvENKUlvE0_clEvEUlfE_St5arrayIPcLm2EEEEviT0_T1_: ; @_ZN2at6native29vectorized_elementwise_kernelILi16EZZZNS0_12_GLOBAL__N_119airy_ai_kernel_cudaERNS_18TensorIteratorBaseEENKUlvE_clEvENKUlvE0_clEvEUlfE_St5arrayIPcLm2EEEEviT0_T1_
; %bb.0:
	s_mov_b32 s13, s6
	s_clause 0x1
	s_load_dword s6, s[4:5], 0x0
	s_load_dwordx4 s[16:19], s[4:5], 0x8
	s_add_u32 s0, s0, s7
	s_addc_u32 s1, s1, 0
	s_lshl_b32 s4, s13, 10
	v_mov_b32_e32 v34, v0
	s_mov_b32 s32, 0
	s_waitcnt lgkmcnt(0)
	s_sub_i32 s14, s6, s4
	s_mov_b32 s4, -1
	s_cmpk_gt_i32 s14, 0x3ff
	s_cbranch_scc1 .LBB14_3
; %bb.1:
	s_andn2_b32 vcc_lo, exec_lo, s4
	s_cbranch_vccz .LBB14_4
.LBB14_2:
	s_endpgm
.LBB14_3:
	v_mov_b32_e32 v31, v34
	v_mov_b32_e32 v0, s16
	;; [unrolled: 1-line block ×5, first 2 shown]
	s_getpc_b64 s[4:5]
	s_add_u32 s4, s4, _ZN2at6native25elementwise_kernel_helperILb0EZZZNS0_12_GLOBAL__N_119airy_ai_kernel_cudaERNS_18TensorIteratorBaseEENKUlvE_clEvENKUlvE0_clEvEUlfE_NS0_6memory8policies10vectorizedILi4ESt5arrayIPcLm2EELi4EEEEEvT0_T1_@rel32@lo+4
	s_addc_u32 s5, s5, _ZN2at6native25elementwise_kernel_helperILb0EZZZNS0_12_GLOBAL__N_119airy_ai_kernel_cudaERNS_18TensorIteratorBaseEENKUlvE_clEvENKUlvE0_clEvEUlfE_NS0_6memory8policies10vectorizedILi4ESt5arrayIPcLm2EELi4EEEEEvT0_T1_@rel32@hi+12
	s_mov_b32 s12, s13
	s_swappc_b64 s[30:31], s[4:5]
	s_cbranch_execnz .LBB14_2
.LBB14_4:
	v_mov_b32_e32 v31, v34
	v_mov_b32_e32 v0, s16
	;; [unrolled: 1-line block ×6, first 2 shown]
	s_getpc_b64 s[4:5]
	s_add_u32 s4, s4, _ZN2at6native25elementwise_kernel_helperILb0EZZZNS0_12_GLOBAL__N_119airy_ai_kernel_cudaERNS_18TensorIteratorBaseEENKUlvE_clEvENKUlvE0_clEvEUlfE_NS0_6memory8policies11unroll_baseILi256ESt5arrayIPcLm2EE23TrivialOffsetCalculatorILi1EjESF_NS8_15LoadWithoutCastENS8_16StoreWithoutCastELi4ELi1EEEEEvT0_T1_@rel32@lo+4
	s_addc_u32 s5, s5, _ZN2at6native25elementwise_kernel_helperILb0EZZZNS0_12_GLOBAL__N_119airy_ai_kernel_cudaERNS_18TensorIteratorBaseEENKUlvE_clEvENKUlvE0_clEvEUlfE_NS0_6memory8policies11unroll_baseILi256ESt5arrayIPcLm2EE23TrivialOffsetCalculatorILi1EjESF_NS8_15LoadWithoutCastENS8_16StoreWithoutCastELi4ELi1EEEEEvT0_T1_@rel32@hi+12
	s_mov_b32 s12, s13
	s_swappc_b64 s[30:31], s[4:5]
	s_endpgm
	.section	.rodata,"a",@progbits
	.p2align	6, 0x0
	.amdhsa_kernel _ZN2at6native29vectorized_elementwise_kernelILi16EZZZNS0_12_GLOBAL__N_119airy_ai_kernel_cudaERNS_18TensorIteratorBaseEENKUlvE_clEvENKUlvE0_clEvEUlfE_St5arrayIPcLm2EEEEviT0_T1_
		.amdhsa_group_segment_fixed_size 0
		.amdhsa_private_segment_fixed_size 0
		.amdhsa_kernarg_size 24
		.amdhsa_user_sgpr_count 6
		.amdhsa_user_sgpr_private_segment_buffer 1
		.amdhsa_user_sgpr_dispatch_ptr 0
		.amdhsa_user_sgpr_queue_ptr 0
		.amdhsa_user_sgpr_kernarg_segment_ptr 1
		.amdhsa_user_sgpr_dispatch_id 0
		.amdhsa_user_sgpr_flat_scratch_init 0
		.amdhsa_user_sgpr_private_segment_size 0
		.amdhsa_wavefront_size32 1
		.amdhsa_uses_dynamic_stack 0
		.amdhsa_system_sgpr_private_segment_wavefront_offset 0
		.amdhsa_system_sgpr_workgroup_id_x 1
		.amdhsa_system_sgpr_workgroup_id_y 0
		.amdhsa_system_sgpr_workgroup_id_z 0
		.amdhsa_system_sgpr_workgroup_info 0
		.amdhsa_system_vgpr_workitem_id 0
		.amdhsa_next_free_vgpr 38
		.amdhsa_next_free_sgpr 33
		.amdhsa_reserve_vcc 1
		.amdhsa_reserve_flat_scratch 0
		.amdhsa_float_round_mode_32 0
		.amdhsa_float_round_mode_16_64 0
		.amdhsa_float_denorm_mode_32 3
		.amdhsa_float_denorm_mode_16_64 3
		.amdhsa_dx10_clamp 1
		.amdhsa_ieee_mode 1
		.amdhsa_fp16_overflow 0
		.amdhsa_workgroup_processor_mode 1
		.amdhsa_memory_ordered 1
		.amdhsa_forward_progress 1
		.amdhsa_shared_vgpr_count 0
		.amdhsa_exception_fp_ieee_invalid_op 0
		.amdhsa_exception_fp_denorm_src 0
		.amdhsa_exception_fp_ieee_div_zero 0
		.amdhsa_exception_fp_ieee_overflow 0
		.amdhsa_exception_fp_ieee_underflow 0
		.amdhsa_exception_fp_ieee_inexact 0
		.amdhsa_exception_int_div_zero 0
	.end_amdhsa_kernel
	.section	.text._ZN2at6native29vectorized_elementwise_kernelILi16EZZZNS0_12_GLOBAL__N_119airy_ai_kernel_cudaERNS_18TensorIteratorBaseEENKUlvE_clEvENKUlvE0_clEvEUlfE_St5arrayIPcLm2EEEEviT0_T1_,"axG",@progbits,_ZN2at6native29vectorized_elementwise_kernelILi16EZZZNS0_12_GLOBAL__N_119airy_ai_kernel_cudaERNS_18TensorIteratorBaseEENKUlvE_clEvENKUlvE0_clEvEUlfE_St5arrayIPcLm2EEEEviT0_T1_,comdat
.Lfunc_end14:
	.size	_ZN2at6native29vectorized_elementwise_kernelILi16EZZZNS0_12_GLOBAL__N_119airy_ai_kernel_cudaERNS_18TensorIteratorBaseEENKUlvE_clEvENKUlvE0_clEvEUlfE_St5arrayIPcLm2EEEEviT0_T1_, .Lfunc_end14-_ZN2at6native29vectorized_elementwise_kernelILi16EZZZNS0_12_GLOBAL__N_119airy_ai_kernel_cudaERNS_18TensorIteratorBaseEENKUlvE_clEvENKUlvE0_clEvEUlfE_St5arrayIPcLm2EEEEviT0_T1_
                                        ; -- End function
	.set _ZN2at6native29vectorized_elementwise_kernelILi16EZZZNS0_12_GLOBAL__N_119airy_ai_kernel_cudaERNS_18TensorIteratorBaseEENKUlvE_clEvENKUlvE0_clEvEUlfE_St5arrayIPcLm2EEEEviT0_T1_.num_vgpr, max(35, .L_ZN2at6native25elementwise_kernel_helperILb0EZZZNS0_12_GLOBAL__N_119airy_ai_kernel_cudaERNS_18TensorIteratorBaseEENKUlvE_clEvENKUlvE0_clEvEUlfE_NS0_6memory8policies10vectorizedILi4ESt5arrayIPcLm2EELi4EEEEEvT0_T1_.num_vgpr, .L_ZN2at6native25elementwise_kernel_helperILb0EZZZNS0_12_GLOBAL__N_119airy_ai_kernel_cudaERNS_18TensorIteratorBaseEENKUlvE_clEvENKUlvE0_clEvEUlfE_NS0_6memory8policies11unroll_baseILi256ESt5arrayIPcLm2EE23TrivialOffsetCalculatorILi1EjESF_NS8_15LoadWithoutCastENS8_16StoreWithoutCastELi4ELi1EEEEEvT0_T1_.num_vgpr)
	.set _ZN2at6native29vectorized_elementwise_kernelILi16EZZZNS0_12_GLOBAL__N_119airy_ai_kernel_cudaERNS_18TensorIteratorBaseEENKUlvE_clEvENKUlvE0_clEvEUlfE_St5arrayIPcLm2EEEEviT0_T1_.num_agpr, max(0, .L_ZN2at6native25elementwise_kernel_helperILb0EZZZNS0_12_GLOBAL__N_119airy_ai_kernel_cudaERNS_18TensorIteratorBaseEENKUlvE_clEvENKUlvE0_clEvEUlfE_NS0_6memory8policies10vectorizedILi4ESt5arrayIPcLm2EELi4EEEEEvT0_T1_.num_agpr, .L_ZN2at6native25elementwise_kernel_helperILb0EZZZNS0_12_GLOBAL__N_119airy_ai_kernel_cudaERNS_18TensorIteratorBaseEENKUlvE_clEvENKUlvE0_clEvEUlfE_NS0_6memory8policies11unroll_baseILi256ESt5arrayIPcLm2EE23TrivialOffsetCalculatorILi1EjESF_NS8_15LoadWithoutCastENS8_16StoreWithoutCastELi4ELi1EEEEEvT0_T1_.num_agpr)
	.set _ZN2at6native29vectorized_elementwise_kernelILi16EZZZNS0_12_GLOBAL__N_119airy_ai_kernel_cudaERNS_18TensorIteratorBaseEENKUlvE_clEvENKUlvE0_clEvEUlfE_St5arrayIPcLm2EEEEviT0_T1_.numbered_sgpr, max(33, .L_ZN2at6native25elementwise_kernel_helperILb0EZZZNS0_12_GLOBAL__N_119airy_ai_kernel_cudaERNS_18TensorIteratorBaseEENKUlvE_clEvENKUlvE0_clEvEUlfE_NS0_6memory8policies10vectorizedILi4ESt5arrayIPcLm2EELi4EEEEEvT0_T1_.numbered_sgpr, .L_ZN2at6native25elementwise_kernel_helperILb0EZZZNS0_12_GLOBAL__N_119airy_ai_kernel_cudaERNS_18TensorIteratorBaseEENKUlvE_clEvENKUlvE0_clEvEUlfE_NS0_6memory8policies11unroll_baseILi256ESt5arrayIPcLm2EE23TrivialOffsetCalculatorILi1EjESF_NS8_15LoadWithoutCastENS8_16StoreWithoutCastELi4ELi1EEEEEvT0_T1_.numbered_sgpr)
	.set _ZN2at6native29vectorized_elementwise_kernelILi16EZZZNS0_12_GLOBAL__N_119airy_ai_kernel_cudaERNS_18TensorIteratorBaseEENKUlvE_clEvENKUlvE0_clEvEUlfE_St5arrayIPcLm2EEEEviT0_T1_.num_named_barrier, max(0, .L_ZN2at6native25elementwise_kernel_helperILb0EZZZNS0_12_GLOBAL__N_119airy_ai_kernel_cudaERNS_18TensorIteratorBaseEENKUlvE_clEvENKUlvE0_clEvEUlfE_NS0_6memory8policies10vectorizedILi4ESt5arrayIPcLm2EELi4EEEEEvT0_T1_.num_named_barrier, .L_ZN2at6native25elementwise_kernel_helperILb0EZZZNS0_12_GLOBAL__N_119airy_ai_kernel_cudaERNS_18TensorIteratorBaseEENKUlvE_clEvENKUlvE0_clEvEUlfE_NS0_6memory8policies11unroll_baseILi256ESt5arrayIPcLm2EE23TrivialOffsetCalculatorILi1EjESF_NS8_15LoadWithoutCastENS8_16StoreWithoutCastELi4ELi1EEEEEvT0_T1_.num_named_barrier)
	.set _ZN2at6native29vectorized_elementwise_kernelILi16EZZZNS0_12_GLOBAL__N_119airy_ai_kernel_cudaERNS_18TensorIteratorBaseEENKUlvE_clEvENKUlvE0_clEvEUlfE_St5arrayIPcLm2EEEEviT0_T1_.private_seg_size, 0+max(.L_ZN2at6native25elementwise_kernel_helperILb0EZZZNS0_12_GLOBAL__N_119airy_ai_kernel_cudaERNS_18TensorIteratorBaseEENKUlvE_clEvENKUlvE0_clEvEUlfE_NS0_6memory8policies10vectorizedILi4ESt5arrayIPcLm2EELi4EEEEEvT0_T1_.private_seg_size, .L_ZN2at6native25elementwise_kernel_helperILb0EZZZNS0_12_GLOBAL__N_119airy_ai_kernel_cudaERNS_18TensorIteratorBaseEENKUlvE_clEvENKUlvE0_clEvEUlfE_NS0_6memory8policies11unroll_baseILi256ESt5arrayIPcLm2EE23TrivialOffsetCalculatorILi1EjESF_NS8_15LoadWithoutCastENS8_16StoreWithoutCastELi4ELi1EEEEEvT0_T1_.private_seg_size)
	.set _ZN2at6native29vectorized_elementwise_kernelILi16EZZZNS0_12_GLOBAL__N_119airy_ai_kernel_cudaERNS_18TensorIteratorBaseEENKUlvE_clEvENKUlvE0_clEvEUlfE_St5arrayIPcLm2EEEEviT0_T1_.uses_vcc, or(1, .L_ZN2at6native25elementwise_kernel_helperILb0EZZZNS0_12_GLOBAL__N_119airy_ai_kernel_cudaERNS_18TensorIteratorBaseEENKUlvE_clEvENKUlvE0_clEvEUlfE_NS0_6memory8policies10vectorizedILi4ESt5arrayIPcLm2EELi4EEEEEvT0_T1_.uses_vcc, .L_ZN2at6native25elementwise_kernel_helperILb0EZZZNS0_12_GLOBAL__N_119airy_ai_kernel_cudaERNS_18TensorIteratorBaseEENKUlvE_clEvENKUlvE0_clEvEUlfE_NS0_6memory8policies11unroll_baseILi256ESt5arrayIPcLm2EE23TrivialOffsetCalculatorILi1EjESF_NS8_15LoadWithoutCastENS8_16StoreWithoutCastELi4ELi1EEEEEvT0_T1_.uses_vcc)
	.set _ZN2at6native29vectorized_elementwise_kernelILi16EZZZNS0_12_GLOBAL__N_119airy_ai_kernel_cudaERNS_18TensorIteratorBaseEENKUlvE_clEvENKUlvE0_clEvEUlfE_St5arrayIPcLm2EEEEviT0_T1_.uses_flat_scratch, or(0, .L_ZN2at6native25elementwise_kernel_helperILb0EZZZNS0_12_GLOBAL__N_119airy_ai_kernel_cudaERNS_18TensorIteratorBaseEENKUlvE_clEvENKUlvE0_clEvEUlfE_NS0_6memory8policies10vectorizedILi4ESt5arrayIPcLm2EELi4EEEEEvT0_T1_.uses_flat_scratch, .L_ZN2at6native25elementwise_kernel_helperILb0EZZZNS0_12_GLOBAL__N_119airy_ai_kernel_cudaERNS_18TensorIteratorBaseEENKUlvE_clEvENKUlvE0_clEvEUlfE_NS0_6memory8policies11unroll_baseILi256ESt5arrayIPcLm2EE23TrivialOffsetCalculatorILi1EjESF_NS8_15LoadWithoutCastENS8_16StoreWithoutCastELi4ELi1EEEEEvT0_T1_.uses_flat_scratch)
	.set _ZN2at6native29vectorized_elementwise_kernelILi16EZZZNS0_12_GLOBAL__N_119airy_ai_kernel_cudaERNS_18TensorIteratorBaseEENKUlvE_clEvENKUlvE0_clEvEUlfE_St5arrayIPcLm2EEEEviT0_T1_.has_dyn_sized_stack, or(0, .L_ZN2at6native25elementwise_kernel_helperILb0EZZZNS0_12_GLOBAL__N_119airy_ai_kernel_cudaERNS_18TensorIteratorBaseEENKUlvE_clEvENKUlvE0_clEvEUlfE_NS0_6memory8policies10vectorizedILi4ESt5arrayIPcLm2EELi4EEEEEvT0_T1_.has_dyn_sized_stack, .L_ZN2at6native25elementwise_kernel_helperILb0EZZZNS0_12_GLOBAL__N_119airy_ai_kernel_cudaERNS_18TensorIteratorBaseEENKUlvE_clEvENKUlvE0_clEvEUlfE_NS0_6memory8policies11unroll_baseILi256ESt5arrayIPcLm2EE23TrivialOffsetCalculatorILi1EjESF_NS8_15LoadWithoutCastENS8_16StoreWithoutCastELi4ELi1EEEEEvT0_T1_.has_dyn_sized_stack)
	.set _ZN2at6native29vectorized_elementwise_kernelILi16EZZZNS0_12_GLOBAL__N_119airy_ai_kernel_cudaERNS_18TensorIteratorBaseEENKUlvE_clEvENKUlvE0_clEvEUlfE_St5arrayIPcLm2EEEEviT0_T1_.has_recursion, or(0, .L_ZN2at6native25elementwise_kernel_helperILb0EZZZNS0_12_GLOBAL__N_119airy_ai_kernel_cudaERNS_18TensorIteratorBaseEENKUlvE_clEvENKUlvE0_clEvEUlfE_NS0_6memory8policies10vectorizedILi4ESt5arrayIPcLm2EELi4EEEEEvT0_T1_.has_recursion, .L_ZN2at6native25elementwise_kernel_helperILb0EZZZNS0_12_GLOBAL__N_119airy_ai_kernel_cudaERNS_18TensorIteratorBaseEENKUlvE_clEvENKUlvE0_clEvEUlfE_NS0_6memory8policies11unroll_baseILi256ESt5arrayIPcLm2EE23TrivialOffsetCalculatorILi1EjESF_NS8_15LoadWithoutCastENS8_16StoreWithoutCastELi4ELi1EEEEEvT0_T1_.has_recursion)
	.set _ZN2at6native29vectorized_elementwise_kernelILi16EZZZNS0_12_GLOBAL__N_119airy_ai_kernel_cudaERNS_18TensorIteratorBaseEENKUlvE_clEvENKUlvE0_clEvEUlfE_St5arrayIPcLm2EEEEviT0_T1_.has_indirect_call, or(0, .L_ZN2at6native25elementwise_kernel_helperILb0EZZZNS0_12_GLOBAL__N_119airy_ai_kernel_cudaERNS_18TensorIteratorBaseEENKUlvE_clEvENKUlvE0_clEvEUlfE_NS0_6memory8policies10vectorizedILi4ESt5arrayIPcLm2EELi4EEEEEvT0_T1_.has_indirect_call, .L_ZN2at6native25elementwise_kernel_helperILb0EZZZNS0_12_GLOBAL__N_119airy_ai_kernel_cudaERNS_18TensorIteratorBaseEENKUlvE_clEvENKUlvE0_clEvEUlfE_NS0_6memory8policies11unroll_baseILi256ESt5arrayIPcLm2EE23TrivialOffsetCalculatorILi1EjESF_NS8_15LoadWithoutCastENS8_16StoreWithoutCastELi4ELi1EEEEEvT0_T1_.has_indirect_call)
	.section	.AMDGPU.csdata,"",@progbits
; Kernel info:
; codeLenInByte = 184
; TotalNumSgprs: 35
; NumVgprs: 38
; ScratchSize: 0
; MemoryBound: 0
; FloatMode: 240
; IeeeMode: 1
; LDSByteSize: 0 bytes/workgroup (compile time only)
; SGPRBlocks: 0
; VGPRBlocks: 4
; NumSGPRsForWavesPerEU: 35
; NumVGPRsForWavesPerEU: 38
; Occupancy: 16
; WaveLimiterHint : 0
; COMPUTE_PGM_RSRC2:SCRATCH_EN: 0
; COMPUTE_PGM_RSRC2:USER_SGPR: 6
; COMPUTE_PGM_RSRC2:TRAP_HANDLER: 0
; COMPUTE_PGM_RSRC2:TGID_X_EN: 1
; COMPUTE_PGM_RSRC2:TGID_Y_EN: 0
; COMPUTE_PGM_RSRC2:TGID_Z_EN: 0
; COMPUTE_PGM_RSRC2:TIDIG_COMP_CNT: 0
	.section	.text._ZN2at6native29vectorized_elementwise_kernelILi8EZZZNS0_12_GLOBAL__N_119airy_ai_kernel_cudaERNS_18TensorIteratorBaseEENKUlvE_clEvENKUlvE0_clEvEUlfE_St5arrayIPcLm2EEEEviT0_T1_,"axG",@progbits,_ZN2at6native29vectorized_elementwise_kernelILi8EZZZNS0_12_GLOBAL__N_119airy_ai_kernel_cudaERNS_18TensorIteratorBaseEENKUlvE_clEvENKUlvE0_clEvEUlfE_St5arrayIPcLm2EEEEviT0_T1_,comdat
	.globl	_ZN2at6native29vectorized_elementwise_kernelILi8EZZZNS0_12_GLOBAL__N_119airy_ai_kernel_cudaERNS_18TensorIteratorBaseEENKUlvE_clEvENKUlvE0_clEvEUlfE_St5arrayIPcLm2EEEEviT0_T1_ ; -- Begin function _ZN2at6native29vectorized_elementwise_kernelILi8EZZZNS0_12_GLOBAL__N_119airy_ai_kernel_cudaERNS_18TensorIteratorBaseEENKUlvE_clEvENKUlvE0_clEvEUlfE_St5arrayIPcLm2EEEEviT0_T1_
	.p2align	8
	.type	_ZN2at6native29vectorized_elementwise_kernelILi8EZZZNS0_12_GLOBAL__N_119airy_ai_kernel_cudaERNS_18TensorIteratorBaseEENKUlvE_clEvENKUlvE0_clEvEUlfE_St5arrayIPcLm2EEEEviT0_T1_,@function
_ZN2at6native29vectorized_elementwise_kernelILi8EZZZNS0_12_GLOBAL__N_119airy_ai_kernel_cudaERNS_18TensorIteratorBaseEENKUlvE_clEvENKUlvE0_clEvEUlfE_St5arrayIPcLm2EEEEviT0_T1_: ; @_ZN2at6native29vectorized_elementwise_kernelILi8EZZZNS0_12_GLOBAL__N_119airy_ai_kernel_cudaERNS_18TensorIteratorBaseEENKUlvE_clEvENKUlvE0_clEvEUlfE_St5arrayIPcLm2EEEEviT0_T1_
; %bb.0:
	s_mov_b32 s13, s6
	s_clause 0x1
	s_load_dword s6, s[4:5], 0x0
	s_load_dwordx4 s[16:19], s[4:5], 0x8
	s_add_u32 s0, s0, s7
	s_addc_u32 s1, s1, 0
	s_lshl_b32 s4, s13, 10
	v_mov_b32_e32 v34, v0
	s_mov_b32 s32, 0
	s_waitcnt lgkmcnt(0)
	s_sub_i32 s14, s6, s4
	s_mov_b32 s4, -1
	s_cmpk_gt_i32 s14, 0x3ff
	s_cbranch_scc1 .LBB15_3
; %bb.1:
	s_andn2_b32 vcc_lo, exec_lo, s4
	s_cbranch_vccz .LBB15_4
.LBB15_2:
	s_endpgm
.LBB15_3:
	v_mov_b32_e32 v31, v34
	v_mov_b32_e32 v0, s16
	;; [unrolled: 1-line block ×5, first 2 shown]
	s_getpc_b64 s[4:5]
	s_add_u32 s4, s4, _ZN2at6native25elementwise_kernel_helperILb0EZZZNS0_12_GLOBAL__N_119airy_ai_kernel_cudaERNS_18TensorIteratorBaseEENKUlvE_clEvENKUlvE0_clEvEUlfE_NS0_6memory8policies10vectorizedILi4ESt5arrayIPcLm2EELi4EEEEEvT0_T1_@rel32@lo+4
	s_addc_u32 s5, s5, _ZN2at6native25elementwise_kernel_helperILb0EZZZNS0_12_GLOBAL__N_119airy_ai_kernel_cudaERNS_18TensorIteratorBaseEENKUlvE_clEvENKUlvE0_clEvEUlfE_NS0_6memory8policies10vectorizedILi4ESt5arrayIPcLm2EELi4EEEEEvT0_T1_@rel32@hi+12
	s_mov_b32 s12, s13
	s_swappc_b64 s[30:31], s[4:5]
	s_cbranch_execnz .LBB15_2
.LBB15_4:
	v_mov_b32_e32 v31, v34
	v_mov_b32_e32 v0, s16
	;; [unrolled: 1-line block ×6, first 2 shown]
	s_getpc_b64 s[4:5]
	s_add_u32 s4, s4, _ZN2at6native25elementwise_kernel_helperILb0EZZZNS0_12_GLOBAL__N_119airy_ai_kernel_cudaERNS_18TensorIteratorBaseEENKUlvE_clEvENKUlvE0_clEvEUlfE_NS0_6memory8policies11unroll_baseILi256ESt5arrayIPcLm2EE23TrivialOffsetCalculatorILi1EjESF_NS8_15LoadWithoutCastENS8_16StoreWithoutCastELi4ELi1EEEEEvT0_T1_@rel32@lo+4
	s_addc_u32 s5, s5, _ZN2at6native25elementwise_kernel_helperILb0EZZZNS0_12_GLOBAL__N_119airy_ai_kernel_cudaERNS_18TensorIteratorBaseEENKUlvE_clEvENKUlvE0_clEvEUlfE_NS0_6memory8policies11unroll_baseILi256ESt5arrayIPcLm2EE23TrivialOffsetCalculatorILi1EjESF_NS8_15LoadWithoutCastENS8_16StoreWithoutCastELi4ELi1EEEEEvT0_T1_@rel32@hi+12
	s_mov_b32 s12, s13
	s_swappc_b64 s[30:31], s[4:5]
	s_endpgm
	.section	.rodata,"a",@progbits
	.p2align	6, 0x0
	.amdhsa_kernel _ZN2at6native29vectorized_elementwise_kernelILi8EZZZNS0_12_GLOBAL__N_119airy_ai_kernel_cudaERNS_18TensorIteratorBaseEENKUlvE_clEvENKUlvE0_clEvEUlfE_St5arrayIPcLm2EEEEviT0_T1_
		.amdhsa_group_segment_fixed_size 0
		.amdhsa_private_segment_fixed_size 0
		.amdhsa_kernarg_size 24
		.amdhsa_user_sgpr_count 6
		.amdhsa_user_sgpr_private_segment_buffer 1
		.amdhsa_user_sgpr_dispatch_ptr 0
		.amdhsa_user_sgpr_queue_ptr 0
		.amdhsa_user_sgpr_kernarg_segment_ptr 1
		.amdhsa_user_sgpr_dispatch_id 0
		.amdhsa_user_sgpr_flat_scratch_init 0
		.amdhsa_user_sgpr_private_segment_size 0
		.amdhsa_wavefront_size32 1
		.amdhsa_uses_dynamic_stack 0
		.amdhsa_system_sgpr_private_segment_wavefront_offset 0
		.amdhsa_system_sgpr_workgroup_id_x 1
		.amdhsa_system_sgpr_workgroup_id_y 0
		.amdhsa_system_sgpr_workgroup_id_z 0
		.amdhsa_system_sgpr_workgroup_info 0
		.amdhsa_system_vgpr_workitem_id 0
		.amdhsa_next_free_vgpr 38
		.amdhsa_next_free_sgpr 33
		.amdhsa_reserve_vcc 1
		.amdhsa_reserve_flat_scratch 0
		.amdhsa_float_round_mode_32 0
		.amdhsa_float_round_mode_16_64 0
		.amdhsa_float_denorm_mode_32 3
		.amdhsa_float_denorm_mode_16_64 3
		.amdhsa_dx10_clamp 1
		.amdhsa_ieee_mode 1
		.amdhsa_fp16_overflow 0
		.amdhsa_workgroup_processor_mode 1
		.amdhsa_memory_ordered 1
		.amdhsa_forward_progress 1
		.amdhsa_shared_vgpr_count 0
		.amdhsa_exception_fp_ieee_invalid_op 0
		.amdhsa_exception_fp_denorm_src 0
		.amdhsa_exception_fp_ieee_div_zero 0
		.amdhsa_exception_fp_ieee_overflow 0
		.amdhsa_exception_fp_ieee_underflow 0
		.amdhsa_exception_fp_ieee_inexact 0
		.amdhsa_exception_int_div_zero 0
	.end_amdhsa_kernel
	.section	.text._ZN2at6native29vectorized_elementwise_kernelILi8EZZZNS0_12_GLOBAL__N_119airy_ai_kernel_cudaERNS_18TensorIteratorBaseEENKUlvE_clEvENKUlvE0_clEvEUlfE_St5arrayIPcLm2EEEEviT0_T1_,"axG",@progbits,_ZN2at6native29vectorized_elementwise_kernelILi8EZZZNS0_12_GLOBAL__N_119airy_ai_kernel_cudaERNS_18TensorIteratorBaseEENKUlvE_clEvENKUlvE0_clEvEUlfE_St5arrayIPcLm2EEEEviT0_T1_,comdat
.Lfunc_end15:
	.size	_ZN2at6native29vectorized_elementwise_kernelILi8EZZZNS0_12_GLOBAL__N_119airy_ai_kernel_cudaERNS_18TensorIteratorBaseEENKUlvE_clEvENKUlvE0_clEvEUlfE_St5arrayIPcLm2EEEEviT0_T1_, .Lfunc_end15-_ZN2at6native29vectorized_elementwise_kernelILi8EZZZNS0_12_GLOBAL__N_119airy_ai_kernel_cudaERNS_18TensorIteratorBaseEENKUlvE_clEvENKUlvE0_clEvEUlfE_St5arrayIPcLm2EEEEviT0_T1_
                                        ; -- End function
	.set _ZN2at6native29vectorized_elementwise_kernelILi8EZZZNS0_12_GLOBAL__N_119airy_ai_kernel_cudaERNS_18TensorIteratorBaseEENKUlvE_clEvENKUlvE0_clEvEUlfE_St5arrayIPcLm2EEEEviT0_T1_.num_vgpr, max(35, .L_ZN2at6native25elementwise_kernel_helperILb0EZZZNS0_12_GLOBAL__N_119airy_ai_kernel_cudaERNS_18TensorIteratorBaseEENKUlvE_clEvENKUlvE0_clEvEUlfE_NS0_6memory8policies10vectorizedILi4ESt5arrayIPcLm2EELi4EEEEEvT0_T1_.num_vgpr, .L_ZN2at6native25elementwise_kernel_helperILb0EZZZNS0_12_GLOBAL__N_119airy_ai_kernel_cudaERNS_18TensorIteratorBaseEENKUlvE_clEvENKUlvE0_clEvEUlfE_NS0_6memory8policies11unroll_baseILi256ESt5arrayIPcLm2EE23TrivialOffsetCalculatorILi1EjESF_NS8_15LoadWithoutCastENS8_16StoreWithoutCastELi4ELi1EEEEEvT0_T1_.num_vgpr)
	.set _ZN2at6native29vectorized_elementwise_kernelILi8EZZZNS0_12_GLOBAL__N_119airy_ai_kernel_cudaERNS_18TensorIteratorBaseEENKUlvE_clEvENKUlvE0_clEvEUlfE_St5arrayIPcLm2EEEEviT0_T1_.num_agpr, max(0, .L_ZN2at6native25elementwise_kernel_helperILb0EZZZNS0_12_GLOBAL__N_119airy_ai_kernel_cudaERNS_18TensorIteratorBaseEENKUlvE_clEvENKUlvE0_clEvEUlfE_NS0_6memory8policies10vectorizedILi4ESt5arrayIPcLm2EELi4EEEEEvT0_T1_.num_agpr, .L_ZN2at6native25elementwise_kernel_helperILb0EZZZNS0_12_GLOBAL__N_119airy_ai_kernel_cudaERNS_18TensorIteratorBaseEENKUlvE_clEvENKUlvE0_clEvEUlfE_NS0_6memory8policies11unroll_baseILi256ESt5arrayIPcLm2EE23TrivialOffsetCalculatorILi1EjESF_NS8_15LoadWithoutCastENS8_16StoreWithoutCastELi4ELi1EEEEEvT0_T1_.num_agpr)
	.set _ZN2at6native29vectorized_elementwise_kernelILi8EZZZNS0_12_GLOBAL__N_119airy_ai_kernel_cudaERNS_18TensorIteratorBaseEENKUlvE_clEvENKUlvE0_clEvEUlfE_St5arrayIPcLm2EEEEviT0_T1_.numbered_sgpr, max(33, .L_ZN2at6native25elementwise_kernel_helperILb0EZZZNS0_12_GLOBAL__N_119airy_ai_kernel_cudaERNS_18TensorIteratorBaseEENKUlvE_clEvENKUlvE0_clEvEUlfE_NS0_6memory8policies10vectorizedILi4ESt5arrayIPcLm2EELi4EEEEEvT0_T1_.numbered_sgpr, .L_ZN2at6native25elementwise_kernel_helperILb0EZZZNS0_12_GLOBAL__N_119airy_ai_kernel_cudaERNS_18TensorIteratorBaseEENKUlvE_clEvENKUlvE0_clEvEUlfE_NS0_6memory8policies11unroll_baseILi256ESt5arrayIPcLm2EE23TrivialOffsetCalculatorILi1EjESF_NS8_15LoadWithoutCastENS8_16StoreWithoutCastELi4ELi1EEEEEvT0_T1_.numbered_sgpr)
	.set _ZN2at6native29vectorized_elementwise_kernelILi8EZZZNS0_12_GLOBAL__N_119airy_ai_kernel_cudaERNS_18TensorIteratorBaseEENKUlvE_clEvENKUlvE0_clEvEUlfE_St5arrayIPcLm2EEEEviT0_T1_.num_named_barrier, max(0, .L_ZN2at6native25elementwise_kernel_helperILb0EZZZNS0_12_GLOBAL__N_119airy_ai_kernel_cudaERNS_18TensorIteratorBaseEENKUlvE_clEvENKUlvE0_clEvEUlfE_NS0_6memory8policies10vectorizedILi4ESt5arrayIPcLm2EELi4EEEEEvT0_T1_.num_named_barrier, .L_ZN2at6native25elementwise_kernel_helperILb0EZZZNS0_12_GLOBAL__N_119airy_ai_kernel_cudaERNS_18TensorIteratorBaseEENKUlvE_clEvENKUlvE0_clEvEUlfE_NS0_6memory8policies11unroll_baseILi256ESt5arrayIPcLm2EE23TrivialOffsetCalculatorILi1EjESF_NS8_15LoadWithoutCastENS8_16StoreWithoutCastELi4ELi1EEEEEvT0_T1_.num_named_barrier)
	.set _ZN2at6native29vectorized_elementwise_kernelILi8EZZZNS0_12_GLOBAL__N_119airy_ai_kernel_cudaERNS_18TensorIteratorBaseEENKUlvE_clEvENKUlvE0_clEvEUlfE_St5arrayIPcLm2EEEEviT0_T1_.private_seg_size, 0+max(.L_ZN2at6native25elementwise_kernel_helperILb0EZZZNS0_12_GLOBAL__N_119airy_ai_kernel_cudaERNS_18TensorIteratorBaseEENKUlvE_clEvENKUlvE0_clEvEUlfE_NS0_6memory8policies10vectorizedILi4ESt5arrayIPcLm2EELi4EEEEEvT0_T1_.private_seg_size, .L_ZN2at6native25elementwise_kernel_helperILb0EZZZNS0_12_GLOBAL__N_119airy_ai_kernel_cudaERNS_18TensorIteratorBaseEENKUlvE_clEvENKUlvE0_clEvEUlfE_NS0_6memory8policies11unroll_baseILi256ESt5arrayIPcLm2EE23TrivialOffsetCalculatorILi1EjESF_NS8_15LoadWithoutCastENS8_16StoreWithoutCastELi4ELi1EEEEEvT0_T1_.private_seg_size)
	.set _ZN2at6native29vectorized_elementwise_kernelILi8EZZZNS0_12_GLOBAL__N_119airy_ai_kernel_cudaERNS_18TensorIteratorBaseEENKUlvE_clEvENKUlvE0_clEvEUlfE_St5arrayIPcLm2EEEEviT0_T1_.uses_vcc, or(1, .L_ZN2at6native25elementwise_kernel_helperILb0EZZZNS0_12_GLOBAL__N_119airy_ai_kernel_cudaERNS_18TensorIteratorBaseEENKUlvE_clEvENKUlvE0_clEvEUlfE_NS0_6memory8policies10vectorizedILi4ESt5arrayIPcLm2EELi4EEEEEvT0_T1_.uses_vcc, .L_ZN2at6native25elementwise_kernel_helperILb0EZZZNS0_12_GLOBAL__N_119airy_ai_kernel_cudaERNS_18TensorIteratorBaseEENKUlvE_clEvENKUlvE0_clEvEUlfE_NS0_6memory8policies11unroll_baseILi256ESt5arrayIPcLm2EE23TrivialOffsetCalculatorILi1EjESF_NS8_15LoadWithoutCastENS8_16StoreWithoutCastELi4ELi1EEEEEvT0_T1_.uses_vcc)
	.set _ZN2at6native29vectorized_elementwise_kernelILi8EZZZNS0_12_GLOBAL__N_119airy_ai_kernel_cudaERNS_18TensorIteratorBaseEENKUlvE_clEvENKUlvE0_clEvEUlfE_St5arrayIPcLm2EEEEviT0_T1_.uses_flat_scratch, or(0, .L_ZN2at6native25elementwise_kernel_helperILb0EZZZNS0_12_GLOBAL__N_119airy_ai_kernel_cudaERNS_18TensorIteratorBaseEENKUlvE_clEvENKUlvE0_clEvEUlfE_NS0_6memory8policies10vectorizedILi4ESt5arrayIPcLm2EELi4EEEEEvT0_T1_.uses_flat_scratch, .L_ZN2at6native25elementwise_kernel_helperILb0EZZZNS0_12_GLOBAL__N_119airy_ai_kernel_cudaERNS_18TensorIteratorBaseEENKUlvE_clEvENKUlvE0_clEvEUlfE_NS0_6memory8policies11unroll_baseILi256ESt5arrayIPcLm2EE23TrivialOffsetCalculatorILi1EjESF_NS8_15LoadWithoutCastENS8_16StoreWithoutCastELi4ELi1EEEEEvT0_T1_.uses_flat_scratch)
	.set _ZN2at6native29vectorized_elementwise_kernelILi8EZZZNS0_12_GLOBAL__N_119airy_ai_kernel_cudaERNS_18TensorIteratorBaseEENKUlvE_clEvENKUlvE0_clEvEUlfE_St5arrayIPcLm2EEEEviT0_T1_.has_dyn_sized_stack, or(0, .L_ZN2at6native25elementwise_kernel_helperILb0EZZZNS0_12_GLOBAL__N_119airy_ai_kernel_cudaERNS_18TensorIteratorBaseEENKUlvE_clEvENKUlvE0_clEvEUlfE_NS0_6memory8policies10vectorizedILi4ESt5arrayIPcLm2EELi4EEEEEvT0_T1_.has_dyn_sized_stack, .L_ZN2at6native25elementwise_kernel_helperILb0EZZZNS0_12_GLOBAL__N_119airy_ai_kernel_cudaERNS_18TensorIteratorBaseEENKUlvE_clEvENKUlvE0_clEvEUlfE_NS0_6memory8policies11unroll_baseILi256ESt5arrayIPcLm2EE23TrivialOffsetCalculatorILi1EjESF_NS8_15LoadWithoutCastENS8_16StoreWithoutCastELi4ELi1EEEEEvT0_T1_.has_dyn_sized_stack)
	.set _ZN2at6native29vectorized_elementwise_kernelILi8EZZZNS0_12_GLOBAL__N_119airy_ai_kernel_cudaERNS_18TensorIteratorBaseEENKUlvE_clEvENKUlvE0_clEvEUlfE_St5arrayIPcLm2EEEEviT0_T1_.has_recursion, or(0, .L_ZN2at6native25elementwise_kernel_helperILb0EZZZNS0_12_GLOBAL__N_119airy_ai_kernel_cudaERNS_18TensorIteratorBaseEENKUlvE_clEvENKUlvE0_clEvEUlfE_NS0_6memory8policies10vectorizedILi4ESt5arrayIPcLm2EELi4EEEEEvT0_T1_.has_recursion, .L_ZN2at6native25elementwise_kernel_helperILb0EZZZNS0_12_GLOBAL__N_119airy_ai_kernel_cudaERNS_18TensorIteratorBaseEENKUlvE_clEvENKUlvE0_clEvEUlfE_NS0_6memory8policies11unroll_baseILi256ESt5arrayIPcLm2EE23TrivialOffsetCalculatorILi1EjESF_NS8_15LoadWithoutCastENS8_16StoreWithoutCastELi4ELi1EEEEEvT0_T1_.has_recursion)
	.set _ZN2at6native29vectorized_elementwise_kernelILi8EZZZNS0_12_GLOBAL__N_119airy_ai_kernel_cudaERNS_18TensorIteratorBaseEENKUlvE_clEvENKUlvE0_clEvEUlfE_St5arrayIPcLm2EEEEviT0_T1_.has_indirect_call, or(0, .L_ZN2at6native25elementwise_kernel_helperILb0EZZZNS0_12_GLOBAL__N_119airy_ai_kernel_cudaERNS_18TensorIteratorBaseEENKUlvE_clEvENKUlvE0_clEvEUlfE_NS0_6memory8policies10vectorizedILi4ESt5arrayIPcLm2EELi4EEEEEvT0_T1_.has_indirect_call, .L_ZN2at6native25elementwise_kernel_helperILb0EZZZNS0_12_GLOBAL__N_119airy_ai_kernel_cudaERNS_18TensorIteratorBaseEENKUlvE_clEvENKUlvE0_clEvEUlfE_NS0_6memory8policies11unroll_baseILi256ESt5arrayIPcLm2EE23TrivialOffsetCalculatorILi1EjESF_NS8_15LoadWithoutCastENS8_16StoreWithoutCastELi4ELi1EEEEEvT0_T1_.has_indirect_call)
	.section	.AMDGPU.csdata,"",@progbits
; Kernel info:
; codeLenInByte = 184
; TotalNumSgprs: 35
; NumVgprs: 38
; ScratchSize: 0
; MemoryBound: 0
; FloatMode: 240
; IeeeMode: 1
; LDSByteSize: 0 bytes/workgroup (compile time only)
; SGPRBlocks: 0
; VGPRBlocks: 4
; NumSGPRsForWavesPerEU: 35
; NumVGPRsForWavesPerEU: 38
; Occupancy: 16
; WaveLimiterHint : 0
; COMPUTE_PGM_RSRC2:SCRATCH_EN: 0
; COMPUTE_PGM_RSRC2:USER_SGPR: 6
; COMPUTE_PGM_RSRC2:TRAP_HANDLER: 0
; COMPUTE_PGM_RSRC2:TGID_X_EN: 1
; COMPUTE_PGM_RSRC2:TGID_Y_EN: 0
; COMPUTE_PGM_RSRC2:TGID_Z_EN: 0
; COMPUTE_PGM_RSRC2:TIDIG_COMP_CNT: 0
	.section	.text._ZN2at6native29vectorized_elementwise_kernelILi4EZZZNS0_12_GLOBAL__N_119airy_ai_kernel_cudaERNS_18TensorIteratorBaseEENKUlvE_clEvENKUlvE0_clEvEUlfE_St5arrayIPcLm2EEEEviT0_T1_,"axG",@progbits,_ZN2at6native29vectorized_elementwise_kernelILi4EZZZNS0_12_GLOBAL__N_119airy_ai_kernel_cudaERNS_18TensorIteratorBaseEENKUlvE_clEvENKUlvE0_clEvEUlfE_St5arrayIPcLm2EEEEviT0_T1_,comdat
	.globl	_ZN2at6native29vectorized_elementwise_kernelILi4EZZZNS0_12_GLOBAL__N_119airy_ai_kernel_cudaERNS_18TensorIteratorBaseEENKUlvE_clEvENKUlvE0_clEvEUlfE_St5arrayIPcLm2EEEEviT0_T1_ ; -- Begin function _ZN2at6native29vectorized_elementwise_kernelILi4EZZZNS0_12_GLOBAL__N_119airy_ai_kernel_cudaERNS_18TensorIteratorBaseEENKUlvE_clEvENKUlvE0_clEvEUlfE_St5arrayIPcLm2EEEEviT0_T1_
	.p2align	8
	.type	_ZN2at6native29vectorized_elementwise_kernelILi4EZZZNS0_12_GLOBAL__N_119airy_ai_kernel_cudaERNS_18TensorIteratorBaseEENKUlvE_clEvENKUlvE0_clEvEUlfE_St5arrayIPcLm2EEEEviT0_T1_,@function
_ZN2at6native29vectorized_elementwise_kernelILi4EZZZNS0_12_GLOBAL__N_119airy_ai_kernel_cudaERNS_18TensorIteratorBaseEENKUlvE_clEvENKUlvE0_clEvEUlfE_St5arrayIPcLm2EEEEviT0_T1_: ; @_ZN2at6native29vectorized_elementwise_kernelILi4EZZZNS0_12_GLOBAL__N_119airy_ai_kernel_cudaERNS_18TensorIteratorBaseEENKUlvE_clEvENKUlvE0_clEvEUlfE_St5arrayIPcLm2EEEEviT0_T1_
; %bb.0:
	s_mov_b32 s13, s6
	s_clause 0x1
	s_load_dword s6, s[4:5], 0x0
	s_load_dwordx4 s[16:19], s[4:5], 0x8
	s_add_u32 s0, s0, s7
	s_addc_u32 s1, s1, 0
	s_lshl_b32 s4, s13, 10
	v_mov_b32_e32 v34, v0
	s_mov_b32 s32, 0
	s_waitcnt lgkmcnt(0)
	s_sub_i32 s14, s6, s4
	s_mov_b32 s4, -1
	s_cmpk_gt_i32 s14, 0x3ff
	s_cbranch_scc1 .LBB16_3
; %bb.1:
	s_andn2_b32 vcc_lo, exec_lo, s4
	s_cbranch_vccz .LBB16_4
.LBB16_2:
	s_endpgm
.LBB16_3:
	v_mov_b32_e32 v31, v34
	v_mov_b32_e32 v0, s16
	;; [unrolled: 1-line block ×5, first 2 shown]
	s_getpc_b64 s[4:5]
	s_add_u32 s4, s4, _ZN2at6native25elementwise_kernel_helperILb0EZZZNS0_12_GLOBAL__N_119airy_ai_kernel_cudaERNS_18TensorIteratorBaseEENKUlvE_clEvENKUlvE0_clEvEUlfE_NS0_6memory8policies10vectorizedILi4ESt5arrayIPcLm2EELi4EEEEEvT0_T1_@rel32@lo+4
	s_addc_u32 s5, s5, _ZN2at6native25elementwise_kernel_helperILb0EZZZNS0_12_GLOBAL__N_119airy_ai_kernel_cudaERNS_18TensorIteratorBaseEENKUlvE_clEvENKUlvE0_clEvEUlfE_NS0_6memory8policies10vectorizedILi4ESt5arrayIPcLm2EELi4EEEEEvT0_T1_@rel32@hi+12
	s_mov_b32 s12, s13
	s_swappc_b64 s[30:31], s[4:5]
	s_cbranch_execnz .LBB16_2
.LBB16_4:
	v_mov_b32_e32 v31, v34
	v_mov_b32_e32 v0, s16
	v_mov_b32_e32 v1, s17
	v_mov_b32_e32 v2, s18
	v_mov_b32_e32 v3, s19
	v_mov_b32_e32 v4, s14
	s_getpc_b64 s[4:5]
	s_add_u32 s4, s4, _ZN2at6native25elementwise_kernel_helperILb0EZZZNS0_12_GLOBAL__N_119airy_ai_kernel_cudaERNS_18TensorIteratorBaseEENKUlvE_clEvENKUlvE0_clEvEUlfE_NS0_6memory8policies11unroll_baseILi256ESt5arrayIPcLm2EE23TrivialOffsetCalculatorILi1EjESF_NS8_15LoadWithoutCastENS8_16StoreWithoutCastELi4ELi1EEEEEvT0_T1_@rel32@lo+4
	s_addc_u32 s5, s5, _ZN2at6native25elementwise_kernel_helperILb0EZZZNS0_12_GLOBAL__N_119airy_ai_kernel_cudaERNS_18TensorIteratorBaseEENKUlvE_clEvENKUlvE0_clEvEUlfE_NS0_6memory8policies11unroll_baseILi256ESt5arrayIPcLm2EE23TrivialOffsetCalculatorILi1EjESF_NS8_15LoadWithoutCastENS8_16StoreWithoutCastELi4ELi1EEEEEvT0_T1_@rel32@hi+12
	s_mov_b32 s12, s13
	s_swappc_b64 s[30:31], s[4:5]
	s_endpgm
	.section	.rodata,"a",@progbits
	.p2align	6, 0x0
	.amdhsa_kernel _ZN2at6native29vectorized_elementwise_kernelILi4EZZZNS0_12_GLOBAL__N_119airy_ai_kernel_cudaERNS_18TensorIteratorBaseEENKUlvE_clEvENKUlvE0_clEvEUlfE_St5arrayIPcLm2EEEEviT0_T1_
		.amdhsa_group_segment_fixed_size 0
		.amdhsa_private_segment_fixed_size 0
		.amdhsa_kernarg_size 24
		.amdhsa_user_sgpr_count 6
		.amdhsa_user_sgpr_private_segment_buffer 1
		.amdhsa_user_sgpr_dispatch_ptr 0
		.amdhsa_user_sgpr_queue_ptr 0
		.amdhsa_user_sgpr_kernarg_segment_ptr 1
		.amdhsa_user_sgpr_dispatch_id 0
		.amdhsa_user_sgpr_flat_scratch_init 0
		.amdhsa_user_sgpr_private_segment_size 0
		.amdhsa_wavefront_size32 1
		.amdhsa_uses_dynamic_stack 0
		.amdhsa_system_sgpr_private_segment_wavefront_offset 0
		.amdhsa_system_sgpr_workgroup_id_x 1
		.amdhsa_system_sgpr_workgroup_id_y 0
		.amdhsa_system_sgpr_workgroup_id_z 0
		.amdhsa_system_sgpr_workgroup_info 0
		.amdhsa_system_vgpr_workitem_id 0
		.amdhsa_next_free_vgpr 38
		.amdhsa_next_free_sgpr 33
		.amdhsa_reserve_vcc 1
		.amdhsa_reserve_flat_scratch 0
		.amdhsa_float_round_mode_32 0
		.amdhsa_float_round_mode_16_64 0
		.amdhsa_float_denorm_mode_32 3
		.amdhsa_float_denorm_mode_16_64 3
		.amdhsa_dx10_clamp 1
		.amdhsa_ieee_mode 1
		.amdhsa_fp16_overflow 0
		.amdhsa_workgroup_processor_mode 1
		.amdhsa_memory_ordered 1
		.amdhsa_forward_progress 1
		.amdhsa_shared_vgpr_count 0
		.amdhsa_exception_fp_ieee_invalid_op 0
		.amdhsa_exception_fp_denorm_src 0
		.amdhsa_exception_fp_ieee_div_zero 0
		.amdhsa_exception_fp_ieee_overflow 0
		.amdhsa_exception_fp_ieee_underflow 0
		.amdhsa_exception_fp_ieee_inexact 0
		.amdhsa_exception_int_div_zero 0
	.end_amdhsa_kernel
	.section	.text._ZN2at6native29vectorized_elementwise_kernelILi4EZZZNS0_12_GLOBAL__N_119airy_ai_kernel_cudaERNS_18TensorIteratorBaseEENKUlvE_clEvENKUlvE0_clEvEUlfE_St5arrayIPcLm2EEEEviT0_T1_,"axG",@progbits,_ZN2at6native29vectorized_elementwise_kernelILi4EZZZNS0_12_GLOBAL__N_119airy_ai_kernel_cudaERNS_18TensorIteratorBaseEENKUlvE_clEvENKUlvE0_clEvEUlfE_St5arrayIPcLm2EEEEviT0_T1_,comdat
.Lfunc_end16:
	.size	_ZN2at6native29vectorized_elementwise_kernelILi4EZZZNS0_12_GLOBAL__N_119airy_ai_kernel_cudaERNS_18TensorIteratorBaseEENKUlvE_clEvENKUlvE0_clEvEUlfE_St5arrayIPcLm2EEEEviT0_T1_, .Lfunc_end16-_ZN2at6native29vectorized_elementwise_kernelILi4EZZZNS0_12_GLOBAL__N_119airy_ai_kernel_cudaERNS_18TensorIteratorBaseEENKUlvE_clEvENKUlvE0_clEvEUlfE_St5arrayIPcLm2EEEEviT0_T1_
                                        ; -- End function
	.set _ZN2at6native29vectorized_elementwise_kernelILi4EZZZNS0_12_GLOBAL__N_119airy_ai_kernel_cudaERNS_18TensorIteratorBaseEENKUlvE_clEvENKUlvE0_clEvEUlfE_St5arrayIPcLm2EEEEviT0_T1_.num_vgpr, max(35, .L_ZN2at6native25elementwise_kernel_helperILb0EZZZNS0_12_GLOBAL__N_119airy_ai_kernel_cudaERNS_18TensorIteratorBaseEENKUlvE_clEvENKUlvE0_clEvEUlfE_NS0_6memory8policies10vectorizedILi4ESt5arrayIPcLm2EELi4EEEEEvT0_T1_.num_vgpr, .L_ZN2at6native25elementwise_kernel_helperILb0EZZZNS0_12_GLOBAL__N_119airy_ai_kernel_cudaERNS_18TensorIteratorBaseEENKUlvE_clEvENKUlvE0_clEvEUlfE_NS0_6memory8policies11unroll_baseILi256ESt5arrayIPcLm2EE23TrivialOffsetCalculatorILi1EjESF_NS8_15LoadWithoutCastENS8_16StoreWithoutCastELi4ELi1EEEEEvT0_T1_.num_vgpr)
	.set _ZN2at6native29vectorized_elementwise_kernelILi4EZZZNS0_12_GLOBAL__N_119airy_ai_kernel_cudaERNS_18TensorIteratorBaseEENKUlvE_clEvENKUlvE0_clEvEUlfE_St5arrayIPcLm2EEEEviT0_T1_.num_agpr, max(0, .L_ZN2at6native25elementwise_kernel_helperILb0EZZZNS0_12_GLOBAL__N_119airy_ai_kernel_cudaERNS_18TensorIteratorBaseEENKUlvE_clEvENKUlvE0_clEvEUlfE_NS0_6memory8policies10vectorizedILi4ESt5arrayIPcLm2EELi4EEEEEvT0_T1_.num_agpr, .L_ZN2at6native25elementwise_kernel_helperILb0EZZZNS0_12_GLOBAL__N_119airy_ai_kernel_cudaERNS_18TensorIteratorBaseEENKUlvE_clEvENKUlvE0_clEvEUlfE_NS0_6memory8policies11unroll_baseILi256ESt5arrayIPcLm2EE23TrivialOffsetCalculatorILi1EjESF_NS8_15LoadWithoutCastENS8_16StoreWithoutCastELi4ELi1EEEEEvT0_T1_.num_agpr)
	.set _ZN2at6native29vectorized_elementwise_kernelILi4EZZZNS0_12_GLOBAL__N_119airy_ai_kernel_cudaERNS_18TensorIteratorBaseEENKUlvE_clEvENKUlvE0_clEvEUlfE_St5arrayIPcLm2EEEEviT0_T1_.numbered_sgpr, max(33, .L_ZN2at6native25elementwise_kernel_helperILb0EZZZNS0_12_GLOBAL__N_119airy_ai_kernel_cudaERNS_18TensorIteratorBaseEENKUlvE_clEvENKUlvE0_clEvEUlfE_NS0_6memory8policies10vectorizedILi4ESt5arrayIPcLm2EELi4EEEEEvT0_T1_.numbered_sgpr, .L_ZN2at6native25elementwise_kernel_helperILb0EZZZNS0_12_GLOBAL__N_119airy_ai_kernel_cudaERNS_18TensorIteratorBaseEENKUlvE_clEvENKUlvE0_clEvEUlfE_NS0_6memory8policies11unroll_baseILi256ESt5arrayIPcLm2EE23TrivialOffsetCalculatorILi1EjESF_NS8_15LoadWithoutCastENS8_16StoreWithoutCastELi4ELi1EEEEEvT0_T1_.numbered_sgpr)
	.set _ZN2at6native29vectorized_elementwise_kernelILi4EZZZNS0_12_GLOBAL__N_119airy_ai_kernel_cudaERNS_18TensorIteratorBaseEENKUlvE_clEvENKUlvE0_clEvEUlfE_St5arrayIPcLm2EEEEviT0_T1_.num_named_barrier, max(0, .L_ZN2at6native25elementwise_kernel_helperILb0EZZZNS0_12_GLOBAL__N_119airy_ai_kernel_cudaERNS_18TensorIteratorBaseEENKUlvE_clEvENKUlvE0_clEvEUlfE_NS0_6memory8policies10vectorizedILi4ESt5arrayIPcLm2EELi4EEEEEvT0_T1_.num_named_barrier, .L_ZN2at6native25elementwise_kernel_helperILb0EZZZNS0_12_GLOBAL__N_119airy_ai_kernel_cudaERNS_18TensorIteratorBaseEENKUlvE_clEvENKUlvE0_clEvEUlfE_NS0_6memory8policies11unroll_baseILi256ESt5arrayIPcLm2EE23TrivialOffsetCalculatorILi1EjESF_NS8_15LoadWithoutCastENS8_16StoreWithoutCastELi4ELi1EEEEEvT0_T1_.num_named_barrier)
	.set _ZN2at6native29vectorized_elementwise_kernelILi4EZZZNS0_12_GLOBAL__N_119airy_ai_kernel_cudaERNS_18TensorIteratorBaseEENKUlvE_clEvENKUlvE0_clEvEUlfE_St5arrayIPcLm2EEEEviT0_T1_.private_seg_size, 0+max(.L_ZN2at6native25elementwise_kernel_helperILb0EZZZNS0_12_GLOBAL__N_119airy_ai_kernel_cudaERNS_18TensorIteratorBaseEENKUlvE_clEvENKUlvE0_clEvEUlfE_NS0_6memory8policies10vectorizedILi4ESt5arrayIPcLm2EELi4EEEEEvT0_T1_.private_seg_size, .L_ZN2at6native25elementwise_kernel_helperILb0EZZZNS0_12_GLOBAL__N_119airy_ai_kernel_cudaERNS_18TensorIteratorBaseEENKUlvE_clEvENKUlvE0_clEvEUlfE_NS0_6memory8policies11unroll_baseILi256ESt5arrayIPcLm2EE23TrivialOffsetCalculatorILi1EjESF_NS8_15LoadWithoutCastENS8_16StoreWithoutCastELi4ELi1EEEEEvT0_T1_.private_seg_size)
	.set _ZN2at6native29vectorized_elementwise_kernelILi4EZZZNS0_12_GLOBAL__N_119airy_ai_kernel_cudaERNS_18TensorIteratorBaseEENKUlvE_clEvENKUlvE0_clEvEUlfE_St5arrayIPcLm2EEEEviT0_T1_.uses_vcc, or(1, .L_ZN2at6native25elementwise_kernel_helperILb0EZZZNS0_12_GLOBAL__N_119airy_ai_kernel_cudaERNS_18TensorIteratorBaseEENKUlvE_clEvENKUlvE0_clEvEUlfE_NS0_6memory8policies10vectorizedILi4ESt5arrayIPcLm2EELi4EEEEEvT0_T1_.uses_vcc, .L_ZN2at6native25elementwise_kernel_helperILb0EZZZNS0_12_GLOBAL__N_119airy_ai_kernel_cudaERNS_18TensorIteratorBaseEENKUlvE_clEvENKUlvE0_clEvEUlfE_NS0_6memory8policies11unroll_baseILi256ESt5arrayIPcLm2EE23TrivialOffsetCalculatorILi1EjESF_NS8_15LoadWithoutCastENS8_16StoreWithoutCastELi4ELi1EEEEEvT0_T1_.uses_vcc)
	.set _ZN2at6native29vectorized_elementwise_kernelILi4EZZZNS0_12_GLOBAL__N_119airy_ai_kernel_cudaERNS_18TensorIteratorBaseEENKUlvE_clEvENKUlvE0_clEvEUlfE_St5arrayIPcLm2EEEEviT0_T1_.uses_flat_scratch, or(0, .L_ZN2at6native25elementwise_kernel_helperILb0EZZZNS0_12_GLOBAL__N_119airy_ai_kernel_cudaERNS_18TensorIteratorBaseEENKUlvE_clEvENKUlvE0_clEvEUlfE_NS0_6memory8policies10vectorizedILi4ESt5arrayIPcLm2EELi4EEEEEvT0_T1_.uses_flat_scratch, .L_ZN2at6native25elementwise_kernel_helperILb0EZZZNS0_12_GLOBAL__N_119airy_ai_kernel_cudaERNS_18TensorIteratorBaseEENKUlvE_clEvENKUlvE0_clEvEUlfE_NS0_6memory8policies11unroll_baseILi256ESt5arrayIPcLm2EE23TrivialOffsetCalculatorILi1EjESF_NS8_15LoadWithoutCastENS8_16StoreWithoutCastELi4ELi1EEEEEvT0_T1_.uses_flat_scratch)
	.set _ZN2at6native29vectorized_elementwise_kernelILi4EZZZNS0_12_GLOBAL__N_119airy_ai_kernel_cudaERNS_18TensorIteratorBaseEENKUlvE_clEvENKUlvE0_clEvEUlfE_St5arrayIPcLm2EEEEviT0_T1_.has_dyn_sized_stack, or(0, .L_ZN2at6native25elementwise_kernel_helperILb0EZZZNS0_12_GLOBAL__N_119airy_ai_kernel_cudaERNS_18TensorIteratorBaseEENKUlvE_clEvENKUlvE0_clEvEUlfE_NS0_6memory8policies10vectorizedILi4ESt5arrayIPcLm2EELi4EEEEEvT0_T1_.has_dyn_sized_stack, .L_ZN2at6native25elementwise_kernel_helperILb0EZZZNS0_12_GLOBAL__N_119airy_ai_kernel_cudaERNS_18TensorIteratorBaseEENKUlvE_clEvENKUlvE0_clEvEUlfE_NS0_6memory8policies11unroll_baseILi256ESt5arrayIPcLm2EE23TrivialOffsetCalculatorILi1EjESF_NS8_15LoadWithoutCastENS8_16StoreWithoutCastELi4ELi1EEEEEvT0_T1_.has_dyn_sized_stack)
	.set _ZN2at6native29vectorized_elementwise_kernelILi4EZZZNS0_12_GLOBAL__N_119airy_ai_kernel_cudaERNS_18TensorIteratorBaseEENKUlvE_clEvENKUlvE0_clEvEUlfE_St5arrayIPcLm2EEEEviT0_T1_.has_recursion, or(0, .L_ZN2at6native25elementwise_kernel_helperILb0EZZZNS0_12_GLOBAL__N_119airy_ai_kernel_cudaERNS_18TensorIteratorBaseEENKUlvE_clEvENKUlvE0_clEvEUlfE_NS0_6memory8policies10vectorizedILi4ESt5arrayIPcLm2EELi4EEEEEvT0_T1_.has_recursion, .L_ZN2at6native25elementwise_kernel_helperILb0EZZZNS0_12_GLOBAL__N_119airy_ai_kernel_cudaERNS_18TensorIteratorBaseEENKUlvE_clEvENKUlvE0_clEvEUlfE_NS0_6memory8policies11unroll_baseILi256ESt5arrayIPcLm2EE23TrivialOffsetCalculatorILi1EjESF_NS8_15LoadWithoutCastENS8_16StoreWithoutCastELi4ELi1EEEEEvT0_T1_.has_recursion)
	.set _ZN2at6native29vectorized_elementwise_kernelILi4EZZZNS0_12_GLOBAL__N_119airy_ai_kernel_cudaERNS_18TensorIteratorBaseEENKUlvE_clEvENKUlvE0_clEvEUlfE_St5arrayIPcLm2EEEEviT0_T1_.has_indirect_call, or(0, .L_ZN2at6native25elementwise_kernel_helperILb0EZZZNS0_12_GLOBAL__N_119airy_ai_kernel_cudaERNS_18TensorIteratorBaseEENKUlvE_clEvENKUlvE0_clEvEUlfE_NS0_6memory8policies10vectorizedILi4ESt5arrayIPcLm2EELi4EEEEEvT0_T1_.has_indirect_call, .L_ZN2at6native25elementwise_kernel_helperILb0EZZZNS0_12_GLOBAL__N_119airy_ai_kernel_cudaERNS_18TensorIteratorBaseEENKUlvE_clEvENKUlvE0_clEvEUlfE_NS0_6memory8policies11unroll_baseILi256ESt5arrayIPcLm2EE23TrivialOffsetCalculatorILi1EjESF_NS8_15LoadWithoutCastENS8_16StoreWithoutCastELi4ELi1EEEEEvT0_T1_.has_indirect_call)
	.section	.AMDGPU.csdata,"",@progbits
; Kernel info:
; codeLenInByte = 184
; TotalNumSgprs: 35
; NumVgprs: 38
; ScratchSize: 0
; MemoryBound: 0
; FloatMode: 240
; IeeeMode: 1
; LDSByteSize: 0 bytes/workgroup (compile time only)
; SGPRBlocks: 0
; VGPRBlocks: 4
; NumSGPRsForWavesPerEU: 35
; NumVGPRsForWavesPerEU: 38
; Occupancy: 16
; WaveLimiterHint : 0
; COMPUTE_PGM_RSRC2:SCRATCH_EN: 0
; COMPUTE_PGM_RSRC2:USER_SGPR: 6
; COMPUTE_PGM_RSRC2:TRAP_HANDLER: 0
; COMPUTE_PGM_RSRC2:TGID_X_EN: 1
; COMPUTE_PGM_RSRC2:TGID_Y_EN: 0
; COMPUTE_PGM_RSRC2:TGID_Z_EN: 0
; COMPUTE_PGM_RSRC2:TIDIG_COMP_CNT: 0
	.section	.text._ZN2at6native29vectorized_elementwise_kernelILi2EZZZNS0_12_GLOBAL__N_119airy_ai_kernel_cudaERNS_18TensorIteratorBaseEENKUlvE_clEvENKUlvE0_clEvEUlfE_St5arrayIPcLm2EEEEviT0_T1_,"axG",@progbits,_ZN2at6native29vectorized_elementwise_kernelILi2EZZZNS0_12_GLOBAL__N_119airy_ai_kernel_cudaERNS_18TensorIteratorBaseEENKUlvE_clEvENKUlvE0_clEvEUlfE_St5arrayIPcLm2EEEEviT0_T1_,comdat
	.globl	_ZN2at6native29vectorized_elementwise_kernelILi2EZZZNS0_12_GLOBAL__N_119airy_ai_kernel_cudaERNS_18TensorIteratorBaseEENKUlvE_clEvENKUlvE0_clEvEUlfE_St5arrayIPcLm2EEEEviT0_T1_ ; -- Begin function _ZN2at6native29vectorized_elementwise_kernelILi2EZZZNS0_12_GLOBAL__N_119airy_ai_kernel_cudaERNS_18TensorIteratorBaseEENKUlvE_clEvENKUlvE0_clEvEUlfE_St5arrayIPcLm2EEEEviT0_T1_
	.p2align	8
	.type	_ZN2at6native29vectorized_elementwise_kernelILi2EZZZNS0_12_GLOBAL__N_119airy_ai_kernel_cudaERNS_18TensorIteratorBaseEENKUlvE_clEvENKUlvE0_clEvEUlfE_St5arrayIPcLm2EEEEviT0_T1_,@function
_ZN2at6native29vectorized_elementwise_kernelILi2EZZZNS0_12_GLOBAL__N_119airy_ai_kernel_cudaERNS_18TensorIteratorBaseEENKUlvE_clEvENKUlvE0_clEvEUlfE_St5arrayIPcLm2EEEEviT0_T1_: ; @_ZN2at6native29vectorized_elementwise_kernelILi2EZZZNS0_12_GLOBAL__N_119airy_ai_kernel_cudaERNS_18TensorIteratorBaseEENKUlvE_clEvENKUlvE0_clEvEUlfE_St5arrayIPcLm2EEEEviT0_T1_
; %bb.0:
	s_add_u32 s0, s0, s7
	s_clause 0x1
	s_load_dword s7, s[4:5], 0x0
	s_load_dwordx4 s[8:11], s[4:5], 0x8
	s_addc_u32 s1, s1, 0
	s_lshl_b32 s4, s6, 10
	s_mov_b32 s5, -1
	s_mov_b32 s32, 0
	s_waitcnt lgkmcnt(0)
	s_sub_i32 s14, s7, s4
	s_cmpk_gt_i32 s14, 0x3ff
	s_cbranch_scc0 .LBB17_14
; %bb.1:
	s_ashr_i32 s5, s4, 31
	v_lshlrev_b32_e32 v7, 3, v0
	s_lshl_b64 s[12:13], s[4:5], 2
	v_mov_b32_e32 v8, 0
	s_add_u32 s4, s10, s12
	s_addc_u32 s5, s11, s13
	v_add_co_u32 v1, s7, s4, v7
	v_add_co_ci_u32_e64 v2, null, s5, 0, s7
	global_load_dwordx2 v[5:6], v7, s[4:5]
	v_add_co_u32 v1, vcc_lo, 0x800, v1
	v_add_co_ci_u32_e64 v2, null, 0, v2, vcc_lo
	s_mov_b32 s15, exec_lo
	global_load_dwordx2 v[3:4], v[1:2], off
	v_mov_b32_e32 v2, 0x7fc00000
	v_mov_b32_e32 v1, 0x7fc00000
	s_waitcnt vmcnt(1)
	v_cmpx_neq_f32_e64 0x7f800000, |v5|
	s_cbranch_execz .LBB17_25
; %bb.2:
	s_mov_b32 s16, exec_lo
	v_cmpx_nlt_f32_e32 0x42cfc8b4, v5
	s_cbranch_execz .LBB17_24
; %bb.3:
                                        ; implicit-def: $vgpr8
	s_mov_b32 s4, exec_lo
	v_cmpx_ngt_f32_e32 0xc005c28f, v5
	s_xor_b32 s7, exec_lo, s4
	s_cbranch_execz .LBB17_11
; %bb.4:
	v_cmp_nle_f32_e64 s17, 0x4005c28f, v5
	v_mov_b32_e32 v8, 0
	s_mov_b32 s18, exec_lo
	s_mov_b32 s4, s17
	v_cmpx_le_f32_e32 0x4005c28f, v5
	s_cbranch_execz .LBB17_6
; %bb.5:
	v_mul_f32_e32 v1, 0x4f800000, v5
	v_cmp_gt_f32_e32 vcc_lo, 0xf800000, v5
	v_cndmask_b32_e32 v1, v5, v1, vcc_lo
	v_sqrt_f32_e32 v8, v1
	v_add_nc_u32_e32 v9, -1, v8
	v_add_nc_u32_e32 v10, 1, v8
	v_fma_f32 v11, -v9, v8, v1
	v_fma_f32 v12, -v10, v8, v1
	v_cmp_ge_f32_e64 s4, 0, v11
	v_cndmask_b32_e64 v8, v8, v9, s4
	v_cmp_lt_f32_e64 s4, 0, v12
	v_cndmask_b32_e64 v8, v8, v10, s4
	v_mul_f32_e32 v9, 0x37800000, v8
	v_cndmask_b32_e32 v8, v8, v9, vcc_lo
	v_cmp_class_f32_e64 vcc_lo, v1, 0x260
	v_add_f32_e32 v9, v5, v5
	v_cndmask_b32_e32 v1, v8, v1, vcc_lo
	v_mul_f32_e32 v8, v9, v1
	v_div_scale_f32 v9, null, 0x40400000, 0x40400000, v8
	v_div_scale_f32 v12, vcc_lo, v8, 0x40400000, v8
	v_rcp_f32_e32 v10, v9
	v_fma_f32 v11, -v9, v10, 1.0
	v_fmac_f32_e32 v10, v11, v10
	v_mul_f32_e32 v11, v12, v10
	v_fma_f32 v13, -v9, v11, v12
	v_fmac_f32_e32 v11, v13, v10
	v_fma_f32 v9, -v9, v11, v12
	v_div_fmas_f32 v9, v9, v10, v11
	v_div_fixup_f32 v8, v9, 0x40400000, v8
	v_div_scale_f32 v9, null, v8, v8, 1.0
	v_div_scale_f32 v12, vcc_lo, 1.0, v8, 1.0
	v_mul_f32_e32 v16, 0x3fb8aa3b, v8
	v_rcp_f32_e32 v10, v9
	v_fma_f32 v19, 0x3fb8aa3b, v8, -v16
	v_rndne_f32_e32 v20, v16
	v_sub_f32_e32 v16, v16, v20
	v_fma_f32 v11, -v9, v10, 1.0
	v_fmac_f32_e32 v10, v11, v10
	v_mul_f32_e32 v11, v12, v10
	v_fma_f32 v13, -v9, v11, v12
	v_fmac_f32_e32 v11, v13, v10
	v_fma_f32 v9, -v9, v11, v12
	v_mul_f32_e32 v12, 0x4f800000, v1
	v_div_fmas_f32 v9, v9, v10, v11
	v_cmp_gt_f32_e32 vcc_lo, 0xf800000, v1
	v_div_fixup_f32 v9, v9, v8, 1.0
	v_cndmask_b32_e32 v1, v1, v12, vcc_lo
	v_fmaak_f32 v10, 0, v9, 0x3f114de0
	v_fmaak_f32 v11, 0, v9, 0x3eb16d71
	v_sqrt_f32_e32 v12, v1
	v_fmaak_f32 v10, v9, v10, 0x416c19a0
	v_fmaak_f32 v11, v9, v11, 0x41401f1c
	;; [unrolled: 1-line block ×4, first 2 shown]
	v_add_nc_u32_e32 v13, -1, v12
	v_add_nc_u32_e32 v14, 1, v12
	v_fmaak_f32 v10, v9, v10, 0x4331516e
	v_fmaak_f32 v11, v9, v11, 0x432816d7
	v_fma_f32 v17, -v13, v12, v1
	v_fma_f32 v18, -v14, v12, v1
	v_fmaak_f32 v10, v9, v10, 0x43243c15
	v_fmaak_f32 v11, v9, v11, 0x431fc1a3
	v_cmp_ge_f32_e64 s4, 0, v17
	v_fmamk_f32 v17, v8, 0x32a5705f, v19
	v_cmp_lt_f32_e64 s5, 0, v18
	v_fmaak_f32 v10, v9, v10, 0x428ef4a7
	v_fmaak_f32 v11, v9, v11, 0x428d127a
	v_cndmask_b32_e64 v12, v12, v13, s4
	v_cvt_i32_f32_e32 v18, v20
	v_fmaak_f32 v10, v9, v10, 0x416188dd
	v_fmaak_f32 v11, v9, v11, 0x41606c6b
	v_cndmask_b32_e64 v12, v12, v14, s5
	v_fma_f32 v10, v9, v10, 1.0
	v_fma_f32 v9, v9, v11, 1.0
	v_div_scale_f32 v11, null, v10, v10, v9
	v_div_scale_f32 v19, s4, v9, v10, v9
	v_rcp_f32_e32 v15, v11
	v_fma_f32 v13, -v11, v15, 1.0
	v_fmac_f32_e32 v15, v13, v15
	v_add_f32_e32 v13, v16, v17
	v_mul_f32_e32 v16, 0x37800000, v12
	v_mul_f32_e32 v14, v19, v15
	v_exp_f32_e32 v13, v13
	v_cndmask_b32_e32 v12, v12, v16, vcc_lo
	v_cmp_class_f32_e64 vcc_lo, v1, 0x260
	v_fma_f32 v17, -v11, v14, v19
	v_cndmask_b32_e32 v1, v12, v1, vcc_lo
	v_cmp_ngt_f32_e32 vcc_lo, 0xc2ce8ed0, v8
	v_fmac_f32_e32 v14, v17, v15
	v_ldexp_f32 v13, v13, v18
	v_add_f32_e32 v1, v1, v1
	v_fma_f32 v11, -v11, v14, v19
	v_cndmask_b32_e32 v12, 0, v13, vcc_lo
	s_mov_b32 vcc_lo, s4
	s_andn2_b32 s4, s17, exec_lo
	v_div_fmas_f32 v11, v11, v15, v14
	v_cmp_nlt_f32_e32 vcc_lo, 0x42b17218, v8
	v_div_fixup_f32 v9, v11, v10, v9
	v_cndmask_b32_e32 v8, 0x7f800000, v12, vcc_lo
	v_mul_f32_e32 v1, v1, v8
	v_mul_f32_e32 v8, 0x3f106ebb, v9
	v_div_scale_f32 v9, null, v1, v1, v8
	v_div_scale_f32 v12, vcc_lo, v8, v1, v8
	v_rcp_f32_e32 v10, v9
	v_fma_f32 v11, -v9, v10, 1.0
	v_fmac_f32_e32 v10, v11, v10
	v_mul_f32_e32 v11, v12, v10
	v_fma_f32 v13, -v9, v11, v12
	v_fmac_f32_e32 v11, v13, v10
	v_fma_f32 v9, -v9, v11, v12
	v_div_fmas_f32 v9, v9, v10, v11
	v_cmp_nlt_f32_e32 vcc_lo, 0x41052018, v5
	v_div_fixup_f32 v8, v9, v1, v8
	s_and_b32 s5, vcc_lo, exec_lo
	s_or_b32 s4, s4, s5
.LBB17_6:
	s_or_b32 exec_lo, exec_lo, s18
	s_and_saveexec_b32 s5, s4
	s_cbranch_execz .LBB17_10
; %bb.7:
	v_mul_f32_e32 v9, v5, v5
	v_mov_b32_e32 v11, 1.0
	v_mov_b32_e32 v12, 1.0
	v_mov_b32_e32 v13, v5
	v_mov_b32_e32 v1, v5
	v_mul_f32_e32 v10, v5, v9
	v_mov_b32_e32 v9, 1.0
	s_mov_b32 s18, 0
.LBB17_8:                               ; =>This Inner Loop Header: Depth=1
	v_mul_f32_e32 v11, v10, v11
	v_add_f32_e32 v12, 1.0, v12
	v_mul_f32_e32 v13, v10, v13
	v_div_scale_f32 v14, null, v12, v12, v11
	v_div_scale_f32 v17, vcc_lo, v11, v12, v11
	v_add_f32_e32 v16, 1.0, v12
	v_rcp_f32_e32 v15, v14
	v_div_scale_f32 v18, null, v16, v16, v13
	v_fma_f32 v19, -v14, v15, 1.0
	v_fmac_f32_e32 v15, v19, v15
	v_mul_f32_e32 v19, v17, v15
	v_fma_f32 v20, -v14, v19, v17
	v_fmac_f32_e32 v19, v20, v15
	v_fma_f32 v14, -v14, v19, v17
	v_div_fmas_f32 v14, v14, v15, v19
	v_div_scale_f32 v17, vcc_lo, v13, v16, v13
	v_div_fixup_f32 v11, v14, v12, v11
	v_rcp_f32_e32 v14, v18
	v_div_scale_f32 v12, null, v16, v16, v11
	v_div_scale_f32 v20, s4, v11, v16, v11
	v_rcp_f32_e32 v15, v12
	v_fma_f32 v19, -v18, v14, 1.0
	v_fmac_f32_e32 v14, v19, v14
	v_fma_f32 v19, -v12, v15, 1.0
	v_fmac_f32_e32 v15, v19, v15
	v_mul_f32_e32 v19, v17, v14
	v_mul_f32_e32 v21, v20, v15
	v_fma_f32 v22, -v18, v19, v17
	v_fma_f32 v23, -v12, v21, v20
	v_fmac_f32_e32 v19, v22, v14
	v_fmac_f32_e32 v21, v23, v15
	v_fma_f32 v17, -v18, v19, v17
	v_fma_f32 v12, -v12, v21, v20
	v_div_fmas_f32 v14, v17, v14, v19
	s_mov_b32 vcc_lo, s4
	v_div_fmas_f32 v15, v12, v15, v21
	v_add_f32_e32 v12, 1.0, v16
	v_div_fixup_f32 v13, v14, v16, v13
	v_div_fixup_f32 v11, v15, v16, v11
	v_div_scale_f32 v14, null, v12, v12, v13
	v_div_scale_f32 v18, vcc_lo, v13, v12, v13
	v_add_f32_e32 v9, v9, v11
	v_rcp_f32_e32 v16, v14
	v_div_scale_f32 v15, null, v9, v9, v11
	v_rcp_f32_e32 v17, v15
	v_fma_f32 v19, -v14, v16, 1.0
	v_fmac_f32_e32 v16, v19, v16
	v_div_scale_f32 v19, s4, v11, v9, v11
	v_fma_f32 v20, -v15, v17, 1.0
	v_fmac_f32_e32 v17, v20, v17
	v_mul_f32_e32 v20, v18, v16
	v_mul_f32_e32 v21, v19, v17
	v_fma_f32 v22, -v14, v20, v18
	v_fma_f32 v23, -v15, v21, v19
	v_fmac_f32_e32 v20, v22, v16
	v_fmac_f32_e32 v21, v23, v17
	v_fma_f32 v14, -v14, v20, v18
	v_fma_f32 v15, -v15, v21, v19
	v_div_fmas_f32 v14, v14, v16, v20
	s_mov_b32 vcc_lo, s4
	v_div_fmas_f32 v15, v15, v17, v21
	v_div_fixup_f32 v13, v14, v12, v13
	v_div_fixup_f32 v15, v15, v9, v11
	v_add_f32_e32 v1, v1, v13
	v_cmp_nlt_f32_e64 s4, 0x34000000, |v15|
	s_or_b32 s18, s4, s18
	s_andn2_b32 exec_lo, exec_lo, s18
	s_cbranch_execnz .LBB17_8
; %bb.9:
	s_or_b32 exec_lo, exec_lo, s18
	v_mul_f32_e32 v1, 0xbe8483fa, v1
	v_fmamk_f32 v1, v9, 0x3eb5c63d, v1
	v_cndmask_b32_e64 v8, v8, v1, s17
.LBB17_10:
	s_or_b32 exec_lo, exec_lo, s5
.LBB17_11:
	s_andn2_saveexec_b32 s17, s7
	s_cbranch_execz .LBB17_23
; %bb.12:
	v_mul_f32_e32 v1, 0xcf800000, v5
	v_cmp_lt_f32_e32 vcc_lo, 0x8f800000, v5
	v_cndmask_b32_e64 v1, -v5, v1, vcc_lo
	v_sqrt_f32_e32 v8, v1
	v_add_nc_u32_e32 v9, -1, v8
	v_add_nc_u32_e32 v10, 1, v8
	v_fma_f32 v11, -v9, v8, v1
	v_fma_f32 v12, -v10, v8, v1
	v_cmp_ge_f32_e64 s4, 0, v11
	v_cndmask_b32_e64 v8, v8, v9, s4
	v_cmp_lt_f32_e64 s4, 0, v12
	v_cndmask_b32_e64 v8, v8, v10, s4
	v_mul_f32_e32 v9, 0x37800000, v8
	v_cndmask_b32_e32 v8, v8, v9, vcc_lo
	v_cmp_class_f32_e64 vcc_lo, v1, 0x260
	v_mul_f32_e32 v9, -2.0, v5
	v_cndmask_b32_e32 v5, v8, v1, vcc_lo
	v_mul_f32_e32 v1, v9, v5
	v_div_scale_f32 v8, null, 0x40400000, 0x40400000, v1
	v_rcp_f32_e32 v9, v8
	v_fma_f32 v10, -v8, v9, 1.0
	v_fmac_f32_e32 v9, v10, v9
	v_div_scale_f32 v10, vcc_lo, v1, 0x40400000, v1
	v_mul_f32_e32 v11, v10, v9
	v_fma_f32 v12, -v8, v11, v10
	v_fmac_f32_e32 v11, v12, v9
                                        ; implicit-def: $vgpr12
	v_fma_f32 v8, -v8, v11, v10
	v_div_fmas_f32 v8, v8, v9, v11
                                        ; implicit-def: $vgpr9
	v_div_fixup_f32 v8, v8, 0x40400000, v1
	v_add_f32_e32 v1, 0x3f490fdb, v8
	v_and_b32_e32 v10, 0x7fffffff, v1
	v_cmp_ngt_f32_e64 s7, 0x48000000, |v1|
	v_lshrrev_b32_e32 v13, 23, v10
	s_and_saveexec_b32 s4, s7
	s_xor_b32 s18, exec_lo, s4
	s_cbranch_execz .LBB17_16
; %bb.13:
	s_mov_b32 s4, 0x7fffff
	v_mov_b32_e32 v15, 0
	v_and_or_b32 v9, v10, s4, 0x800000
	v_mad_u64_u32 v[11:12], null, 0xfe5163ab, v9, 0
	v_mov_b32_e32 v14, v12
	v_add_nc_u32_e32 v12, 0xffffff88, v13
	v_mad_u64_u32 v[16:17], null, 0x3c439041, v9, v[14:15]
	v_cmp_lt_u32_e32 vcc_lo, 63, v12
	v_cndmask_b32_e64 v21, 0, 0xffffffc0, vcc_lo
	v_mov_b32_e32 v14, v17
	v_add_nc_u32_e32 v12, v21, v12
	v_mad_u64_u32 v[17:18], null, 0xdb629599, v9, v[14:15]
	v_cmp_lt_u32_e64 s4, 31, v12
	v_mov_b32_e32 v14, v18
	v_cndmask_b32_e64 v22, 0, 0xffffffe0, s4
	v_cndmask_b32_e32 v11, v17, v11, vcc_lo
	v_mad_u64_u32 v[18:19], null, 0xf534ddc0, v9, v[14:15]
	v_add_nc_u32_e32 v12, v22, v12
	v_cmp_lt_u32_e64 s5, 31, v12
	v_mov_b32_e32 v14, v19
	v_mad_u64_u32 v[19:20], null, 0xfc2757d1, v9, v[14:15]
	v_mov_b32_e32 v14, v20
	v_mad_u64_u32 v[20:21], null, 0x4e441529, v9, v[14:15]
	v_mov_b32_e32 v14, v21
	v_cndmask_b32_e32 v21, v20, v18, vcc_lo
	v_mad_u64_u32 v[14:15], null, 0xa2f9836e, v9, v[14:15]
	v_cndmask_b32_e64 v9, 0, 0xffffffe0, s5
	v_add_nc_u32_e32 v9, v9, v12
	v_cndmask_b32_e32 v14, v14, v19, vcc_lo
	v_cndmask_b32_e32 v15, v15, v20, vcc_lo
	;; [unrolled: 1-line block ×4, first 2 shown]
	v_sub_nc_u32_e32 v18, 32, v9
	v_cndmask_b32_e64 v16, v14, v21, s4
	v_cndmask_b32_e64 v14, v15, v14, s4
	;; [unrolled: 1-line block ×4, first 2 shown]
	v_cmp_eq_u32_e32 vcc_lo, 0, v9
	v_cndmask_b32_e64 v11, v12, v11, s4
	v_cndmask_b32_e64 v14, v14, v16, s5
	;; [unrolled: 1-line block ×5, first 2 shown]
	v_alignbit_b32 v20, v14, v16, v18
	v_alignbit_b32 v17, v16, v15, v18
	;; [unrolled: 1-line block ×3, first 2 shown]
	v_cndmask_b32_e32 v9, v20, v14, vcc_lo
	v_cndmask_b32_e32 v12, v17, v16, vcc_lo
	;; [unrolled: 1-line block ×3, first 2 shown]
	v_bfe_u32 v14, v9, 29, 1
	v_alignbit_b32 v16, v9, v12, 30
	v_alignbit_b32 v12, v12, v15, 30
	;; [unrolled: 1-line block ×3, first 2 shown]
	v_sub_nc_u32_e32 v17, 0, v14
	v_xor_b32_e32 v16, v16, v17
	v_xor_b32_e32 v12, v12, v17
	v_xor_b32_e32 v11, v11, v17
	v_lshrrev_b32_e32 v17, 29, v9
	v_ffbh_u32_e32 v18, v16
	v_min_u32_e32 v18, 32, v18
	v_sub_nc_u32_e32 v15, 31, v18
	v_lshlrev_b32_e32 v19, 23, v18
	v_alignbit_b32 v16, v16, v12, v15
	v_alignbit_b32 v11, v12, v11, v15
	v_lshlrev_b32_e32 v12, 31, v17
	v_alignbit_b32 v15, v16, v11, 9
	v_or_b32_e32 v17, 0.5, v12
	v_lshrrev_b32_e32 v16, 9, v16
	v_or_b32_e32 v12, 0x33000000, v12
	v_ffbh_u32_e32 v20, v15
	v_sub_nc_u32_e32 v17, v17, v19
	v_min_u32_e32 v19, 32, v20
	v_or_b32_e32 v16, v16, v17
	v_not_b32_e32 v17, v19
	v_mul_f32_e32 v20, 0x3fc90fda, v16
	v_add_lshl_u32 v18, v19, v18, 23
	v_alignbit_b32 v11, v15, v11, v17
	v_fma_f32 v15, 0x3fc90fda, v16, -v20
	v_sub_nc_u32_e32 v12, v12, v18
	v_lshrrev_b32_e32 v11, 9, v11
	v_fmamk_f32 v15, v16, 0x33a22168, v15
	v_or_b32_e32 v11, v12, v11
	v_fmac_f32_e32 v15, 0x3fc90fda, v11
	v_lshrrev_b32_e32 v11, 30, v9
	v_add_f32_e32 v9, v20, v15
	v_add_nc_u32_e32 v12, v14, v11
	s_or_saveexec_b32 s4, s18
	v_mul_f32_e64 v15, 0x3f22f983, |v1|
	s_xor_b32 exec_lo, exec_lo, s4
	s_branch .LBB17_17
.LBB17_14:
	s_and_b32 vcc_lo, exec_lo, s5
	s_cbranch_vccz .LBB17_92
; %bb.15:
	v_mov_b32_e32 v31, v0
	v_mov_b32_e32 v0, s8
	;; [unrolled: 1-line block ×6, first 2 shown]
	s_getpc_b64 s[4:5]
	s_add_u32 s4, s4, _ZN2at6native25elementwise_kernel_helperILb0EZZZNS0_12_GLOBAL__N_119airy_ai_kernel_cudaERNS_18TensorIteratorBaseEENKUlvE_clEvENKUlvE0_clEvEUlfE_NS0_6memory8policies11unroll_baseILi256ESt5arrayIPcLm2EE23TrivialOffsetCalculatorILi1EjESF_NS8_15LoadWithoutCastENS8_16StoreWithoutCastELi4ELi1EEEEEvT0_T1_@rel32@lo+4
	s_addc_u32 s5, s5, _ZN2at6native25elementwise_kernel_helperILb0EZZZNS0_12_GLOBAL__N_119airy_ai_kernel_cudaERNS_18TensorIteratorBaseEENKUlvE_clEvENKUlvE0_clEvEUlfE_NS0_6memory8policies11unroll_baseILi256ESt5arrayIPcLm2EE23TrivialOffsetCalculatorILi1EjESF_NS8_15LoadWithoutCastENS8_16StoreWithoutCastELi4ELi1EEEEEvT0_T1_@rel32@hi+12
	s_mov_b32 s12, s6
	s_swappc_b64 s[30:31], s[4:5]
	s_endpgm
.LBB17_16:
	s_or_saveexec_b32 s4, s18
	v_mul_f32_e64 v15, 0x3f22f983, |v1|
	s_xor_b32 exec_lo, exec_lo, s4
.LBB17_17:
	v_rndne_f32_e32 v11, v15
	v_fma_f32 v9, 0xbfc90fda, v11, |v1|
	v_cvt_i32_f32_e32 v12, v11
	v_fmamk_f32 v9, v11, 0xb3a22168, v9
	v_fmamk_f32 v9, v11, 0xa7c234c4, v9
; %bb.18:
	s_or_b32 exec_lo, exec_lo, s4
                                        ; implicit-def: $vgpr14
                                        ; implicit-def: $vgpr11
	s_and_saveexec_b32 s4, s7
	s_xor_b32 s7, exec_lo, s4
	s_cbranch_execz .LBB17_20
; %bb.19:
	s_mov_b32 s4, 0x7fffff
	v_mov_b32_e32 v16, 0
	v_and_or_b32 v11, v10, s4, 0x800000
	v_add_nc_u32_e32 v13, 0xffffff88, v13
	v_mad_u64_u32 v[14:15], null, 0xfe5163ab, v11, 0
	v_cmp_lt_u32_e32 vcc_lo, 63, v13
	v_cndmask_b32_e64 v22, 0, 0xffffffc0, vcc_lo
	v_mad_u64_u32 v[17:18], null, 0x3c439041, v11, v[15:16]
	v_add_nc_u32_e32 v13, v22, v13
	v_mov_b32_e32 v15, v18
	v_cmp_lt_u32_e64 s4, 31, v13
	v_mad_u64_u32 v[18:19], null, 0xdb629599, v11, v[15:16]
	v_cndmask_b32_e64 v23, 0, 0xffffffe0, s4
	v_add_nc_u32_e32 v13, v23, v13
	v_mov_b32_e32 v15, v19
	v_cndmask_b32_e32 v14, v18, v14, vcc_lo
	v_cmp_lt_u32_e64 s5, 31, v13
	v_mad_u64_u32 v[19:20], null, 0xf534ddc0, v11, v[15:16]
	v_mov_b32_e32 v15, v20
	v_mad_u64_u32 v[20:21], null, 0xfc2757d1, v11, v[15:16]
	v_mov_b32_e32 v15, v21
	;; [unrolled: 2-line block ×3, first 2 shown]
	v_cndmask_b32_e32 v22, v21, v19, vcc_lo
	v_mad_u64_u32 v[15:16], null, 0xa2f9836e, v11, v[15:16]
	v_cndmask_b32_e64 v11, 0, 0xffffffe0, s5
	v_add_nc_u32_e32 v11, v11, v13
	v_cndmask_b32_e32 v15, v15, v20, vcc_lo
	v_cndmask_b32_e32 v16, v16, v21, vcc_lo
	;; [unrolled: 1-line block ×4, first 2 shown]
	v_sub_nc_u32_e32 v19, 32, v11
	v_cndmask_b32_e64 v17, v15, v22, s4
	v_cndmask_b32_e64 v15, v16, v15, s4
	;; [unrolled: 1-line block ×4, first 2 shown]
	v_cmp_eq_u32_e32 vcc_lo, 0, v11
	v_cndmask_b32_e64 v13, v13, v14, s4
	v_cndmask_b32_e64 v15, v15, v17, s5
	;; [unrolled: 1-line block ×5, first 2 shown]
	v_alignbit_b32 v21, v15, v17, v19
	v_alignbit_b32 v18, v17, v16, v19
	;; [unrolled: 1-line block ×3, first 2 shown]
	v_cndmask_b32_e32 v11, v21, v15, vcc_lo
	v_cndmask_b32_e32 v14, v18, v17, vcc_lo
	v_cndmask_b32_e32 v16, v19, v16, vcc_lo
	v_bfe_u32 v15, v11, 29, 1
	v_alignbit_b32 v17, v11, v14, 30
	v_alignbit_b32 v14, v14, v16, 30
	;; [unrolled: 1-line block ×3, first 2 shown]
	v_sub_nc_u32_e32 v18, 0, v15
	v_xor_b32_e32 v17, v17, v18
	v_xor_b32_e32 v14, v14, v18
	;; [unrolled: 1-line block ×3, first 2 shown]
	v_lshrrev_b32_e32 v18, 29, v11
	v_ffbh_u32_e32 v19, v17
	v_min_u32_e32 v19, 32, v19
	v_sub_nc_u32_e32 v16, 31, v19
	v_lshlrev_b32_e32 v20, 23, v19
	v_alignbit_b32 v17, v17, v14, v16
	v_alignbit_b32 v13, v14, v13, v16
	v_lshlrev_b32_e32 v14, 31, v18
	v_alignbit_b32 v16, v17, v13, 9
	v_or_b32_e32 v18, 0.5, v14
	v_lshrrev_b32_e32 v17, 9, v17
	v_or_b32_e32 v14, 0x33000000, v14
	v_ffbh_u32_e32 v21, v16
	v_sub_nc_u32_e32 v18, v18, v20
	v_min_u32_e32 v20, 32, v21
	v_or_b32_e32 v17, v17, v18
	v_not_b32_e32 v18, v20
	v_mul_f32_e32 v21, 0x3fc90fda, v17
	v_add_lshl_u32 v19, v20, v19, 23
	v_alignbit_b32 v13, v16, v13, v18
	v_fma_f32 v16, 0x3fc90fda, v17, -v21
	v_sub_nc_u32_e32 v14, v14, v19
	v_lshrrev_b32_e32 v13, 9, v13
	v_fmamk_f32 v16, v17, 0x33a22168, v16
	v_or_b32_e32 v13, v14, v13
	v_fmac_f32_e32 v16, 0x3fc90fda, v13
	v_lshrrev_b32_e32 v13, 30, v11
	v_add_f32_e32 v11, v21, v16
	v_add_nc_u32_e32 v14, v15, v13
                                        ; implicit-def: $vgpr15
	s_andn2_saveexec_b32 s4, s7
	s_cbranch_execnz .LBB17_21
	s_branch .LBB17_22
.LBB17_20:
	s_andn2_saveexec_b32 s4, s7
.LBB17_21:
	v_rndne_f32_e32 v13, v15
	v_fma_f32 v11, 0xbfc90fda, v13, |v1|
	v_cvt_i32_f32_e32 v14, v13
	v_fmamk_f32 v11, v13, 0xb3a22168, v11
	v_fmamk_f32 v11, v13, 0xa7c234c4, v11
.LBB17_22:
	s_or_b32 exec_lo, exec_lo, s4
	v_div_scale_f32 v13, null, v8, v8, 1.0
	v_div_scale_f32 v17, vcc_lo, 1.0, v8, 1.0
	v_mul_f32_e32 v20, 0x4f800000, v5
	v_rcp_f32_e32 v15, v13
	v_mul_f32_e32 v19, v9, v9
	s_mov_b32 s4, 0xb94c1982
	s_mov_b32 s5, 0x37d75334
	v_and_b32_e32 v21, 1, v14
	v_xor_b32_e32 v10, v10, v1
	v_lshlrev_b32_e32 v14, 30, v14
	v_fma_f32 v16, -v13, v15, 1.0
	v_and_b32_e32 v14, 0x80000000, v14
	v_fmac_f32_e32 v15, v16, v15
	v_mul_f32_e32 v16, v17, v15
	v_fma_f32 v18, -v13, v16, v17
	v_fmac_f32_e32 v16, v18, v15
	v_and_b32_e32 v18, 1, v12
	v_lshlrev_b32_e32 v12, 30, v12
	v_fma_f32 v13, -v13, v16, v17
	v_mul_f32_e32 v17, v11, v11
	v_cmp_eq_u32_e64 s7, 0, v18
	v_and_b32_e32 v12, 0x80000000, v12
	v_div_fmas_f32 v13, v13, v15, v16
	v_cmp_gt_f32_e32 vcc_lo, 0xf800000, v5
	v_fmaak_f32 v15, s4, v19, 0x3c0881c4
	v_fmaak_f32 v16, s5, v19, 0xbab64f3b
	v_div_fixup_f32 v8, v13, v8, 1.0
	v_cndmask_b32_e32 v5, v5, v20, vcc_lo
	v_fmaak_f32 v13, s4, v17, 0x3c0881c4
	v_fmaak_f32 v20, s5, v17, 0xbab64f3b
	;; [unrolled: 1-line block ×3, first 2 shown]
	v_mul_f32_e32 v22, v8, v8
	v_sqrt_f32_e32 v23, v5
	v_fmaak_f32 v16, v19, v16, 0x3d2aabf7
	v_fmaak_f32 v13, v17, v13, 0xbe2aaa9d
	;; [unrolled: 1-line block ×7, first 2 shown]
	v_mul_f32_e32 v15, v19, v15
	v_fmaak_f32 v24, v22, v24, 0x3ec83ea8
	v_fmaak_f32 v25, v22, v25, 0xbf205f75
	;; [unrolled: 1-line block ×4, first 2 shown]
	v_add_nc_u32_e32 v28, -1, v23
	v_fmaak_f32 v24, v22, v24, 0x3f886c1a
	v_fmaak_f32 v25, v22, v25, 0xbf3172ce
	;; [unrolled: 1-line block ×4, first 2 shown]
	v_add_nc_u32_e32 v29, 1, v23
	v_fmaak_f32 v24, v22, v24, 0x3f706d65
	v_fmaak_f32 v25, v22, v25, 0xbe8f3f52
	v_fma_f32 v30, -v28, v23, v5
	v_fmaak_f32 v26, v22, v26, 0x4112fe41
	v_fmaak_f32 v27, v22, v27, 0x40af4271
	;; [unrolled: 1-line block ×4, first 2 shown]
	v_fma_f32 v31, -v29, v23, v5
	v_cmp_ge_f32_e64 s4, 0, v30
	v_fmaak_f32 v26, v22, v26, 0x3fbcd65a
	v_fmaak_f32 v24, v22, v24, 0x3d81d209
	v_fmaak_f32 v27, v22, v27, 0x3f744c96
	v_fmaak_f32 v25, v22, v25, 0xbb85200e
	v_cndmask_b32_e64 v23, v23, v28, s4
	v_cmp_lt_f32_e64 s4, 0, v31
	v_fmaak_f32 v24, v22, v24, 0x3bbff4d0
	v_fmaak_f32 v26, v22, v26, 0x3deced66
	;; [unrolled: 1-line block ×4, first 2 shown]
	v_cndmask_b32_e64 v23, v23, v29, s4
	v_fmaak_f32 v24, v22, v24, 0x39944bb3
	v_fmaak_f32 v26, v22, v26, 0x3b904657
	;; [unrolled: 1-line block ×4, first 2 shown]
	v_mul_f32_e32 v28, 0x37800000, v23
	v_fmaak_f32 v24, v22, v24, 0x36ea79eb
	v_fmaak_f32 v26, v22, v26, 0x389e46bd
	;; [unrolled: 1-line block ×4, first 2 shown]
	v_cndmask_b32_e32 v23, v23, v28, vcc_lo
	v_fmaak_f32 v24, v22, v24, 0x33ae5496
	v_cmp_class_f32_e64 vcc_lo, v5, 0x260
	v_fmaak_f32 v26, v22, v26, 0x34f295ce
	v_fmaak_f32 v27, v22, v27, 0x359d422f
	v_mul_f32_e32 v25, v22, v25
	v_fmaak_f32 v24, v22, v24, 0x2fbbc524
	v_cndmask_b32_e32 v5, v23, v5, vcc_lo
	v_fmaak_f32 v16, v19, v16, 0xbf000004
	v_fmaak_f32 v22, v22, v27, 0x31a8fe3a
	v_div_scale_f32 v23, null, v26, v26, v25
	v_mul_f32_e32 v8, v8, v24
	v_div_scale_f32 v24, null, v5, v5, 0x3f106ebb
	v_rcp_f32_e32 v27, v23
	v_mul_f32_e32 v13, v17, v13
	v_div_scale_f32 v28, null, v22, v22, v8
	v_rcp_f32_e32 v29, v24
	v_fmaak_f32 v20, v17, v20, 0xbf000004
	v_fmac_f32_e32 v9, v9, v15
	v_fma_f32 v15, v19, v16, 1.0
	v_rcp_f32_e32 v16, v28
	v_fmac_f32_e32 v11, v11, v13
	v_fma_f32 v13, v17, v20, 1.0
	v_fma_f32 v17, -v23, v27, 1.0
	v_div_scale_f32 v30, vcc_lo, v25, v26, v25
	v_fma_f32 v20, -v24, v29, 1.0
	v_div_scale_f32 v19, s4, 0x3f106ebb, v5, 0x3f106ebb
	v_fmac_f32_e32 v27, v17, v27
	v_fma_f32 v17, -v28, v16, 1.0
	v_fmac_f32_e32 v29, v20, v29
	v_div_scale_f32 v20, s5, v8, v22, v8
	v_mul_f32_e32 v31, v30, v27
	v_fmac_f32_e32 v16, v17, v16
	v_mul_f32_e32 v17, v19, v29
	v_cndmask_b32_e64 v9, v15, v9, s7
	v_cmp_eq_u32_e64 s7, 0, v21
	v_fma_f32 v15, -v23, v31, v30
	v_mul_f32_e32 v18, v20, v16
	v_fma_f32 v32, -v24, v17, v19
	v_xor3_b32 v9, v10, v12, v9
	v_cndmask_b32_e64 v11, -v11, v13, s7
	v_fmac_f32_e32 v31, v15, v27
	v_fma_f32 v13, -v28, v18, v20
	v_fmac_f32_e32 v17, v32, v29
	v_cmp_class_f32_e64 s7, v1, 0x1f8
	v_xor_b32_e32 v11, v14, v11
	v_fma_f32 v1, -v23, v31, v30
	v_fmac_f32_e32 v18, v13, v16
	v_fma_f32 v10, -v24, v17, v19
	v_cndmask_b32_e64 v9, 0x7fc00000, v9, s7
	v_cndmask_b32_e64 v11, 0x7fc00000, v11, s7
	v_div_fmas_f32 v1, v1, v27, v31
	v_fma_f32 v12, -v28, v18, v20
	s_mov_b32 vcc_lo, s4
	v_div_fmas_f32 v10, v10, v29, v17
	s_mov_b32 vcc_lo, s5
	v_div_fixup_f32 v1, v1, v26, v25
	v_div_fmas_f32 v12, v12, v16, v18
	v_div_fixup_f32 v5, v10, v5, 0x3f106ebb
	v_add_f32_e32 v1, 1.0, v1
	v_div_fixup_f32 v8, v12, v22, v8
	v_mul_f32_e32 v8, v8, v11
	v_fma_f32 v1, v1, v9, -v8
	v_mul_f32_e32 v8, v5, v1
.LBB17_23:
	s_or_b32 exec_lo, exec_lo, s17
.LBB17_24:
	s_or_b32 exec_lo, exec_lo, s16
	v_mov_b32_e32 v1, v8
.LBB17_25:
	s_or_b32 exec_lo, exec_lo, s15
	s_mov_b32 s15, exec_lo
	v_cmpx_neq_f32_e64 0x7f800000, |v6|
	s_cbranch_execz .LBB17_47
; %bb.26:
	v_mov_b32_e32 v2, 0
	s_mov_b32 s16, exec_lo
	v_cmpx_nlt_f32_e32 0x42cfc8b4, v6
	s_cbranch_execz .LBB17_46
; %bb.27:
	s_mov_b32 s4, exec_lo
	v_cmpx_ngt_f32_e32 0xc005c28f, v6
	s_xor_b32 s7, exec_lo, s4
	s_cbranch_execz .LBB17_35
; %bb.28:
	v_cmp_nle_f32_e64 s17, 0x4005c28f, v6
	v_mov_b32_e32 v2, 0
	s_mov_b32 s18, exec_lo
	s_mov_b32 s4, s17
	v_cmpx_le_f32_e32 0x4005c28f, v6
	s_cbranch_execz .LBB17_30
; %bb.29:
	v_mul_f32_e32 v2, 0x4f800000, v6
	v_cmp_gt_f32_e32 vcc_lo, 0xf800000, v6
	v_cndmask_b32_e32 v2, v6, v2, vcc_lo
	v_sqrt_f32_e32 v5, v2
	v_add_nc_u32_e32 v8, -1, v5
	v_add_nc_u32_e32 v9, 1, v5
	v_fma_f32 v10, -v8, v5, v2
	v_fma_f32 v11, -v9, v5, v2
	v_cmp_ge_f32_e64 s4, 0, v10
	v_cndmask_b32_e64 v5, v5, v8, s4
	v_cmp_lt_f32_e64 s4, 0, v11
	v_cndmask_b32_e64 v5, v5, v9, s4
	v_mul_f32_e32 v8, 0x37800000, v5
	v_cndmask_b32_e32 v5, v5, v8, vcc_lo
	v_cmp_class_f32_e64 vcc_lo, v2, 0x260
	v_add_f32_e32 v8, v6, v6
	v_cndmask_b32_e32 v2, v5, v2, vcc_lo
	v_mul_f32_e32 v5, v8, v2
	v_div_scale_f32 v8, null, 0x40400000, 0x40400000, v5
	v_div_scale_f32 v11, vcc_lo, v5, 0x40400000, v5
	v_rcp_f32_e32 v9, v8
	v_fma_f32 v10, -v8, v9, 1.0
	v_fmac_f32_e32 v9, v10, v9
	v_mul_f32_e32 v10, v11, v9
	v_fma_f32 v12, -v8, v10, v11
	v_fmac_f32_e32 v10, v12, v9
	v_fma_f32 v8, -v8, v10, v11
	v_div_fmas_f32 v8, v8, v9, v10
	v_div_fixup_f32 v5, v8, 0x40400000, v5
	v_div_scale_f32 v8, null, v5, v5, 1.0
	v_div_scale_f32 v11, vcc_lo, 1.0, v5, 1.0
	v_mul_f32_e32 v15, 0x3fb8aa3b, v5
	v_rcp_f32_e32 v9, v8
	v_fma_f32 v18, 0x3fb8aa3b, v5, -v15
	v_rndne_f32_e32 v19, v15
	v_sub_f32_e32 v15, v15, v19
	v_fma_f32 v10, -v8, v9, 1.0
	v_fmac_f32_e32 v9, v10, v9
	v_mul_f32_e32 v10, v11, v9
	v_fma_f32 v12, -v8, v10, v11
	v_fmac_f32_e32 v10, v12, v9
	v_fma_f32 v8, -v8, v10, v11
	v_mul_f32_e32 v11, 0x4f800000, v2
	v_div_fmas_f32 v8, v8, v9, v10
	v_cmp_gt_f32_e32 vcc_lo, 0xf800000, v2
	v_div_fixup_f32 v8, v8, v5, 1.0
	v_cndmask_b32_e32 v2, v2, v11, vcc_lo
	v_fmaak_f32 v9, 0, v8, 0x3f114de0
	v_fmaak_f32 v10, 0, v8, 0x3eb16d71
	v_sqrt_f32_e32 v11, v2
	v_fmaak_f32 v9, v8, v9, 0x416c19a0
	v_fmaak_f32 v10, v8, v10, 0x41401f1c
	;; [unrolled: 1-line block ×4, first 2 shown]
	v_add_nc_u32_e32 v12, -1, v11
	v_add_nc_u32_e32 v13, 1, v11
	v_fmaak_f32 v9, v8, v9, 0x4331516e
	v_fmaak_f32 v10, v8, v10, 0x432816d7
	v_fma_f32 v16, -v12, v11, v2
	v_fma_f32 v17, -v13, v11, v2
	v_fmaak_f32 v9, v8, v9, 0x43243c15
	v_fmaak_f32 v10, v8, v10, 0x431fc1a3
	v_cmp_ge_f32_e64 s4, 0, v16
	v_fmamk_f32 v16, v5, 0x32a5705f, v18
	v_cmp_lt_f32_e64 s5, 0, v17
	v_fmaak_f32 v9, v8, v9, 0x428ef4a7
	v_fmaak_f32 v10, v8, v10, 0x428d127a
	v_cndmask_b32_e64 v11, v11, v12, s4
	v_cvt_i32_f32_e32 v17, v19
	v_fmaak_f32 v9, v8, v9, 0x416188dd
	v_fmaak_f32 v10, v8, v10, 0x41606c6b
	v_cndmask_b32_e64 v11, v11, v13, s5
	v_fma_f32 v9, v8, v9, 1.0
	v_fma_f32 v8, v8, v10, 1.0
	v_div_scale_f32 v10, null, v9, v9, v8
	v_div_scale_f32 v18, s4, v8, v9, v8
	v_rcp_f32_e32 v14, v10
	v_fma_f32 v12, -v10, v14, 1.0
	v_fmac_f32_e32 v14, v12, v14
	v_add_f32_e32 v12, v15, v16
	v_mul_f32_e32 v15, 0x37800000, v11
	v_mul_f32_e32 v13, v18, v14
	v_exp_f32_e32 v12, v12
	v_cndmask_b32_e32 v11, v11, v15, vcc_lo
	v_cmp_class_f32_e64 vcc_lo, v2, 0x260
	v_fma_f32 v16, -v10, v13, v18
	v_cndmask_b32_e32 v2, v11, v2, vcc_lo
	v_cmp_ngt_f32_e32 vcc_lo, 0xc2ce8ed0, v5
	v_fmac_f32_e32 v13, v16, v14
	v_ldexp_f32 v12, v12, v17
	v_add_f32_e32 v2, v2, v2
	v_fma_f32 v10, -v10, v13, v18
	v_cndmask_b32_e32 v11, 0, v12, vcc_lo
	s_mov_b32 vcc_lo, s4
	s_andn2_b32 s4, s17, exec_lo
	v_div_fmas_f32 v10, v10, v14, v13
	v_cmp_nlt_f32_e32 vcc_lo, 0x42b17218, v5
	v_div_fixup_f32 v8, v10, v9, v8
	v_cndmask_b32_e32 v5, 0x7f800000, v11, vcc_lo
	v_mul_f32_e32 v2, v2, v5
	v_mul_f32_e32 v5, 0x3f106ebb, v8
	v_div_scale_f32 v8, null, v2, v2, v5
	v_div_scale_f32 v11, vcc_lo, v5, v2, v5
	v_rcp_f32_e32 v9, v8
	v_fma_f32 v10, -v8, v9, 1.0
	v_fmac_f32_e32 v9, v10, v9
	v_mul_f32_e32 v10, v11, v9
	v_fma_f32 v12, -v8, v10, v11
	v_fmac_f32_e32 v10, v12, v9
	v_fma_f32 v8, -v8, v10, v11
	v_div_fmas_f32 v8, v8, v9, v10
	v_cmp_nlt_f32_e32 vcc_lo, 0x41052018, v6
	v_div_fixup_f32 v2, v8, v2, v5
	s_and_b32 s5, vcc_lo, exec_lo
	s_or_b32 s4, s4, s5
.LBB17_30:
	s_or_b32 exec_lo, exec_lo, s18
	s_and_saveexec_b32 s5, s4
	s_cbranch_execz .LBB17_34
; %bb.31:
	v_mul_f32_e32 v8, v6, v6
	v_mov_b32_e32 v10, 1.0
	v_mov_b32_e32 v11, 1.0
	v_mov_b32_e32 v5, v6
	s_mov_b32 s18, 0
	v_mul_f32_e32 v9, v6, v8
	v_mov_b32_e32 v8, 1.0
.LBB17_32:                              ; =>This Inner Loop Header: Depth=1
	v_mul_f32_e32 v10, v9, v10
	v_add_f32_e32 v11, 1.0, v11
	v_mul_f32_e32 v6, v9, v6
	v_div_scale_f32 v12, null, v11, v11, v10
	v_div_scale_f32 v15, vcc_lo, v10, v11, v10
	v_add_f32_e32 v14, 1.0, v11
	v_rcp_f32_e32 v13, v12
	v_div_scale_f32 v16, null, v14, v14, v6
	v_fma_f32 v17, -v12, v13, 1.0
	v_fmac_f32_e32 v13, v17, v13
	v_mul_f32_e32 v17, v15, v13
	v_fma_f32 v18, -v12, v17, v15
	v_fmac_f32_e32 v17, v18, v13
	v_fma_f32 v12, -v12, v17, v15
	v_div_fmas_f32 v12, v12, v13, v17
	v_div_scale_f32 v15, vcc_lo, v6, v14, v6
	v_div_fixup_f32 v10, v12, v11, v10
	v_rcp_f32_e32 v12, v16
	v_div_scale_f32 v11, null, v14, v14, v10
	v_div_scale_f32 v18, s4, v10, v14, v10
	v_rcp_f32_e32 v13, v11
	v_fma_f32 v17, -v16, v12, 1.0
	v_fmac_f32_e32 v12, v17, v12
	v_fma_f32 v17, -v11, v13, 1.0
	v_fmac_f32_e32 v13, v17, v13
	v_mul_f32_e32 v17, v15, v12
	v_mul_f32_e32 v19, v18, v13
	v_fma_f32 v20, -v16, v17, v15
	v_fma_f32 v21, -v11, v19, v18
	v_fmac_f32_e32 v17, v20, v12
	v_fmac_f32_e32 v19, v21, v13
	v_fma_f32 v15, -v16, v17, v15
	v_fma_f32 v11, -v11, v19, v18
	v_div_fmas_f32 v12, v15, v12, v17
	s_mov_b32 vcc_lo, s4
	v_div_fmas_f32 v13, v11, v13, v19
	v_add_f32_e32 v11, 1.0, v14
	v_div_fixup_f32 v6, v12, v14, v6
	v_div_fixup_f32 v10, v13, v14, v10
	v_div_scale_f32 v12, null, v11, v11, v6
	v_div_scale_f32 v16, vcc_lo, v6, v11, v6
	v_add_f32_e32 v8, v8, v10
	v_rcp_f32_e32 v14, v12
	v_div_scale_f32 v13, null, v8, v8, v10
	v_rcp_f32_e32 v15, v13
	v_fma_f32 v17, -v12, v14, 1.0
	v_fmac_f32_e32 v14, v17, v14
	v_div_scale_f32 v17, s4, v10, v8, v10
	v_fma_f32 v18, -v13, v15, 1.0
	v_fmac_f32_e32 v15, v18, v15
	v_mul_f32_e32 v18, v16, v14
	v_mul_f32_e32 v19, v17, v15
	v_fma_f32 v20, -v12, v18, v16
	v_fma_f32 v21, -v13, v19, v17
	v_fmac_f32_e32 v18, v20, v14
	v_fmac_f32_e32 v19, v21, v15
	v_fma_f32 v12, -v12, v18, v16
	v_fma_f32 v13, -v13, v19, v17
	v_div_fmas_f32 v12, v12, v14, v18
	s_mov_b32 vcc_lo, s4
	v_div_fmas_f32 v13, v13, v15, v19
	v_div_fixup_f32 v6, v12, v11, v6
	v_div_fixup_f32 v13, v13, v8, v10
	v_add_f32_e32 v5, v5, v6
	v_cmp_nlt_f32_e64 s4, 0x34000000, |v13|
	s_or_b32 s18, s4, s18
	s_andn2_b32 exec_lo, exec_lo, s18
	s_cbranch_execnz .LBB17_32
; %bb.33:
	s_or_b32 exec_lo, exec_lo, s18
	v_mul_f32_e32 v5, 0xbe8483fa, v5
	v_fmamk_f32 v5, v8, 0x3eb5c63d, v5
	v_cndmask_b32_e64 v2, v2, v5, s17
.LBB17_34:
	s_or_b32 exec_lo, exec_lo, s5
                                        ; implicit-def: $vgpr5_vgpr6
.LBB17_35:
	s_andn2_saveexec_b32 s17, s7
	s_cbranch_execz .LBB17_45
; %bb.36:
	v_mul_f32_e32 v2, 0xcf800000, v6
	v_cmp_lt_f32_e32 vcc_lo, 0x8f800000, v6
	v_cndmask_b32_e64 v2, -v6, v2, vcc_lo
	v_mul_f32_e32 v6, -2.0, v6
	v_sqrt_f32_e32 v5, v2
	v_add_nc_u32_e32 v8, -1, v5
	v_add_nc_u32_e32 v9, 1, v5
	v_fma_f32 v10, -v8, v5, v2
	v_fma_f32 v11, -v9, v5, v2
	v_cmp_ge_f32_e64 s4, 0, v10
	v_cndmask_b32_e64 v5, v5, v8, s4
	v_cmp_lt_f32_e64 s4, 0, v11
	v_cndmask_b32_e64 v5, v5, v9, s4
	v_mul_f32_e32 v8, 0x37800000, v5
	v_cndmask_b32_e32 v5, v5, v8, vcc_lo
	v_cmp_class_f32_e64 vcc_lo, v2, 0x260
	v_cndmask_b32_e32 v5, v5, v2, vcc_lo
	v_mul_f32_e32 v2, v6, v5
	v_div_scale_f32 v6, null, 0x40400000, 0x40400000, v2
	v_rcp_f32_e32 v8, v6
	v_fma_f32 v9, -v6, v8, 1.0
	v_fmac_f32_e32 v8, v9, v8
	v_div_scale_f32 v9, vcc_lo, v2, 0x40400000, v2
	v_mul_f32_e32 v10, v9, v8
	v_fma_f32 v11, -v6, v10, v9
	v_fmac_f32_e32 v10, v11, v8
                                        ; implicit-def: $vgpr11
	v_fma_f32 v6, -v6, v10, v9
	v_div_fmas_f32 v6, v6, v8, v10
                                        ; implicit-def: $vgpr8
	v_div_fixup_f32 v6, v6, 0x40400000, v2
	v_add_f32_e32 v2, 0x3f490fdb, v6
	v_and_b32_e32 v9, 0x7fffffff, v2
	v_cmp_ngt_f32_e64 s7, 0x48000000, |v2|
	v_lshrrev_b32_e32 v12, 23, v9
	s_and_saveexec_b32 s4, s7
	s_xor_b32 s18, exec_lo, s4
	s_cbranch_execz .LBB17_38
; %bb.37:
	s_mov_b32 s4, 0x7fffff
	v_mov_b32_e32 v14, 0
	v_and_or_b32 v8, v9, s4, 0x800000
	v_mad_u64_u32 v[10:11], null, 0xfe5163ab, v8, 0
	v_mov_b32_e32 v13, v11
	v_add_nc_u32_e32 v11, 0xffffff88, v12
	v_mad_u64_u32 v[15:16], null, 0x3c439041, v8, v[13:14]
	v_cmp_lt_u32_e32 vcc_lo, 63, v11
	v_cndmask_b32_e64 v20, 0, 0xffffffc0, vcc_lo
	v_mov_b32_e32 v13, v16
	v_add_nc_u32_e32 v11, v20, v11
	v_mad_u64_u32 v[16:17], null, 0xdb629599, v8, v[13:14]
	v_cmp_lt_u32_e64 s4, 31, v11
	v_mov_b32_e32 v13, v17
	v_cndmask_b32_e64 v21, 0, 0xffffffe0, s4
	v_cndmask_b32_e32 v10, v16, v10, vcc_lo
	v_mad_u64_u32 v[17:18], null, 0xf534ddc0, v8, v[13:14]
	v_add_nc_u32_e32 v11, v21, v11
	v_cmp_lt_u32_e64 s5, 31, v11
	v_mov_b32_e32 v13, v18
	v_mad_u64_u32 v[18:19], null, 0xfc2757d1, v8, v[13:14]
	v_mov_b32_e32 v13, v19
	v_mad_u64_u32 v[19:20], null, 0x4e441529, v8, v[13:14]
	v_mov_b32_e32 v13, v20
	v_cndmask_b32_e32 v20, v19, v17, vcc_lo
	v_mad_u64_u32 v[13:14], null, 0xa2f9836e, v8, v[13:14]
	v_cndmask_b32_e64 v8, 0, 0xffffffe0, s5
	v_add_nc_u32_e32 v8, v8, v11
	v_cndmask_b32_e32 v13, v13, v18, vcc_lo
	v_cndmask_b32_e32 v14, v14, v19, vcc_lo
	v_cndmask_b32_e32 v18, v18, v16, vcc_lo
	v_cndmask_b32_e32 v11, v17, v15, vcc_lo
	v_sub_nc_u32_e32 v17, 32, v8
	v_cndmask_b32_e64 v15, v13, v20, s4
	v_cndmask_b32_e64 v13, v14, v13, s4
	;; [unrolled: 1-line block ×4, first 2 shown]
	v_cmp_eq_u32_e32 vcc_lo, 0, v8
	v_cndmask_b32_e64 v10, v11, v10, s4
	v_cndmask_b32_e64 v13, v13, v15, s5
	;; [unrolled: 1-line block ×5, first 2 shown]
	v_alignbit_b32 v19, v13, v15, v17
	v_alignbit_b32 v16, v15, v14, v17
	;; [unrolled: 1-line block ×3, first 2 shown]
	v_cndmask_b32_e32 v8, v19, v13, vcc_lo
	v_cndmask_b32_e32 v11, v16, v15, vcc_lo
	;; [unrolled: 1-line block ×3, first 2 shown]
	v_bfe_u32 v13, v8, 29, 1
	v_alignbit_b32 v15, v8, v11, 30
	v_alignbit_b32 v11, v11, v14, 30
	;; [unrolled: 1-line block ×3, first 2 shown]
	v_sub_nc_u32_e32 v16, 0, v13
	v_xor_b32_e32 v15, v15, v16
	v_xor_b32_e32 v11, v11, v16
	;; [unrolled: 1-line block ×3, first 2 shown]
	v_lshrrev_b32_e32 v16, 29, v8
	v_ffbh_u32_e32 v17, v15
	v_min_u32_e32 v17, 32, v17
	v_sub_nc_u32_e32 v14, 31, v17
	v_lshlrev_b32_e32 v18, 23, v17
	v_alignbit_b32 v15, v15, v11, v14
	v_alignbit_b32 v10, v11, v10, v14
	v_lshlrev_b32_e32 v11, 31, v16
	v_alignbit_b32 v14, v15, v10, 9
	v_or_b32_e32 v16, 0.5, v11
	v_lshrrev_b32_e32 v15, 9, v15
	v_or_b32_e32 v11, 0x33000000, v11
	v_ffbh_u32_e32 v19, v14
	v_sub_nc_u32_e32 v16, v16, v18
	v_min_u32_e32 v18, 32, v19
	v_or_b32_e32 v15, v15, v16
	v_not_b32_e32 v16, v18
	v_mul_f32_e32 v19, 0x3fc90fda, v15
	v_add_lshl_u32 v17, v18, v17, 23
	v_alignbit_b32 v10, v14, v10, v16
	v_fma_f32 v14, 0x3fc90fda, v15, -v19
	v_sub_nc_u32_e32 v11, v11, v17
	v_lshrrev_b32_e32 v10, 9, v10
	v_fmamk_f32 v14, v15, 0x33a22168, v14
	v_or_b32_e32 v10, v11, v10
	v_fmac_f32_e32 v14, 0x3fc90fda, v10
	v_lshrrev_b32_e32 v10, 30, v8
	v_add_f32_e32 v8, v19, v14
	v_add_nc_u32_e32 v11, v13, v10
	s_or_saveexec_b32 s4, s18
	v_mul_f32_e64 v14, 0x3f22f983, |v2|
	s_xor_b32 exec_lo, exec_lo, s4
	s_branch .LBB17_39
.LBB17_38:
	s_or_saveexec_b32 s4, s18
	v_mul_f32_e64 v14, 0x3f22f983, |v2|
	s_xor_b32 exec_lo, exec_lo, s4
.LBB17_39:
	v_rndne_f32_e32 v10, v14
	v_fma_f32 v8, 0xbfc90fda, v10, |v2|
	v_cvt_i32_f32_e32 v11, v10
	v_fmamk_f32 v8, v10, 0xb3a22168, v8
	v_fmamk_f32 v8, v10, 0xa7c234c4, v8
; %bb.40:
	s_or_b32 exec_lo, exec_lo, s4
                                        ; implicit-def: $vgpr13
                                        ; implicit-def: $vgpr10
	s_and_saveexec_b32 s4, s7
	s_xor_b32 s7, exec_lo, s4
	s_cbranch_execz .LBB17_42
; %bb.41:
	s_mov_b32 s4, 0x7fffff
	v_mov_b32_e32 v15, 0
	v_and_or_b32 v10, v9, s4, 0x800000
	v_add_nc_u32_e32 v12, 0xffffff88, v12
	v_mad_u64_u32 v[13:14], null, 0xfe5163ab, v10, 0
	v_cmp_lt_u32_e32 vcc_lo, 63, v12
	v_cndmask_b32_e64 v21, 0, 0xffffffc0, vcc_lo
	v_mad_u64_u32 v[16:17], null, 0x3c439041, v10, v[14:15]
	v_add_nc_u32_e32 v12, v21, v12
	v_mov_b32_e32 v14, v17
	v_cmp_lt_u32_e64 s4, 31, v12
	v_mad_u64_u32 v[17:18], null, 0xdb629599, v10, v[14:15]
	v_cndmask_b32_e64 v22, 0, 0xffffffe0, s4
	v_add_nc_u32_e32 v12, v22, v12
	v_mov_b32_e32 v14, v18
	v_cndmask_b32_e32 v13, v17, v13, vcc_lo
	v_cmp_lt_u32_e64 s5, 31, v12
	v_mad_u64_u32 v[18:19], null, 0xf534ddc0, v10, v[14:15]
	v_mov_b32_e32 v14, v19
	v_mad_u64_u32 v[19:20], null, 0xfc2757d1, v10, v[14:15]
	v_mov_b32_e32 v14, v20
	;; [unrolled: 2-line block ×3, first 2 shown]
	v_cndmask_b32_e32 v21, v20, v18, vcc_lo
	v_mad_u64_u32 v[14:15], null, 0xa2f9836e, v10, v[14:15]
	v_cndmask_b32_e64 v10, 0, 0xffffffe0, s5
	v_add_nc_u32_e32 v10, v10, v12
	v_cndmask_b32_e32 v14, v14, v19, vcc_lo
	v_cndmask_b32_e32 v15, v15, v20, vcc_lo
	;; [unrolled: 1-line block ×4, first 2 shown]
	v_sub_nc_u32_e32 v18, 32, v10
	v_cndmask_b32_e64 v16, v14, v21, s4
	v_cndmask_b32_e64 v14, v15, v14, s4
	v_cndmask_b32_e64 v15, v21, v19, s4
	v_cndmask_b32_e64 v19, v19, v12, s4
	v_cmp_eq_u32_e32 vcc_lo, 0, v10
	v_cndmask_b32_e64 v12, v12, v13, s4
	v_cndmask_b32_e64 v14, v14, v16, s5
	;; [unrolled: 1-line block ×5, first 2 shown]
	v_alignbit_b32 v20, v14, v16, v18
	v_alignbit_b32 v17, v16, v15, v18
	;; [unrolled: 1-line block ×3, first 2 shown]
	v_cndmask_b32_e32 v10, v20, v14, vcc_lo
	v_cndmask_b32_e32 v13, v17, v16, vcc_lo
	;; [unrolled: 1-line block ×3, first 2 shown]
	v_bfe_u32 v14, v10, 29, 1
	v_alignbit_b32 v16, v10, v13, 30
	v_alignbit_b32 v13, v13, v15, 30
	;; [unrolled: 1-line block ×3, first 2 shown]
	v_sub_nc_u32_e32 v17, 0, v14
	v_xor_b32_e32 v16, v16, v17
	v_xor_b32_e32 v13, v13, v17
	;; [unrolled: 1-line block ×3, first 2 shown]
	v_lshrrev_b32_e32 v17, 29, v10
	v_ffbh_u32_e32 v18, v16
	v_min_u32_e32 v18, 32, v18
	v_sub_nc_u32_e32 v15, 31, v18
	v_lshlrev_b32_e32 v19, 23, v18
	v_alignbit_b32 v16, v16, v13, v15
	v_alignbit_b32 v12, v13, v12, v15
	v_lshlrev_b32_e32 v13, 31, v17
	v_alignbit_b32 v15, v16, v12, 9
	v_or_b32_e32 v17, 0.5, v13
	v_lshrrev_b32_e32 v16, 9, v16
	v_or_b32_e32 v13, 0x33000000, v13
	v_ffbh_u32_e32 v20, v15
	v_sub_nc_u32_e32 v17, v17, v19
	v_min_u32_e32 v19, 32, v20
	v_or_b32_e32 v16, v16, v17
	v_not_b32_e32 v17, v19
	v_mul_f32_e32 v20, 0x3fc90fda, v16
	v_add_lshl_u32 v18, v19, v18, 23
	v_alignbit_b32 v12, v15, v12, v17
	v_fma_f32 v15, 0x3fc90fda, v16, -v20
	v_sub_nc_u32_e32 v13, v13, v18
	v_lshrrev_b32_e32 v12, 9, v12
	v_fmamk_f32 v15, v16, 0x33a22168, v15
	v_or_b32_e32 v12, v13, v12
	v_fmac_f32_e32 v15, 0x3fc90fda, v12
	v_lshrrev_b32_e32 v12, 30, v10
	v_add_f32_e32 v10, v20, v15
	v_add_nc_u32_e32 v13, v14, v12
                                        ; implicit-def: $vgpr14
	s_andn2_saveexec_b32 s4, s7
	s_cbranch_execnz .LBB17_43
	s_branch .LBB17_44
.LBB17_42:
	s_andn2_saveexec_b32 s4, s7
.LBB17_43:
	v_rndne_f32_e32 v12, v14
	v_fma_f32 v10, 0xbfc90fda, v12, |v2|
	v_cvt_i32_f32_e32 v13, v12
	v_fmamk_f32 v10, v12, 0xb3a22168, v10
	v_fmamk_f32 v10, v12, 0xa7c234c4, v10
.LBB17_44:
	s_or_b32 exec_lo, exec_lo, s4
	v_div_scale_f32 v12, null, v6, v6, 1.0
	v_div_scale_f32 v16, vcc_lo, 1.0, v6, 1.0
	v_mul_f32_e32 v19, 0x4f800000, v5
	v_rcp_f32_e32 v14, v12
	v_mul_f32_e32 v18, v8, v8
	s_mov_b32 s4, 0xb94c1982
	s_mov_b32 s5, 0x37d75334
	v_and_b32_e32 v20, 1, v13
	v_xor_b32_e32 v9, v9, v2
	v_lshlrev_b32_e32 v13, 30, v13
	v_fma_f32 v15, -v12, v14, 1.0
	v_and_b32_e32 v13, 0x80000000, v13
	v_fmac_f32_e32 v14, v15, v14
	v_mul_f32_e32 v15, v16, v14
	v_fma_f32 v17, -v12, v15, v16
	v_fmac_f32_e32 v15, v17, v14
	v_and_b32_e32 v17, 1, v11
	v_lshlrev_b32_e32 v11, 30, v11
	v_fma_f32 v12, -v12, v15, v16
	v_mul_f32_e32 v16, v10, v10
	v_cmp_eq_u32_e64 s7, 0, v17
	v_and_b32_e32 v11, 0x80000000, v11
	v_div_fmas_f32 v12, v12, v14, v15
	v_cmp_gt_f32_e32 vcc_lo, 0xf800000, v5
	v_fmaak_f32 v14, s4, v18, 0x3c0881c4
	v_fmaak_f32 v15, s5, v18, 0xbab64f3b
	v_div_fixup_f32 v6, v12, v6, 1.0
	v_cndmask_b32_e32 v5, v5, v19, vcc_lo
	v_fmaak_f32 v12, s4, v16, 0x3c0881c4
	v_fmaak_f32 v19, s5, v16, 0xbab64f3b
	;; [unrolled: 1-line block ×3, first 2 shown]
	v_mul_f32_e32 v21, v6, v6
	v_sqrt_f32_e32 v22, v5
	v_fmaak_f32 v15, v18, v15, 0x3d2aabf7
	v_fmaak_f32 v12, v16, v12, 0xbe2aaa9d
	;; [unrolled: 1-line block ×7, first 2 shown]
	v_mul_f32_e32 v14, v18, v14
	v_fmaak_f32 v23, v21, v23, 0x3ec83ea8
	v_fmaak_f32 v24, v21, v24, 0xbf205f75
	;; [unrolled: 1-line block ×4, first 2 shown]
	v_add_nc_u32_e32 v27, -1, v22
	v_fmaak_f32 v23, v21, v23, 0x3f886c1a
	v_fmaak_f32 v24, v21, v24, 0xbf3172ce
	;; [unrolled: 1-line block ×4, first 2 shown]
	v_add_nc_u32_e32 v28, 1, v22
	v_fmaak_f32 v23, v21, v23, 0x3f706d65
	v_fmaak_f32 v24, v21, v24, 0xbe8f3f52
	v_fma_f32 v29, -v27, v22, v5
	v_fmaak_f32 v25, v21, v25, 0x4112fe41
	v_fmaak_f32 v26, v21, v26, 0x40af4271
	;; [unrolled: 1-line block ×4, first 2 shown]
	v_fma_f32 v30, -v28, v22, v5
	v_cmp_ge_f32_e64 s4, 0, v29
	v_fmaak_f32 v25, v21, v25, 0x3fbcd65a
	v_fmaak_f32 v23, v21, v23, 0x3d81d209
	;; [unrolled: 1-line block ×4, first 2 shown]
	v_cndmask_b32_e64 v22, v22, v27, s4
	v_cmp_lt_f32_e64 s4, 0, v30
	v_fmaak_f32 v23, v21, v23, 0x3bbff4d0
	v_fmaak_f32 v25, v21, v25, 0x3deced66
	v_fmaak_f32 v26, v21, v26, 0x3db110ef
	v_fmaak_f32 v24, v21, v24, 0xb9270375
	v_cndmask_b32_e64 v22, v22, v28, s4
	v_fmaak_f32 v23, v21, v23, 0x39944bb3
	v_fmaak_f32 v25, v21, v25, 0x3b904657
	;; [unrolled: 1-line block ×4, first 2 shown]
	v_mul_f32_e32 v27, 0x37800000, v22
	v_fmaak_f32 v23, v21, v23, 0x36ea79eb
	v_fmaak_f32 v25, v21, v25, 0x389e46bd
	;; [unrolled: 1-line block ×4, first 2 shown]
	v_cndmask_b32_e32 v22, v22, v27, vcc_lo
	v_fmaak_f32 v23, v21, v23, 0x33ae5496
	v_cmp_class_f32_e64 vcc_lo, v5, 0x260
	v_fmaak_f32 v25, v21, v25, 0x34f295ce
	v_fmaak_f32 v26, v21, v26, 0x359d422f
	v_mul_f32_e32 v24, v21, v24
	v_fmaak_f32 v23, v21, v23, 0x2fbbc524
	v_cndmask_b32_e32 v5, v22, v5, vcc_lo
	v_fmaak_f32 v15, v18, v15, 0xbf000004
	v_fmaak_f32 v21, v21, v26, 0x31a8fe3a
	v_div_scale_f32 v22, null, v25, v25, v24
	v_mul_f32_e32 v6, v6, v23
	v_div_scale_f32 v23, null, v5, v5, 0x3f106ebb
	v_rcp_f32_e32 v26, v22
	v_mul_f32_e32 v12, v16, v12
	v_div_scale_f32 v27, null, v21, v21, v6
	v_rcp_f32_e32 v28, v23
	v_fmaak_f32 v19, v16, v19, 0xbf000004
	v_fmac_f32_e32 v8, v8, v14
	v_fma_f32 v14, v18, v15, 1.0
	v_rcp_f32_e32 v15, v27
	v_fmac_f32_e32 v10, v10, v12
	v_fma_f32 v12, v16, v19, 1.0
	v_fma_f32 v16, -v22, v26, 1.0
	v_div_scale_f32 v29, vcc_lo, v24, v25, v24
	v_fma_f32 v19, -v23, v28, 1.0
	v_div_scale_f32 v18, s4, 0x3f106ebb, v5, 0x3f106ebb
	v_fmac_f32_e32 v26, v16, v26
	v_fma_f32 v16, -v27, v15, 1.0
	v_fmac_f32_e32 v28, v19, v28
	v_div_scale_f32 v19, s5, v6, v21, v6
	v_mul_f32_e32 v30, v29, v26
	v_fmac_f32_e32 v15, v16, v15
	v_mul_f32_e32 v16, v18, v28
	v_cndmask_b32_e64 v8, v14, v8, s7
	v_cmp_eq_u32_e64 s7, 0, v20
	v_fma_f32 v14, -v22, v30, v29
	v_mul_f32_e32 v17, v19, v15
	v_fma_f32 v31, -v23, v16, v18
	v_xor3_b32 v8, v9, v11, v8
	v_cndmask_b32_e64 v10, -v10, v12, s7
	v_fmac_f32_e32 v30, v14, v26
	v_fma_f32 v12, -v27, v17, v19
	v_fmac_f32_e32 v16, v31, v28
	v_cmp_class_f32_e64 s7, v2, 0x1f8
	v_xor_b32_e32 v10, v13, v10
	v_fma_f32 v2, -v22, v30, v29
	v_fmac_f32_e32 v17, v12, v15
	v_fma_f32 v9, -v23, v16, v18
	v_cndmask_b32_e64 v8, 0x7fc00000, v8, s7
	v_cndmask_b32_e64 v10, 0x7fc00000, v10, s7
	v_div_fmas_f32 v2, v2, v26, v30
	v_fma_f32 v11, -v27, v17, v19
	s_mov_b32 vcc_lo, s4
	v_div_fmas_f32 v9, v9, v28, v16
	s_mov_b32 vcc_lo, s5
	v_div_fixup_f32 v2, v2, v25, v24
	v_div_fmas_f32 v11, v11, v15, v17
	v_div_fixup_f32 v5, v9, v5, 0x3f106ebb
	v_add_f32_e32 v2, 1.0, v2
	v_div_fixup_f32 v6, v11, v21, v6
	v_mul_f32_e32 v6, v6, v10
	v_fma_f32 v2, v2, v8, -v6
	v_mul_f32_e32 v2, v5, v2
.LBB17_45:
	s_or_b32 exec_lo, exec_lo, s17
.LBB17_46:
	s_or_b32 exec_lo, exec_lo, s16
.LBB17_47:
	s_or_b32 exec_lo, exec_lo, s15
	v_mov_b32_e32 v6, 0x7fc00000
	v_mov_b32_e32 v5, 0x7fc00000
	s_mov_b32 s15, exec_lo
	s_waitcnt vmcnt(0)
	v_cmpx_neq_f32_e64 0x7f800000, |v3|
	s_cbranch_execz .LBB17_69
; %bb.48:
	v_mov_b32_e32 v5, 0
	s_mov_b32 s16, exec_lo
	v_cmpx_nlt_f32_e32 0x42cfc8b4, v3
	s_cbranch_execz .LBB17_68
; %bb.49:
	s_mov_b32 s4, exec_lo
	v_cmpx_ngt_f32_e32 0xc005c28f, v3
	s_xor_b32 s7, exec_lo, s4
	s_cbranch_execz .LBB17_57
; %bb.50:
	v_cmp_nle_f32_e64 s17, 0x4005c28f, v3
	v_mov_b32_e32 v5, 0
	s_mov_b32 s18, exec_lo
	s_mov_b32 s4, s17
	v_cmpx_le_f32_e32 0x4005c28f, v3
	s_cbranch_execz .LBB17_52
; %bb.51:
	v_mul_f32_e32 v5, 0x4f800000, v3
	v_cmp_gt_f32_e32 vcc_lo, 0xf800000, v3
	v_cndmask_b32_e32 v5, v3, v5, vcc_lo
	v_sqrt_f32_e32 v8, v5
	v_add_nc_u32_e32 v9, -1, v8
	v_add_nc_u32_e32 v10, 1, v8
	v_fma_f32 v11, -v9, v8, v5
	v_fma_f32 v12, -v10, v8, v5
	v_cmp_ge_f32_e64 s4, 0, v11
	v_cndmask_b32_e64 v8, v8, v9, s4
	v_cmp_lt_f32_e64 s4, 0, v12
	v_cndmask_b32_e64 v8, v8, v10, s4
	v_mul_f32_e32 v9, 0x37800000, v8
	v_cndmask_b32_e32 v8, v8, v9, vcc_lo
	v_cmp_class_f32_e64 vcc_lo, v5, 0x260
	v_add_f32_e32 v9, v3, v3
	v_cndmask_b32_e32 v5, v8, v5, vcc_lo
	v_mul_f32_e32 v8, v9, v5
	v_div_scale_f32 v9, null, 0x40400000, 0x40400000, v8
	v_div_scale_f32 v12, vcc_lo, v8, 0x40400000, v8
	v_rcp_f32_e32 v10, v9
	v_fma_f32 v11, -v9, v10, 1.0
	v_fmac_f32_e32 v10, v11, v10
	v_mul_f32_e32 v11, v12, v10
	v_fma_f32 v13, -v9, v11, v12
	v_fmac_f32_e32 v11, v13, v10
	v_fma_f32 v9, -v9, v11, v12
	v_div_fmas_f32 v9, v9, v10, v11
	v_div_fixup_f32 v8, v9, 0x40400000, v8
	v_div_scale_f32 v9, null, v8, v8, 1.0
	v_div_scale_f32 v12, vcc_lo, 1.0, v8, 1.0
	v_mul_f32_e32 v16, 0x3fb8aa3b, v8
	v_rcp_f32_e32 v10, v9
	v_fma_f32 v19, 0x3fb8aa3b, v8, -v16
	v_rndne_f32_e32 v20, v16
	v_sub_f32_e32 v16, v16, v20
	v_fma_f32 v11, -v9, v10, 1.0
	v_fmac_f32_e32 v10, v11, v10
	v_mul_f32_e32 v11, v12, v10
	v_fma_f32 v13, -v9, v11, v12
	v_fmac_f32_e32 v11, v13, v10
	v_fma_f32 v9, -v9, v11, v12
	v_mul_f32_e32 v12, 0x4f800000, v5
	v_div_fmas_f32 v9, v9, v10, v11
	v_cmp_gt_f32_e32 vcc_lo, 0xf800000, v5
	v_div_fixup_f32 v9, v9, v8, 1.0
	v_cndmask_b32_e32 v5, v5, v12, vcc_lo
	v_fmaak_f32 v10, 0, v9, 0x3f114de0
	v_fmaak_f32 v11, 0, v9, 0x3eb16d71
	v_sqrt_f32_e32 v12, v5
	v_fmaak_f32 v10, v9, v10, 0x416c19a0
	v_fmaak_f32 v11, v9, v11, 0x41401f1c
	;; [unrolled: 1-line block ×4, first 2 shown]
	v_add_nc_u32_e32 v13, -1, v12
	v_add_nc_u32_e32 v14, 1, v12
	v_fmaak_f32 v10, v9, v10, 0x4331516e
	v_fmaak_f32 v11, v9, v11, 0x432816d7
	v_fma_f32 v17, -v13, v12, v5
	v_fma_f32 v18, -v14, v12, v5
	v_fmaak_f32 v10, v9, v10, 0x43243c15
	v_fmaak_f32 v11, v9, v11, 0x431fc1a3
	v_cmp_ge_f32_e64 s4, 0, v17
	v_fmamk_f32 v17, v8, 0x32a5705f, v19
	v_cmp_lt_f32_e64 s5, 0, v18
	v_fmaak_f32 v10, v9, v10, 0x428ef4a7
	v_fmaak_f32 v11, v9, v11, 0x428d127a
	v_cndmask_b32_e64 v12, v12, v13, s4
	v_cvt_i32_f32_e32 v18, v20
	v_fmaak_f32 v10, v9, v10, 0x416188dd
	v_fmaak_f32 v11, v9, v11, 0x41606c6b
	v_cndmask_b32_e64 v12, v12, v14, s5
	v_fma_f32 v10, v9, v10, 1.0
	v_fma_f32 v9, v9, v11, 1.0
	v_div_scale_f32 v11, null, v10, v10, v9
	v_div_scale_f32 v19, s4, v9, v10, v9
	v_rcp_f32_e32 v15, v11
	v_fma_f32 v13, -v11, v15, 1.0
	v_fmac_f32_e32 v15, v13, v15
	v_add_f32_e32 v13, v16, v17
	v_mul_f32_e32 v16, 0x37800000, v12
	v_mul_f32_e32 v14, v19, v15
	v_exp_f32_e32 v13, v13
	v_cndmask_b32_e32 v12, v12, v16, vcc_lo
	v_cmp_class_f32_e64 vcc_lo, v5, 0x260
	v_fma_f32 v17, -v11, v14, v19
	v_cndmask_b32_e32 v5, v12, v5, vcc_lo
	v_cmp_ngt_f32_e32 vcc_lo, 0xc2ce8ed0, v8
	v_fmac_f32_e32 v14, v17, v15
	v_ldexp_f32 v13, v13, v18
	v_add_f32_e32 v5, v5, v5
	v_fma_f32 v11, -v11, v14, v19
	v_cndmask_b32_e32 v12, 0, v13, vcc_lo
	s_mov_b32 vcc_lo, s4
	s_andn2_b32 s4, s17, exec_lo
	v_div_fmas_f32 v11, v11, v15, v14
	v_cmp_nlt_f32_e32 vcc_lo, 0x42b17218, v8
	v_div_fixup_f32 v9, v11, v10, v9
	v_cndmask_b32_e32 v8, 0x7f800000, v12, vcc_lo
	v_mul_f32_e32 v5, v5, v8
	v_mul_f32_e32 v8, 0x3f106ebb, v9
	v_div_scale_f32 v9, null, v5, v5, v8
	v_div_scale_f32 v12, vcc_lo, v8, v5, v8
	v_rcp_f32_e32 v10, v9
	v_fma_f32 v11, -v9, v10, 1.0
	v_fmac_f32_e32 v10, v11, v10
	v_mul_f32_e32 v11, v12, v10
	v_fma_f32 v13, -v9, v11, v12
	v_fmac_f32_e32 v11, v13, v10
	v_fma_f32 v9, -v9, v11, v12
	v_div_fmas_f32 v9, v9, v10, v11
	v_cmp_nlt_f32_e32 vcc_lo, 0x41052018, v3
	v_div_fixup_f32 v5, v9, v5, v8
	s_and_b32 s5, vcc_lo, exec_lo
	s_or_b32 s4, s4, s5
.LBB17_52:
	s_or_b32 exec_lo, exec_lo, s18
	s_and_saveexec_b32 s5, s4
	s_cbranch_execz .LBB17_56
; %bb.53:
	v_mul_f32_e32 v9, v3, v3
	v_mov_b32_e32 v11, 1.0
	v_mov_b32_e32 v12, 1.0
	v_mov_b32_e32 v13, v3
	v_mov_b32_e32 v8, v3
	v_mul_f32_e32 v10, v3, v9
	v_mov_b32_e32 v9, 1.0
	s_mov_b32 s18, 0
.LBB17_54:                              ; =>This Inner Loop Header: Depth=1
	v_mul_f32_e32 v11, v10, v11
	v_add_f32_e32 v12, 1.0, v12
	v_mul_f32_e32 v13, v10, v13
	v_div_scale_f32 v14, null, v12, v12, v11
	v_div_scale_f32 v17, vcc_lo, v11, v12, v11
	v_add_f32_e32 v16, 1.0, v12
	v_rcp_f32_e32 v15, v14
	v_div_scale_f32 v18, null, v16, v16, v13
	v_fma_f32 v19, -v14, v15, 1.0
	v_fmac_f32_e32 v15, v19, v15
	v_mul_f32_e32 v19, v17, v15
	v_fma_f32 v20, -v14, v19, v17
	v_fmac_f32_e32 v19, v20, v15
	v_fma_f32 v14, -v14, v19, v17
	v_div_fmas_f32 v14, v14, v15, v19
	v_div_scale_f32 v17, vcc_lo, v13, v16, v13
	v_div_fixup_f32 v11, v14, v12, v11
	v_rcp_f32_e32 v14, v18
	v_div_scale_f32 v12, null, v16, v16, v11
	v_div_scale_f32 v20, s4, v11, v16, v11
	v_rcp_f32_e32 v15, v12
	v_fma_f32 v19, -v18, v14, 1.0
	v_fmac_f32_e32 v14, v19, v14
	v_fma_f32 v19, -v12, v15, 1.0
	v_fmac_f32_e32 v15, v19, v15
	v_mul_f32_e32 v19, v17, v14
	v_mul_f32_e32 v21, v20, v15
	v_fma_f32 v22, -v18, v19, v17
	v_fma_f32 v23, -v12, v21, v20
	v_fmac_f32_e32 v19, v22, v14
	v_fmac_f32_e32 v21, v23, v15
	v_fma_f32 v17, -v18, v19, v17
	v_fma_f32 v12, -v12, v21, v20
	v_div_fmas_f32 v14, v17, v14, v19
	s_mov_b32 vcc_lo, s4
	v_div_fmas_f32 v15, v12, v15, v21
	v_add_f32_e32 v12, 1.0, v16
	v_div_fixup_f32 v13, v14, v16, v13
	v_div_fixup_f32 v11, v15, v16, v11
	v_div_scale_f32 v14, null, v12, v12, v13
	v_div_scale_f32 v18, vcc_lo, v13, v12, v13
	v_add_f32_e32 v9, v9, v11
	v_rcp_f32_e32 v16, v14
	v_div_scale_f32 v15, null, v9, v9, v11
	v_rcp_f32_e32 v17, v15
	v_fma_f32 v19, -v14, v16, 1.0
	v_fmac_f32_e32 v16, v19, v16
	v_div_scale_f32 v19, s4, v11, v9, v11
	v_fma_f32 v20, -v15, v17, 1.0
	v_fmac_f32_e32 v17, v20, v17
	v_mul_f32_e32 v20, v18, v16
	v_mul_f32_e32 v21, v19, v17
	v_fma_f32 v22, -v14, v20, v18
	v_fma_f32 v23, -v15, v21, v19
	v_fmac_f32_e32 v20, v22, v16
	v_fmac_f32_e32 v21, v23, v17
	v_fma_f32 v14, -v14, v20, v18
	v_fma_f32 v15, -v15, v21, v19
	v_div_fmas_f32 v14, v14, v16, v20
	s_mov_b32 vcc_lo, s4
	v_div_fmas_f32 v15, v15, v17, v21
	v_div_fixup_f32 v13, v14, v12, v13
	v_div_fixup_f32 v15, v15, v9, v11
	v_add_f32_e32 v8, v8, v13
	v_cmp_nlt_f32_e64 s4, 0x34000000, |v15|
	s_or_b32 s18, s4, s18
	s_andn2_b32 exec_lo, exec_lo, s18
	s_cbranch_execnz .LBB17_54
; %bb.55:
	s_or_b32 exec_lo, exec_lo, s18
	v_mul_f32_e32 v8, 0xbe8483fa, v8
	v_fmamk_f32 v8, v9, 0x3eb5c63d, v8
	v_cndmask_b32_e64 v5, v5, v8, s17
.LBB17_56:
	s_or_b32 exec_lo, exec_lo, s5
.LBB17_57:
	s_andn2_saveexec_b32 s17, s7
	s_cbranch_execz .LBB17_67
; %bb.58:
	v_mul_f32_e32 v5, 0xcf800000, v3
	v_cmp_lt_f32_e32 vcc_lo, 0x8f800000, v3
	v_cndmask_b32_e64 v5, -v3, v5, vcc_lo
	v_mul_f32_e32 v3, -2.0, v3
	v_sqrt_f32_e32 v8, v5
	v_add_nc_u32_e32 v9, -1, v8
	v_add_nc_u32_e32 v10, 1, v8
	v_fma_f32 v11, -v9, v8, v5
	v_fma_f32 v12, -v10, v8, v5
	v_cmp_ge_f32_e64 s4, 0, v11
	v_cndmask_b32_e64 v8, v8, v9, s4
	v_cmp_lt_f32_e64 s4, 0, v12
	v_cndmask_b32_e64 v8, v8, v10, s4
	v_mul_f32_e32 v9, 0x37800000, v8
	v_cndmask_b32_e32 v8, v8, v9, vcc_lo
	v_cmp_class_f32_e64 vcc_lo, v5, 0x260
	v_cndmask_b32_e32 v5, v8, v5, vcc_lo
	v_mul_f32_e32 v3, v3, v5
	v_div_scale_f32 v8, null, 0x40400000, 0x40400000, v3
	v_rcp_f32_e32 v9, v8
	v_fma_f32 v10, -v8, v9, 1.0
	v_fmac_f32_e32 v9, v10, v9
	v_div_scale_f32 v10, vcc_lo, v3, 0x40400000, v3
	v_mul_f32_e32 v11, v10, v9
	v_fma_f32 v12, -v8, v11, v10
	v_fmac_f32_e32 v11, v12, v9
                                        ; implicit-def: $vgpr12
	v_fma_f32 v8, -v8, v11, v10
	v_div_fmas_f32 v8, v8, v9, v11
                                        ; implicit-def: $vgpr9
	v_div_fixup_f32 v8, v8, 0x40400000, v3
	v_add_f32_e32 v3, 0x3f490fdb, v8
	v_and_b32_e32 v10, 0x7fffffff, v3
	v_cmp_ngt_f32_e64 s7, 0x48000000, |v3|
	v_lshrrev_b32_e32 v13, 23, v10
	s_and_saveexec_b32 s4, s7
	s_xor_b32 s18, exec_lo, s4
	s_cbranch_execz .LBB17_60
; %bb.59:
	s_mov_b32 s4, 0x7fffff
	v_mov_b32_e32 v15, 0
	v_and_or_b32 v9, v10, s4, 0x800000
	v_mad_u64_u32 v[11:12], null, 0xfe5163ab, v9, 0
	v_mov_b32_e32 v14, v12
	v_add_nc_u32_e32 v12, 0xffffff88, v13
	v_mad_u64_u32 v[16:17], null, 0x3c439041, v9, v[14:15]
	v_cmp_lt_u32_e32 vcc_lo, 63, v12
	v_cndmask_b32_e64 v21, 0, 0xffffffc0, vcc_lo
	v_mov_b32_e32 v14, v17
	v_add_nc_u32_e32 v12, v21, v12
	v_mad_u64_u32 v[17:18], null, 0xdb629599, v9, v[14:15]
	v_cmp_lt_u32_e64 s4, 31, v12
	v_mov_b32_e32 v14, v18
	v_cndmask_b32_e64 v22, 0, 0xffffffe0, s4
	v_cndmask_b32_e32 v11, v17, v11, vcc_lo
	v_mad_u64_u32 v[18:19], null, 0xf534ddc0, v9, v[14:15]
	v_add_nc_u32_e32 v12, v22, v12
	v_cmp_lt_u32_e64 s5, 31, v12
	v_mov_b32_e32 v14, v19
	v_mad_u64_u32 v[19:20], null, 0xfc2757d1, v9, v[14:15]
	v_mov_b32_e32 v14, v20
	v_mad_u64_u32 v[20:21], null, 0x4e441529, v9, v[14:15]
	v_mov_b32_e32 v14, v21
	v_cndmask_b32_e32 v21, v20, v18, vcc_lo
	v_mad_u64_u32 v[14:15], null, 0xa2f9836e, v9, v[14:15]
	v_cndmask_b32_e64 v9, 0, 0xffffffe0, s5
	v_add_nc_u32_e32 v9, v9, v12
	v_cndmask_b32_e32 v14, v14, v19, vcc_lo
	v_cndmask_b32_e32 v15, v15, v20, vcc_lo
	;; [unrolled: 1-line block ×4, first 2 shown]
	v_sub_nc_u32_e32 v18, 32, v9
	v_cndmask_b32_e64 v16, v14, v21, s4
	v_cndmask_b32_e64 v14, v15, v14, s4
	;; [unrolled: 1-line block ×4, first 2 shown]
	v_cmp_eq_u32_e32 vcc_lo, 0, v9
	v_cndmask_b32_e64 v11, v12, v11, s4
	v_cndmask_b32_e64 v14, v14, v16, s5
	;; [unrolled: 1-line block ×5, first 2 shown]
	v_alignbit_b32 v20, v14, v16, v18
	v_alignbit_b32 v17, v16, v15, v18
	;; [unrolled: 1-line block ×3, first 2 shown]
	v_cndmask_b32_e32 v9, v20, v14, vcc_lo
	v_cndmask_b32_e32 v12, v17, v16, vcc_lo
	;; [unrolled: 1-line block ×3, first 2 shown]
	v_bfe_u32 v14, v9, 29, 1
	v_alignbit_b32 v16, v9, v12, 30
	v_alignbit_b32 v12, v12, v15, 30
	;; [unrolled: 1-line block ×3, first 2 shown]
	v_sub_nc_u32_e32 v17, 0, v14
	v_xor_b32_e32 v16, v16, v17
	v_xor_b32_e32 v12, v12, v17
	;; [unrolled: 1-line block ×3, first 2 shown]
	v_lshrrev_b32_e32 v17, 29, v9
	v_ffbh_u32_e32 v18, v16
	v_min_u32_e32 v18, 32, v18
	v_sub_nc_u32_e32 v15, 31, v18
	v_lshlrev_b32_e32 v19, 23, v18
	v_alignbit_b32 v16, v16, v12, v15
	v_alignbit_b32 v11, v12, v11, v15
	v_lshlrev_b32_e32 v12, 31, v17
	v_alignbit_b32 v15, v16, v11, 9
	v_or_b32_e32 v17, 0.5, v12
	v_lshrrev_b32_e32 v16, 9, v16
	v_or_b32_e32 v12, 0x33000000, v12
	v_ffbh_u32_e32 v20, v15
	v_sub_nc_u32_e32 v17, v17, v19
	v_min_u32_e32 v19, 32, v20
	v_or_b32_e32 v16, v16, v17
	v_not_b32_e32 v17, v19
	v_mul_f32_e32 v20, 0x3fc90fda, v16
	v_add_lshl_u32 v18, v19, v18, 23
	v_alignbit_b32 v11, v15, v11, v17
	v_fma_f32 v15, 0x3fc90fda, v16, -v20
	v_sub_nc_u32_e32 v12, v12, v18
	v_lshrrev_b32_e32 v11, 9, v11
	v_fmamk_f32 v15, v16, 0x33a22168, v15
	v_or_b32_e32 v11, v12, v11
	v_fmac_f32_e32 v15, 0x3fc90fda, v11
	v_lshrrev_b32_e32 v11, 30, v9
	v_add_f32_e32 v9, v20, v15
	v_add_nc_u32_e32 v12, v14, v11
	s_or_saveexec_b32 s4, s18
	v_mul_f32_e64 v15, 0x3f22f983, |v3|
	s_xor_b32 exec_lo, exec_lo, s4
	s_branch .LBB17_61
.LBB17_60:
	s_or_saveexec_b32 s4, s18
	v_mul_f32_e64 v15, 0x3f22f983, |v3|
	s_xor_b32 exec_lo, exec_lo, s4
.LBB17_61:
	v_rndne_f32_e32 v11, v15
	v_fma_f32 v9, 0xbfc90fda, v11, |v3|
	v_cvt_i32_f32_e32 v12, v11
	v_fmamk_f32 v9, v11, 0xb3a22168, v9
	v_fmamk_f32 v9, v11, 0xa7c234c4, v9
; %bb.62:
	s_or_b32 exec_lo, exec_lo, s4
                                        ; implicit-def: $vgpr14
                                        ; implicit-def: $vgpr11
	s_and_saveexec_b32 s4, s7
	s_xor_b32 s7, exec_lo, s4
	s_cbranch_execz .LBB17_64
; %bb.63:
	s_mov_b32 s4, 0x7fffff
	v_mov_b32_e32 v16, 0
	v_and_or_b32 v11, v10, s4, 0x800000
	v_add_nc_u32_e32 v13, 0xffffff88, v13
	v_mad_u64_u32 v[14:15], null, 0xfe5163ab, v11, 0
	v_cmp_lt_u32_e32 vcc_lo, 63, v13
	v_cndmask_b32_e64 v22, 0, 0xffffffc0, vcc_lo
	v_mad_u64_u32 v[17:18], null, 0x3c439041, v11, v[15:16]
	v_add_nc_u32_e32 v13, v22, v13
	v_mov_b32_e32 v15, v18
	v_cmp_lt_u32_e64 s4, 31, v13
	v_mad_u64_u32 v[18:19], null, 0xdb629599, v11, v[15:16]
	v_cndmask_b32_e64 v23, 0, 0xffffffe0, s4
	v_add_nc_u32_e32 v13, v23, v13
	v_mov_b32_e32 v15, v19
	v_cndmask_b32_e32 v14, v18, v14, vcc_lo
	v_cmp_lt_u32_e64 s5, 31, v13
	v_mad_u64_u32 v[19:20], null, 0xf534ddc0, v11, v[15:16]
	v_mov_b32_e32 v15, v20
	v_mad_u64_u32 v[20:21], null, 0xfc2757d1, v11, v[15:16]
	v_mov_b32_e32 v15, v21
	;; [unrolled: 2-line block ×3, first 2 shown]
	v_cndmask_b32_e32 v22, v21, v19, vcc_lo
	v_mad_u64_u32 v[15:16], null, 0xa2f9836e, v11, v[15:16]
	v_cndmask_b32_e64 v11, 0, 0xffffffe0, s5
	v_add_nc_u32_e32 v11, v11, v13
	v_cndmask_b32_e32 v15, v15, v20, vcc_lo
	v_cndmask_b32_e32 v16, v16, v21, vcc_lo
	;; [unrolled: 1-line block ×4, first 2 shown]
	v_sub_nc_u32_e32 v19, 32, v11
	v_cndmask_b32_e64 v17, v15, v22, s4
	v_cndmask_b32_e64 v15, v16, v15, s4
	;; [unrolled: 1-line block ×4, first 2 shown]
	v_cmp_eq_u32_e32 vcc_lo, 0, v11
	v_cndmask_b32_e64 v13, v13, v14, s4
	v_cndmask_b32_e64 v15, v15, v17, s5
	;; [unrolled: 1-line block ×5, first 2 shown]
	v_alignbit_b32 v21, v15, v17, v19
	v_alignbit_b32 v18, v17, v16, v19
	;; [unrolled: 1-line block ×3, first 2 shown]
	v_cndmask_b32_e32 v11, v21, v15, vcc_lo
	v_cndmask_b32_e32 v14, v18, v17, vcc_lo
	;; [unrolled: 1-line block ×3, first 2 shown]
	v_bfe_u32 v15, v11, 29, 1
	v_alignbit_b32 v17, v11, v14, 30
	v_alignbit_b32 v14, v14, v16, 30
	;; [unrolled: 1-line block ×3, first 2 shown]
	v_sub_nc_u32_e32 v18, 0, v15
	v_xor_b32_e32 v17, v17, v18
	v_xor_b32_e32 v14, v14, v18
	;; [unrolled: 1-line block ×3, first 2 shown]
	v_lshrrev_b32_e32 v18, 29, v11
	v_ffbh_u32_e32 v19, v17
	v_min_u32_e32 v19, 32, v19
	v_sub_nc_u32_e32 v16, 31, v19
	v_lshlrev_b32_e32 v20, 23, v19
	v_alignbit_b32 v17, v17, v14, v16
	v_alignbit_b32 v13, v14, v13, v16
	v_lshlrev_b32_e32 v14, 31, v18
	v_alignbit_b32 v16, v17, v13, 9
	v_or_b32_e32 v18, 0.5, v14
	v_lshrrev_b32_e32 v17, 9, v17
	v_or_b32_e32 v14, 0x33000000, v14
	v_ffbh_u32_e32 v21, v16
	v_sub_nc_u32_e32 v18, v18, v20
	v_min_u32_e32 v20, 32, v21
	v_or_b32_e32 v17, v17, v18
	v_not_b32_e32 v18, v20
	v_mul_f32_e32 v21, 0x3fc90fda, v17
	v_add_lshl_u32 v19, v20, v19, 23
	v_alignbit_b32 v13, v16, v13, v18
	v_fma_f32 v16, 0x3fc90fda, v17, -v21
	v_sub_nc_u32_e32 v14, v14, v19
	v_lshrrev_b32_e32 v13, 9, v13
	v_fmamk_f32 v16, v17, 0x33a22168, v16
	v_or_b32_e32 v13, v14, v13
	v_fmac_f32_e32 v16, 0x3fc90fda, v13
	v_lshrrev_b32_e32 v13, 30, v11
	v_add_f32_e32 v11, v21, v16
	v_add_nc_u32_e32 v14, v15, v13
                                        ; implicit-def: $vgpr15
	s_andn2_saveexec_b32 s4, s7
	s_cbranch_execnz .LBB17_65
	s_branch .LBB17_66
.LBB17_64:
	s_andn2_saveexec_b32 s4, s7
.LBB17_65:
	v_rndne_f32_e32 v13, v15
	v_fma_f32 v11, 0xbfc90fda, v13, |v3|
	v_cvt_i32_f32_e32 v14, v13
	v_fmamk_f32 v11, v13, 0xb3a22168, v11
	v_fmamk_f32 v11, v13, 0xa7c234c4, v11
.LBB17_66:
	s_or_b32 exec_lo, exec_lo, s4
	v_div_scale_f32 v13, null, v8, v8, 1.0
	v_div_scale_f32 v17, vcc_lo, 1.0, v8, 1.0
	v_mul_f32_e32 v20, 0x4f800000, v5
	v_rcp_f32_e32 v15, v13
	v_mul_f32_e32 v19, v9, v9
	s_mov_b32 s4, 0xb94c1982
	s_mov_b32 s5, 0x37d75334
	v_and_b32_e32 v21, 1, v14
	v_xor_b32_e32 v10, v10, v3
	v_lshlrev_b32_e32 v14, 30, v14
	v_fma_f32 v16, -v13, v15, 1.0
	v_and_b32_e32 v14, 0x80000000, v14
	v_fmac_f32_e32 v15, v16, v15
	v_mul_f32_e32 v16, v17, v15
	v_fma_f32 v18, -v13, v16, v17
	v_fmac_f32_e32 v16, v18, v15
	v_and_b32_e32 v18, 1, v12
	v_lshlrev_b32_e32 v12, 30, v12
	v_fma_f32 v13, -v13, v16, v17
	v_mul_f32_e32 v17, v11, v11
	v_cmp_eq_u32_e64 s7, 0, v18
	v_and_b32_e32 v12, 0x80000000, v12
	v_div_fmas_f32 v13, v13, v15, v16
	v_cmp_gt_f32_e32 vcc_lo, 0xf800000, v5
	v_fmaak_f32 v15, s4, v19, 0x3c0881c4
	v_fmaak_f32 v16, s5, v19, 0xbab64f3b
	v_div_fixup_f32 v8, v13, v8, 1.0
	v_cndmask_b32_e32 v5, v5, v20, vcc_lo
	v_fmaak_f32 v13, s4, v17, 0x3c0881c4
	v_fmaak_f32 v20, s5, v17, 0xbab64f3b
	;; [unrolled: 1-line block ×3, first 2 shown]
	v_mul_f32_e32 v22, v8, v8
	v_sqrt_f32_e32 v23, v5
	v_fmaak_f32 v16, v19, v16, 0x3d2aabf7
	v_fmaak_f32 v13, v17, v13, 0xbe2aaa9d
	;; [unrolled: 1-line block ×7, first 2 shown]
	v_mul_f32_e32 v15, v19, v15
	v_fmaak_f32 v24, v22, v24, 0x3ec83ea8
	v_fmaak_f32 v25, v22, v25, 0xbf205f75
	;; [unrolled: 1-line block ×4, first 2 shown]
	v_add_nc_u32_e32 v28, -1, v23
	v_fmaak_f32 v24, v22, v24, 0x3f886c1a
	v_fmaak_f32 v25, v22, v25, 0xbf3172ce
	;; [unrolled: 1-line block ×4, first 2 shown]
	v_add_nc_u32_e32 v29, 1, v23
	v_fmaak_f32 v24, v22, v24, 0x3f706d65
	v_fmaak_f32 v25, v22, v25, 0xbe8f3f52
	v_fma_f32 v30, -v28, v23, v5
	v_fmaak_f32 v26, v22, v26, 0x4112fe41
	v_fmaak_f32 v27, v22, v27, 0x40af4271
	;; [unrolled: 1-line block ×4, first 2 shown]
	v_fma_f32 v31, -v29, v23, v5
	v_cmp_ge_f32_e64 s4, 0, v30
	v_fmaak_f32 v26, v22, v26, 0x3fbcd65a
	v_fmaak_f32 v24, v22, v24, 0x3d81d209
	v_fmaak_f32 v27, v22, v27, 0x3f744c96
	v_fmaak_f32 v25, v22, v25, 0xbb85200e
	v_cndmask_b32_e64 v23, v23, v28, s4
	v_cmp_lt_f32_e64 s4, 0, v31
	v_fmaak_f32 v24, v22, v24, 0x3bbff4d0
	v_fmaak_f32 v26, v22, v26, 0x3deced66
	;; [unrolled: 1-line block ×4, first 2 shown]
	v_cndmask_b32_e64 v23, v23, v29, s4
	v_fmaak_f32 v24, v22, v24, 0x39944bb3
	v_fmaak_f32 v26, v22, v26, 0x3b904657
	;; [unrolled: 1-line block ×4, first 2 shown]
	v_mul_f32_e32 v28, 0x37800000, v23
	v_fmaak_f32 v24, v22, v24, 0x36ea79eb
	v_fmaak_f32 v26, v22, v26, 0x389e46bd
	;; [unrolled: 1-line block ×4, first 2 shown]
	v_cndmask_b32_e32 v23, v23, v28, vcc_lo
	v_fmaak_f32 v24, v22, v24, 0x33ae5496
	v_cmp_class_f32_e64 vcc_lo, v5, 0x260
	v_fmaak_f32 v26, v22, v26, 0x34f295ce
	v_fmaak_f32 v27, v22, v27, 0x359d422f
	v_mul_f32_e32 v25, v22, v25
	v_fmaak_f32 v24, v22, v24, 0x2fbbc524
	v_cndmask_b32_e32 v5, v23, v5, vcc_lo
	v_fmaak_f32 v16, v19, v16, 0xbf000004
	v_fmaak_f32 v22, v22, v27, 0x31a8fe3a
	v_div_scale_f32 v23, null, v26, v26, v25
	v_mul_f32_e32 v8, v8, v24
	v_div_scale_f32 v24, null, v5, v5, 0x3f106ebb
	v_rcp_f32_e32 v27, v23
	v_mul_f32_e32 v13, v17, v13
	v_div_scale_f32 v28, null, v22, v22, v8
	v_rcp_f32_e32 v29, v24
	v_fmaak_f32 v20, v17, v20, 0xbf000004
	v_fmac_f32_e32 v9, v9, v15
	v_fma_f32 v15, v19, v16, 1.0
	v_rcp_f32_e32 v16, v28
	v_fmac_f32_e32 v11, v11, v13
	v_fma_f32 v13, v17, v20, 1.0
	v_fma_f32 v17, -v23, v27, 1.0
	v_div_scale_f32 v30, vcc_lo, v25, v26, v25
	v_fma_f32 v20, -v24, v29, 1.0
	v_div_scale_f32 v19, s4, 0x3f106ebb, v5, 0x3f106ebb
	v_fmac_f32_e32 v27, v17, v27
	v_fma_f32 v17, -v28, v16, 1.0
	v_fmac_f32_e32 v29, v20, v29
	v_div_scale_f32 v20, s5, v8, v22, v8
	v_mul_f32_e32 v31, v30, v27
	v_fmac_f32_e32 v16, v17, v16
	v_mul_f32_e32 v17, v19, v29
	v_cndmask_b32_e64 v9, v15, v9, s7
	v_cmp_eq_u32_e64 s7, 0, v21
	v_fma_f32 v15, -v23, v31, v30
	v_mul_f32_e32 v18, v20, v16
	v_fma_f32 v32, -v24, v17, v19
	v_xor3_b32 v9, v10, v12, v9
	v_cndmask_b32_e64 v11, -v11, v13, s7
	v_fmac_f32_e32 v31, v15, v27
	v_fma_f32 v13, -v28, v18, v20
	v_fmac_f32_e32 v17, v32, v29
	v_cmp_class_f32_e64 s7, v3, 0x1f8
	v_xor_b32_e32 v11, v14, v11
	v_fma_f32 v3, -v23, v31, v30
	v_fmac_f32_e32 v18, v13, v16
	v_fma_f32 v10, -v24, v17, v19
	v_cndmask_b32_e64 v9, 0x7fc00000, v9, s7
	v_cndmask_b32_e64 v11, 0x7fc00000, v11, s7
	v_div_fmas_f32 v3, v3, v27, v31
	v_fma_f32 v12, -v28, v18, v20
	s_mov_b32 vcc_lo, s4
	v_div_fmas_f32 v10, v10, v29, v17
	s_mov_b32 vcc_lo, s5
	v_div_fixup_f32 v3, v3, v26, v25
	v_div_fmas_f32 v12, v12, v16, v18
	v_div_fixup_f32 v5, v10, v5, 0x3f106ebb
	v_add_f32_e32 v3, 1.0, v3
	v_div_fixup_f32 v8, v12, v22, v8
	v_mul_f32_e32 v8, v8, v11
	v_fma_f32 v3, v3, v9, -v8
	v_mul_f32_e32 v5, v5, v3
.LBB17_67:
	s_or_b32 exec_lo, exec_lo, s17
.LBB17_68:
	s_or_b32 exec_lo, exec_lo, s16
.LBB17_69:
	s_or_b32 exec_lo, exec_lo, s15
	s_mov_b32 s15, exec_lo
	v_cmpx_neq_f32_e64 0x7f800000, |v4|
	s_cbranch_execz .LBB17_91
; %bb.70:
	v_mov_b32_e32 v6, 0
	s_mov_b32 s16, exec_lo
	v_cmpx_nlt_f32_e32 0x42cfc8b4, v4
	s_cbranch_execz .LBB17_90
; %bb.71:
	s_mov_b32 s4, exec_lo
	v_cmpx_ngt_f32_e32 0xc005c28f, v4
	s_xor_b32 s7, exec_lo, s4
	s_cbranch_execz .LBB17_79
; %bb.72:
	v_cmp_nle_f32_e64 s17, 0x4005c28f, v4
	v_mov_b32_e32 v6, 0
	s_mov_b32 s18, exec_lo
	s_mov_b32 s4, s17
	v_cmpx_le_f32_e32 0x4005c28f, v4
	s_cbranch_execz .LBB17_74
; %bb.73:
	v_mul_f32_e32 v3, 0x4f800000, v4
	v_cmp_gt_f32_e32 vcc_lo, 0xf800000, v4
	v_cndmask_b32_e32 v3, v4, v3, vcc_lo
	v_sqrt_f32_e32 v6, v3
	v_add_nc_u32_e32 v8, -1, v6
	v_add_nc_u32_e32 v9, 1, v6
	v_fma_f32 v10, -v8, v6, v3
	v_fma_f32 v11, -v9, v6, v3
	v_cmp_ge_f32_e64 s4, 0, v10
	v_cndmask_b32_e64 v6, v6, v8, s4
	v_cmp_lt_f32_e64 s4, 0, v11
	v_cndmask_b32_e64 v6, v6, v9, s4
	v_mul_f32_e32 v8, 0x37800000, v6
	v_cndmask_b32_e32 v6, v6, v8, vcc_lo
	v_cmp_class_f32_e64 vcc_lo, v3, 0x260
	v_add_f32_e32 v8, v4, v4
	v_cndmask_b32_e32 v3, v6, v3, vcc_lo
	v_mul_f32_e32 v6, v8, v3
	v_div_scale_f32 v8, null, 0x40400000, 0x40400000, v6
	v_div_scale_f32 v11, vcc_lo, v6, 0x40400000, v6
	v_rcp_f32_e32 v9, v8
	v_fma_f32 v10, -v8, v9, 1.0
	v_fmac_f32_e32 v9, v10, v9
	v_mul_f32_e32 v10, v11, v9
	v_fma_f32 v12, -v8, v10, v11
	v_fmac_f32_e32 v10, v12, v9
	v_fma_f32 v8, -v8, v10, v11
	v_div_fmas_f32 v8, v8, v9, v10
	v_div_fixup_f32 v6, v8, 0x40400000, v6
	v_div_scale_f32 v8, null, v6, v6, 1.0
	v_div_scale_f32 v11, vcc_lo, 1.0, v6, 1.0
	v_mul_f32_e32 v15, 0x3fb8aa3b, v6
	v_rcp_f32_e32 v9, v8
	v_fma_f32 v18, 0x3fb8aa3b, v6, -v15
	v_rndne_f32_e32 v19, v15
	v_sub_f32_e32 v15, v15, v19
	v_fma_f32 v10, -v8, v9, 1.0
	v_fmac_f32_e32 v9, v10, v9
	v_mul_f32_e32 v10, v11, v9
	v_fma_f32 v12, -v8, v10, v11
	v_fmac_f32_e32 v10, v12, v9
	v_fma_f32 v8, -v8, v10, v11
	v_mul_f32_e32 v11, 0x4f800000, v3
	v_div_fmas_f32 v8, v8, v9, v10
	v_cmp_gt_f32_e32 vcc_lo, 0xf800000, v3
	v_div_fixup_f32 v8, v8, v6, 1.0
	v_cndmask_b32_e32 v3, v3, v11, vcc_lo
	v_fmaak_f32 v9, 0, v8, 0x3f114de0
	v_fmaak_f32 v10, 0, v8, 0x3eb16d71
	v_sqrt_f32_e32 v11, v3
	v_fmaak_f32 v9, v8, v9, 0x416c19a0
	v_fmaak_f32 v10, v8, v10, 0x41401f1c
	;; [unrolled: 1-line block ×4, first 2 shown]
	v_add_nc_u32_e32 v12, -1, v11
	v_add_nc_u32_e32 v13, 1, v11
	v_fmaak_f32 v9, v8, v9, 0x4331516e
	v_fmaak_f32 v10, v8, v10, 0x432816d7
	v_fma_f32 v16, -v12, v11, v3
	v_fma_f32 v17, -v13, v11, v3
	v_fmaak_f32 v9, v8, v9, 0x43243c15
	v_fmaak_f32 v10, v8, v10, 0x431fc1a3
	v_cmp_ge_f32_e64 s4, 0, v16
	v_fmamk_f32 v16, v6, 0x32a5705f, v18
	v_cmp_lt_f32_e64 s5, 0, v17
	v_fmaak_f32 v9, v8, v9, 0x428ef4a7
	v_fmaak_f32 v10, v8, v10, 0x428d127a
	v_cndmask_b32_e64 v11, v11, v12, s4
	v_cvt_i32_f32_e32 v17, v19
	v_fmaak_f32 v9, v8, v9, 0x416188dd
	v_fmaak_f32 v10, v8, v10, 0x41606c6b
	v_cndmask_b32_e64 v11, v11, v13, s5
	v_fma_f32 v9, v8, v9, 1.0
	v_fma_f32 v8, v8, v10, 1.0
	v_div_scale_f32 v10, null, v9, v9, v8
	v_div_scale_f32 v18, s4, v8, v9, v8
	v_rcp_f32_e32 v14, v10
	v_fma_f32 v12, -v10, v14, 1.0
	v_fmac_f32_e32 v14, v12, v14
	v_add_f32_e32 v12, v15, v16
	v_mul_f32_e32 v15, 0x37800000, v11
	v_mul_f32_e32 v13, v18, v14
	v_exp_f32_e32 v12, v12
	v_cndmask_b32_e32 v11, v11, v15, vcc_lo
	v_cmp_class_f32_e64 vcc_lo, v3, 0x260
	v_fma_f32 v16, -v10, v13, v18
	v_cndmask_b32_e32 v3, v11, v3, vcc_lo
	v_cmp_ngt_f32_e32 vcc_lo, 0xc2ce8ed0, v6
	v_fmac_f32_e32 v13, v16, v14
	v_ldexp_f32 v12, v12, v17
	v_add_f32_e32 v3, v3, v3
	v_fma_f32 v10, -v10, v13, v18
	v_cndmask_b32_e32 v11, 0, v12, vcc_lo
	s_mov_b32 vcc_lo, s4
	s_andn2_b32 s4, s17, exec_lo
	v_div_fmas_f32 v10, v10, v14, v13
	v_cmp_nlt_f32_e32 vcc_lo, 0x42b17218, v6
	v_div_fixup_f32 v8, v10, v9, v8
	v_cndmask_b32_e32 v6, 0x7f800000, v11, vcc_lo
	v_mul_f32_e32 v3, v3, v6
	v_mul_f32_e32 v6, 0x3f106ebb, v8
	v_div_scale_f32 v8, null, v3, v3, v6
	v_div_scale_f32 v11, vcc_lo, v6, v3, v6
	v_rcp_f32_e32 v9, v8
	v_fma_f32 v10, -v8, v9, 1.0
	v_fmac_f32_e32 v9, v10, v9
	v_mul_f32_e32 v10, v11, v9
	v_fma_f32 v12, -v8, v10, v11
	v_fmac_f32_e32 v10, v12, v9
	v_fma_f32 v8, -v8, v10, v11
	v_div_fmas_f32 v8, v8, v9, v10
	v_cmp_nlt_f32_e32 vcc_lo, 0x41052018, v4
	v_div_fixup_f32 v6, v8, v3, v6
	s_and_b32 s5, vcc_lo, exec_lo
	s_or_b32 s4, s4, s5
.LBB17_74:
	s_or_b32 exec_lo, exec_lo, s18
	s_and_saveexec_b32 s5, s4
	s_cbranch_execz .LBB17_78
; %bb.75:
	v_mul_f32_e32 v8, v4, v4
	v_mov_b32_e32 v10, 1.0
	v_mov_b32_e32 v11, 1.0
	v_mov_b32_e32 v3, v4
	s_mov_b32 s18, 0
	v_mul_f32_e32 v9, v4, v8
	v_mov_b32_e32 v8, 1.0
.LBB17_76:                              ; =>This Inner Loop Header: Depth=1
	v_mul_f32_e32 v10, v9, v10
	v_add_f32_e32 v11, 1.0, v11
	v_mul_f32_e32 v4, v9, v4
	v_div_scale_f32 v12, null, v11, v11, v10
	v_div_scale_f32 v15, vcc_lo, v10, v11, v10
	v_add_f32_e32 v14, 1.0, v11
	v_rcp_f32_e32 v13, v12
	v_div_scale_f32 v16, null, v14, v14, v4
	v_fma_f32 v17, -v12, v13, 1.0
	v_fmac_f32_e32 v13, v17, v13
	v_mul_f32_e32 v17, v15, v13
	v_fma_f32 v18, -v12, v17, v15
	v_fmac_f32_e32 v17, v18, v13
	v_fma_f32 v12, -v12, v17, v15
	v_div_fmas_f32 v12, v12, v13, v17
	v_div_scale_f32 v15, vcc_lo, v4, v14, v4
	v_div_fixup_f32 v10, v12, v11, v10
	v_rcp_f32_e32 v12, v16
	v_div_scale_f32 v11, null, v14, v14, v10
	v_div_scale_f32 v18, s4, v10, v14, v10
	v_rcp_f32_e32 v13, v11
	v_fma_f32 v17, -v16, v12, 1.0
	v_fmac_f32_e32 v12, v17, v12
	v_fma_f32 v17, -v11, v13, 1.0
	v_fmac_f32_e32 v13, v17, v13
	v_mul_f32_e32 v17, v15, v12
	v_mul_f32_e32 v19, v18, v13
	v_fma_f32 v20, -v16, v17, v15
	v_fma_f32 v21, -v11, v19, v18
	v_fmac_f32_e32 v17, v20, v12
	v_fmac_f32_e32 v19, v21, v13
	v_fma_f32 v15, -v16, v17, v15
	v_fma_f32 v11, -v11, v19, v18
	v_div_fmas_f32 v12, v15, v12, v17
	s_mov_b32 vcc_lo, s4
	v_div_fmas_f32 v13, v11, v13, v19
	v_add_f32_e32 v11, 1.0, v14
	v_div_fixup_f32 v4, v12, v14, v4
	v_div_fixup_f32 v10, v13, v14, v10
	v_div_scale_f32 v12, null, v11, v11, v4
	v_div_scale_f32 v16, vcc_lo, v4, v11, v4
	v_add_f32_e32 v8, v8, v10
	v_rcp_f32_e32 v14, v12
	v_div_scale_f32 v13, null, v8, v8, v10
	v_rcp_f32_e32 v15, v13
	v_fma_f32 v17, -v12, v14, 1.0
	v_fmac_f32_e32 v14, v17, v14
	v_div_scale_f32 v17, s4, v10, v8, v10
	v_fma_f32 v18, -v13, v15, 1.0
	v_fmac_f32_e32 v15, v18, v15
	v_mul_f32_e32 v18, v16, v14
	v_mul_f32_e32 v19, v17, v15
	v_fma_f32 v20, -v12, v18, v16
	v_fma_f32 v21, -v13, v19, v17
	v_fmac_f32_e32 v18, v20, v14
	v_fmac_f32_e32 v19, v21, v15
	v_fma_f32 v12, -v12, v18, v16
	v_fma_f32 v13, -v13, v19, v17
	v_div_fmas_f32 v12, v12, v14, v18
	s_mov_b32 vcc_lo, s4
	v_div_fmas_f32 v13, v13, v15, v19
	v_div_fixup_f32 v4, v12, v11, v4
	v_div_fixup_f32 v13, v13, v8, v10
	v_add_f32_e32 v3, v3, v4
	v_cmp_nlt_f32_e64 s4, 0x34000000, |v13|
	s_or_b32 s18, s4, s18
	s_andn2_b32 exec_lo, exec_lo, s18
	s_cbranch_execnz .LBB17_76
; %bb.77:
	s_or_b32 exec_lo, exec_lo, s18
	v_mul_f32_e32 v3, 0xbe8483fa, v3
	v_fmamk_f32 v3, v8, 0x3eb5c63d, v3
	v_cndmask_b32_e64 v6, v6, v3, s17
.LBB17_78:
	s_or_b32 exec_lo, exec_lo, s5
                                        ; implicit-def: $vgpr3_vgpr4
.LBB17_79:
	s_andn2_saveexec_b32 s17, s7
	s_cbranch_execz .LBB17_89
; %bb.80:
	v_mul_f32_e32 v3, 0xcf800000, v4
	v_cmp_lt_f32_e32 vcc_lo, 0x8f800000, v4
	v_cndmask_b32_e64 v3, -v4, v3, vcc_lo
	v_sqrt_f32_e32 v6, v3
	v_add_nc_u32_e32 v8, -1, v6
	v_add_nc_u32_e32 v9, 1, v6
	v_fma_f32 v10, -v8, v6, v3
	v_fma_f32 v11, -v9, v6, v3
	v_cmp_ge_f32_e64 s4, 0, v10
	v_cndmask_b32_e64 v6, v6, v8, s4
	v_cmp_lt_f32_e64 s4, 0, v11
	v_cndmask_b32_e64 v6, v6, v9, s4
	v_mul_f32_e32 v8, 0x37800000, v6
	v_cndmask_b32_e32 v6, v6, v8, vcc_lo
	v_cmp_class_f32_e64 vcc_lo, v3, 0x260
	v_mul_f32_e32 v8, -2.0, v4
	v_cndmask_b32_e32 v4, v6, v3, vcc_lo
	v_mul_f32_e32 v3, v8, v4
	v_div_scale_f32 v6, null, 0x40400000, 0x40400000, v3
	v_rcp_f32_e32 v8, v6
	v_fma_f32 v9, -v6, v8, 1.0
	v_fmac_f32_e32 v8, v9, v8
	v_div_scale_f32 v9, vcc_lo, v3, 0x40400000, v3
	v_mul_f32_e32 v10, v9, v8
	v_fma_f32 v11, -v6, v10, v9
	v_fmac_f32_e32 v10, v11, v8
                                        ; implicit-def: $vgpr11
	v_fma_f32 v6, -v6, v10, v9
	v_div_fmas_f32 v6, v6, v8, v10
                                        ; implicit-def: $vgpr8
	v_div_fixup_f32 v6, v6, 0x40400000, v3
	v_add_f32_e32 v3, 0x3f490fdb, v6
	v_and_b32_e32 v9, 0x7fffffff, v3
	v_cmp_ngt_f32_e64 s7, 0x48000000, |v3|
	v_lshrrev_b32_e32 v12, 23, v9
	s_and_saveexec_b32 s4, s7
	s_xor_b32 s18, exec_lo, s4
	s_cbranch_execz .LBB17_82
; %bb.81:
	s_mov_b32 s4, 0x7fffff
	v_mov_b32_e32 v14, 0
	v_and_or_b32 v8, v9, s4, 0x800000
	v_mad_u64_u32 v[10:11], null, 0xfe5163ab, v8, 0
	v_mov_b32_e32 v13, v11
	v_add_nc_u32_e32 v11, 0xffffff88, v12
	v_mad_u64_u32 v[15:16], null, 0x3c439041, v8, v[13:14]
	v_cmp_lt_u32_e32 vcc_lo, 63, v11
	v_cndmask_b32_e64 v20, 0, 0xffffffc0, vcc_lo
	v_mov_b32_e32 v13, v16
	v_add_nc_u32_e32 v11, v20, v11
	v_mad_u64_u32 v[16:17], null, 0xdb629599, v8, v[13:14]
	v_cmp_lt_u32_e64 s4, 31, v11
	v_mov_b32_e32 v13, v17
	v_cndmask_b32_e64 v21, 0, 0xffffffe0, s4
	v_cndmask_b32_e32 v10, v16, v10, vcc_lo
	v_mad_u64_u32 v[17:18], null, 0xf534ddc0, v8, v[13:14]
	v_add_nc_u32_e32 v11, v21, v11
	v_cmp_lt_u32_e64 s5, 31, v11
	v_mov_b32_e32 v13, v18
	v_mad_u64_u32 v[18:19], null, 0xfc2757d1, v8, v[13:14]
	v_mov_b32_e32 v13, v19
	v_mad_u64_u32 v[19:20], null, 0x4e441529, v8, v[13:14]
	v_mov_b32_e32 v13, v20
	v_cndmask_b32_e32 v20, v19, v17, vcc_lo
	v_mad_u64_u32 v[13:14], null, 0xa2f9836e, v8, v[13:14]
	v_cndmask_b32_e64 v8, 0, 0xffffffe0, s5
	v_add_nc_u32_e32 v8, v8, v11
	v_cndmask_b32_e32 v13, v13, v18, vcc_lo
	v_cndmask_b32_e32 v14, v14, v19, vcc_lo
	v_cndmask_b32_e32 v18, v18, v16, vcc_lo
	v_cndmask_b32_e32 v11, v17, v15, vcc_lo
	v_sub_nc_u32_e32 v17, 32, v8
	v_cndmask_b32_e64 v15, v13, v20, s4
	v_cndmask_b32_e64 v13, v14, v13, s4
	;; [unrolled: 1-line block ×4, first 2 shown]
	v_cmp_eq_u32_e32 vcc_lo, 0, v8
	v_cndmask_b32_e64 v10, v11, v10, s4
	v_cndmask_b32_e64 v13, v13, v15, s5
	;; [unrolled: 1-line block ×5, first 2 shown]
	v_alignbit_b32 v19, v13, v15, v17
	v_alignbit_b32 v16, v15, v14, v17
	;; [unrolled: 1-line block ×3, first 2 shown]
	v_cndmask_b32_e32 v8, v19, v13, vcc_lo
	v_cndmask_b32_e32 v11, v16, v15, vcc_lo
	v_cndmask_b32_e32 v14, v17, v14, vcc_lo
	v_bfe_u32 v13, v8, 29, 1
	v_alignbit_b32 v15, v8, v11, 30
	v_alignbit_b32 v11, v11, v14, 30
	;; [unrolled: 1-line block ×3, first 2 shown]
	v_sub_nc_u32_e32 v16, 0, v13
	v_xor_b32_e32 v15, v15, v16
	v_xor_b32_e32 v11, v11, v16
	;; [unrolled: 1-line block ×3, first 2 shown]
	v_lshrrev_b32_e32 v16, 29, v8
	v_ffbh_u32_e32 v17, v15
	v_min_u32_e32 v17, 32, v17
	v_sub_nc_u32_e32 v14, 31, v17
	v_lshlrev_b32_e32 v18, 23, v17
	v_alignbit_b32 v15, v15, v11, v14
	v_alignbit_b32 v10, v11, v10, v14
	v_lshlrev_b32_e32 v11, 31, v16
	v_alignbit_b32 v14, v15, v10, 9
	v_or_b32_e32 v16, 0.5, v11
	v_lshrrev_b32_e32 v15, 9, v15
	v_or_b32_e32 v11, 0x33000000, v11
	v_ffbh_u32_e32 v19, v14
	v_sub_nc_u32_e32 v16, v16, v18
	v_min_u32_e32 v18, 32, v19
	v_or_b32_e32 v15, v15, v16
	v_not_b32_e32 v16, v18
	v_mul_f32_e32 v19, 0x3fc90fda, v15
	v_add_lshl_u32 v17, v18, v17, 23
	v_alignbit_b32 v10, v14, v10, v16
	v_fma_f32 v14, 0x3fc90fda, v15, -v19
	v_sub_nc_u32_e32 v11, v11, v17
	v_lshrrev_b32_e32 v10, 9, v10
	v_fmamk_f32 v14, v15, 0x33a22168, v14
	v_or_b32_e32 v10, v11, v10
	v_fmac_f32_e32 v14, 0x3fc90fda, v10
	v_lshrrev_b32_e32 v10, 30, v8
	v_add_f32_e32 v8, v19, v14
	v_add_nc_u32_e32 v11, v13, v10
	s_or_saveexec_b32 s4, s18
	v_mul_f32_e64 v14, 0x3f22f983, |v3|
	s_xor_b32 exec_lo, exec_lo, s4
	s_branch .LBB17_83
.LBB17_82:
	s_or_saveexec_b32 s4, s18
	v_mul_f32_e64 v14, 0x3f22f983, |v3|
	s_xor_b32 exec_lo, exec_lo, s4
.LBB17_83:
	v_rndne_f32_e32 v10, v14
	v_fma_f32 v8, 0xbfc90fda, v10, |v3|
	v_cvt_i32_f32_e32 v11, v10
	v_fmamk_f32 v8, v10, 0xb3a22168, v8
	v_fmamk_f32 v8, v10, 0xa7c234c4, v8
; %bb.84:
	s_or_b32 exec_lo, exec_lo, s4
                                        ; implicit-def: $vgpr13
                                        ; implicit-def: $vgpr10
	s_and_saveexec_b32 s4, s7
	s_xor_b32 s7, exec_lo, s4
	s_cbranch_execz .LBB17_86
; %bb.85:
	s_mov_b32 s4, 0x7fffff
	v_mov_b32_e32 v15, 0
	v_and_or_b32 v10, v9, s4, 0x800000
	v_add_nc_u32_e32 v12, 0xffffff88, v12
	v_mad_u64_u32 v[13:14], null, 0xfe5163ab, v10, 0
	v_cmp_lt_u32_e32 vcc_lo, 63, v12
	v_cndmask_b32_e64 v21, 0, 0xffffffc0, vcc_lo
	v_mad_u64_u32 v[16:17], null, 0x3c439041, v10, v[14:15]
	v_add_nc_u32_e32 v12, v21, v12
	v_mov_b32_e32 v14, v17
	v_cmp_lt_u32_e64 s4, 31, v12
	v_mad_u64_u32 v[17:18], null, 0xdb629599, v10, v[14:15]
	v_cndmask_b32_e64 v22, 0, 0xffffffe0, s4
	v_add_nc_u32_e32 v12, v22, v12
	v_mov_b32_e32 v14, v18
	v_cndmask_b32_e32 v13, v17, v13, vcc_lo
	v_cmp_lt_u32_e64 s5, 31, v12
	v_mad_u64_u32 v[18:19], null, 0xf534ddc0, v10, v[14:15]
	v_mov_b32_e32 v14, v19
	v_mad_u64_u32 v[19:20], null, 0xfc2757d1, v10, v[14:15]
	v_mov_b32_e32 v14, v20
	v_mad_u64_u32 v[20:21], null, 0x4e441529, v10, v[14:15]
	v_mov_b32_e32 v14, v21
	v_cndmask_b32_e32 v21, v20, v18, vcc_lo
	v_mad_u64_u32 v[14:15], null, 0xa2f9836e, v10, v[14:15]
	v_cndmask_b32_e64 v10, 0, 0xffffffe0, s5
	v_add_nc_u32_e32 v10, v10, v12
	v_cndmask_b32_e32 v14, v14, v19, vcc_lo
	v_cndmask_b32_e32 v15, v15, v20, vcc_lo
	;; [unrolled: 1-line block ×4, first 2 shown]
	v_sub_nc_u32_e32 v18, 32, v10
	v_cndmask_b32_e64 v16, v14, v21, s4
	v_cndmask_b32_e64 v14, v15, v14, s4
	;; [unrolled: 1-line block ×4, first 2 shown]
	v_cmp_eq_u32_e32 vcc_lo, 0, v10
	v_cndmask_b32_e64 v12, v12, v13, s4
	v_cndmask_b32_e64 v14, v14, v16, s5
	;; [unrolled: 1-line block ×5, first 2 shown]
	v_alignbit_b32 v20, v14, v16, v18
	v_alignbit_b32 v17, v16, v15, v18
	;; [unrolled: 1-line block ×3, first 2 shown]
	v_cndmask_b32_e32 v10, v20, v14, vcc_lo
	v_cndmask_b32_e32 v13, v17, v16, vcc_lo
	;; [unrolled: 1-line block ×3, first 2 shown]
	v_bfe_u32 v14, v10, 29, 1
	v_alignbit_b32 v16, v10, v13, 30
	v_alignbit_b32 v13, v13, v15, 30
	;; [unrolled: 1-line block ×3, first 2 shown]
	v_sub_nc_u32_e32 v17, 0, v14
	v_xor_b32_e32 v16, v16, v17
	v_xor_b32_e32 v13, v13, v17
	;; [unrolled: 1-line block ×3, first 2 shown]
	v_lshrrev_b32_e32 v17, 29, v10
	v_ffbh_u32_e32 v18, v16
	v_min_u32_e32 v18, 32, v18
	v_sub_nc_u32_e32 v15, 31, v18
	v_lshlrev_b32_e32 v19, 23, v18
	v_alignbit_b32 v16, v16, v13, v15
	v_alignbit_b32 v12, v13, v12, v15
	v_lshlrev_b32_e32 v13, 31, v17
	v_alignbit_b32 v15, v16, v12, 9
	v_or_b32_e32 v17, 0.5, v13
	v_lshrrev_b32_e32 v16, 9, v16
	v_or_b32_e32 v13, 0x33000000, v13
	v_ffbh_u32_e32 v20, v15
	v_sub_nc_u32_e32 v17, v17, v19
	v_min_u32_e32 v19, 32, v20
	v_or_b32_e32 v16, v16, v17
	v_not_b32_e32 v17, v19
	v_mul_f32_e32 v20, 0x3fc90fda, v16
	v_add_lshl_u32 v18, v19, v18, 23
	v_alignbit_b32 v12, v15, v12, v17
	v_fma_f32 v15, 0x3fc90fda, v16, -v20
	v_sub_nc_u32_e32 v13, v13, v18
	v_lshrrev_b32_e32 v12, 9, v12
	v_fmamk_f32 v15, v16, 0x33a22168, v15
	v_or_b32_e32 v12, v13, v12
	v_fmac_f32_e32 v15, 0x3fc90fda, v12
	v_lshrrev_b32_e32 v12, 30, v10
	v_add_f32_e32 v10, v20, v15
	v_add_nc_u32_e32 v13, v14, v12
                                        ; implicit-def: $vgpr14
	s_andn2_saveexec_b32 s4, s7
	s_cbranch_execnz .LBB17_87
	s_branch .LBB17_88
.LBB17_86:
	s_andn2_saveexec_b32 s4, s7
.LBB17_87:
	v_rndne_f32_e32 v12, v14
	v_fma_f32 v10, 0xbfc90fda, v12, |v3|
	v_cvt_i32_f32_e32 v13, v12
	v_fmamk_f32 v10, v12, 0xb3a22168, v10
	v_fmamk_f32 v10, v12, 0xa7c234c4, v10
.LBB17_88:
	s_or_b32 exec_lo, exec_lo, s4
	v_div_scale_f32 v12, null, v6, v6, 1.0
	v_div_scale_f32 v16, vcc_lo, 1.0, v6, 1.0
	v_mul_f32_e32 v19, 0x4f800000, v4
	v_rcp_f32_e32 v14, v12
	v_mul_f32_e32 v18, v8, v8
	s_mov_b32 s4, 0xb94c1982
	s_mov_b32 s5, 0x37d75334
	v_and_b32_e32 v20, 1, v13
	v_xor_b32_e32 v9, v9, v3
	v_lshlrev_b32_e32 v13, 30, v13
	v_fma_f32 v15, -v12, v14, 1.0
	v_and_b32_e32 v13, 0x80000000, v13
	v_fmac_f32_e32 v14, v15, v14
	v_mul_f32_e32 v15, v16, v14
	v_fma_f32 v17, -v12, v15, v16
	v_fmac_f32_e32 v15, v17, v14
	v_and_b32_e32 v17, 1, v11
	v_lshlrev_b32_e32 v11, 30, v11
	v_fma_f32 v12, -v12, v15, v16
	v_mul_f32_e32 v16, v10, v10
	v_cmp_eq_u32_e64 s7, 0, v17
	v_and_b32_e32 v11, 0x80000000, v11
	v_div_fmas_f32 v12, v12, v14, v15
	v_cmp_gt_f32_e32 vcc_lo, 0xf800000, v4
	v_fmaak_f32 v14, s4, v18, 0x3c0881c4
	v_fmaak_f32 v15, s5, v18, 0xbab64f3b
	v_div_fixup_f32 v6, v12, v6, 1.0
	v_cndmask_b32_e32 v4, v4, v19, vcc_lo
	v_fmaak_f32 v12, s4, v16, 0x3c0881c4
	v_fmaak_f32 v19, s5, v16, 0xbab64f3b
	;; [unrolled: 1-line block ×3, first 2 shown]
	v_mul_f32_e32 v21, v6, v6
	v_sqrt_f32_e32 v22, v4
	v_fmaak_f32 v15, v18, v15, 0x3d2aabf7
	v_fmaak_f32 v12, v16, v12, 0xbe2aaa9d
	;; [unrolled: 1-line block ×7, first 2 shown]
	v_mul_f32_e32 v14, v18, v14
	v_fmaak_f32 v23, v21, v23, 0x3ec83ea8
	v_fmaak_f32 v24, v21, v24, 0xbf205f75
	;; [unrolled: 1-line block ×4, first 2 shown]
	v_add_nc_u32_e32 v27, -1, v22
	v_fmaak_f32 v23, v21, v23, 0x3f886c1a
	v_fmaak_f32 v24, v21, v24, 0xbf3172ce
	;; [unrolled: 1-line block ×4, first 2 shown]
	v_add_nc_u32_e32 v28, 1, v22
	v_fmaak_f32 v23, v21, v23, 0x3f706d65
	v_fmaak_f32 v24, v21, v24, 0xbe8f3f52
	v_fma_f32 v29, -v27, v22, v4
	v_fmaak_f32 v25, v21, v25, 0x4112fe41
	v_fmaak_f32 v26, v21, v26, 0x40af4271
	;; [unrolled: 1-line block ×4, first 2 shown]
	v_fma_f32 v30, -v28, v22, v4
	v_cmp_ge_f32_e64 s4, 0, v29
	v_fmaak_f32 v25, v21, v25, 0x3fbcd65a
	v_fmaak_f32 v23, v21, v23, 0x3d81d209
	;; [unrolled: 1-line block ×4, first 2 shown]
	v_cndmask_b32_e64 v22, v22, v27, s4
	v_cmp_lt_f32_e64 s4, 0, v30
	v_fmaak_f32 v23, v21, v23, 0x3bbff4d0
	v_fmaak_f32 v25, v21, v25, 0x3deced66
	;; [unrolled: 1-line block ×4, first 2 shown]
	v_cndmask_b32_e64 v22, v22, v28, s4
	v_fmaak_f32 v23, v21, v23, 0x39944bb3
	v_fmaak_f32 v25, v21, v25, 0x3b904657
	;; [unrolled: 1-line block ×4, first 2 shown]
	v_mul_f32_e32 v27, 0x37800000, v22
	v_fmaak_f32 v23, v21, v23, 0x36ea79eb
	v_fmaak_f32 v25, v21, v25, 0x389e46bd
	;; [unrolled: 1-line block ×4, first 2 shown]
	v_cndmask_b32_e32 v22, v22, v27, vcc_lo
	v_fmaak_f32 v23, v21, v23, 0x33ae5496
	v_cmp_class_f32_e64 vcc_lo, v4, 0x260
	v_fmaak_f32 v25, v21, v25, 0x34f295ce
	v_fmaak_f32 v26, v21, v26, 0x359d422f
	v_mul_f32_e32 v24, v21, v24
	v_fmaak_f32 v23, v21, v23, 0x2fbbc524
	v_cndmask_b32_e32 v4, v22, v4, vcc_lo
	v_fmaak_f32 v15, v18, v15, 0xbf000004
	v_fmaak_f32 v21, v21, v26, 0x31a8fe3a
	v_div_scale_f32 v22, null, v25, v25, v24
	v_mul_f32_e32 v6, v6, v23
	v_div_scale_f32 v23, null, v4, v4, 0x3f106ebb
	v_rcp_f32_e32 v26, v22
	v_mul_f32_e32 v12, v16, v12
	v_div_scale_f32 v27, null, v21, v21, v6
	v_rcp_f32_e32 v28, v23
	v_fmaak_f32 v19, v16, v19, 0xbf000004
	v_fmac_f32_e32 v8, v8, v14
	v_fma_f32 v14, v18, v15, 1.0
	v_rcp_f32_e32 v15, v27
	v_fmac_f32_e32 v10, v10, v12
	v_fma_f32 v12, v16, v19, 1.0
	v_fma_f32 v16, -v22, v26, 1.0
	v_div_scale_f32 v29, vcc_lo, v24, v25, v24
	v_fma_f32 v19, -v23, v28, 1.0
	v_div_scale_f32 v18, s4, 0x3f106ebb, v4, 0x3f106ebb
	v_fmac_f32_e32 v26, v16, v26
	v_fma_f32 v16, -v27, v15, 1.0
	v_fmac_f32_e32 v28, v19, v28
	v_div_scale_f32 v19, s5, v6, v21, v6
	v_mul_f32_e32 v30, v29, v26
	v_fmac_f32_e32 v15, v16, v15
	v_mul_f32_e32 v16, v18, v28
	v_cndmask_b32_e64 v8, v14, v8, s7
	v_cmp_eq_u32_e64 s7, 0, v20
	v_fma_f32 v14, -v22, v30, v29
	v_mul_f32_e32 v17, v19, v15
	v_fma_f32 v31, -v23, v16, v18
	v_xor3_b32 v8, v9, v11, v8
	v_cndmask_b32_e64 v10, -v10, v12, s7
	v_fmac_f32_e32 v30, v14, v26
	v_fma_f32 v12, -v27, v17, v19
	v_fmac_f32_e32 v16, v31, v28
	v_cmp_class_f32_e64 s7, v3, 0x1f8
	v_xor_b32_e32 v10, v13, v10
	v_fma_f32 v3, -v22, v30, v29
	v_fmac_f32_e32 v17, v12, v15
	v_fma_f32 v9, -v23, v16, v18
	v_cndmask_b32_e64 v8, 0x7fc00000, v8, s7
	v_cndmask_b32_e64 v10, 0x7fc00000, v10, s7
	v_div_fmas_f32 v3, v3, v26, v30
	v_fma_f32 v11, -v27, v17, v19
	s_mov_b32 vcc_lo, s4
	v_div_fmas_f32 v9, v9, v28, v16
	s_mov_b32 vcc_lo, s5
	v_div_fixup_f32 v3, v3, v25, v24
	v_div_fmas_f32 v11, v11, v15, v17
	v_div_fixup_f32 v4, v9, v4, 0x3f106ebb
	v_add_f32_e32 v3, 1.0, v3
	v_div_fixup_f32 v6, v11, v21, v6
	v_mul_f32_e32 v6, v6, v10
	v_fma_f32 v3, v3, v8, -v6
	v_mul_f32_e32 v6, v4, v3
.LBB17_89:
	s_or_b32 exec_lo, exec_lo, s17
.LBB17_90:
	s_or_b32 exec_lo, exec_lo, s16
.LBB17_91:
	s_or_b32 exec_lo, exec_lo, s15
	s_add_u32 s4, s8, s12
	s_addc_u32 s5, s9, s13
	v_add_co_u32 v3, s7, s4, v7
	v_add_co_ci_u32_e64 v4, null, s5, 0, s7
	global_store_dwordx2 v7, v[1:2], s[4:5]
	v_add_co_u32 v3, vcc_lo, 0x800, v3
	v_add_co_ci_u32_e64 v4, null, 0, v4, vcc_lo
	global_store_dwordx2 v[3:4], v[5:6], off
.LBB17_92:
	s_endpgm
	.section	.rodata,"a",@progbits
	.p2align	6, 0x0
	.amdhsa_kernel _ZN2at6native29vectorized_elementwise_kernelILi2EZZZNS0_12_GLOBAL__N_119airy_ai_kernel_cudaERNS_18TensorIteratorBaseEENKUlvE_clEvENKUlvE0_clEvEUlfE_St5arrayIPcLm2EEEEviT0_T1_
		.amdhsa_group_segment_fixed_size 0
		.amdhsa_private_segment_fixed_size 0
		.amdhsa_kernarg_size 24
		.amdhsa_user_sgpr_count 6
		.amdhsa_user_sgpr_private_segment_buffer 1
		.amdhsa_user_sgpr_dispatch_ptr 0
		.amdhsa_user_sgpr_queue_ptr 0
		.amdhsa_user_sgpr_kernarg_segment_ptr 1
		.amdhsa_user_sgpr_dispatch_id 0
		.amdhsa_user_sgpr_flat_scratch_init 0
		.amdhsa_user_sgpr_private_segment_size 0
		.amdhsa_wavefront_size32 1
		.amdhsa_uses_dynamic_stack 0
		.amdhsa_system_sgpr_private_segment_wavefront_offset 0
		.amdhsa_system_sgpr_workgroup_id_x 1
		.amdhsa_system_sgpr_workgroup_id_y 0
		.amdhsa_system_sgpr_workgroup_id_z 0
		.amdhsa_system_sgpr_workgroup_info 0
		.amdhsa_system_vgpr_workitem_id 0
		.amdhsa_next_free_vgpr 38
		.amdhsa_next_free_sgpr 33
		.amdhsa_reserve_vcc 1
		.amdhsa_reserve_flat_scratch 0
		.amdhsa_float_round_mode_32 0
		.amdhsa_float_round_mode_16_64 0
		.amdhsa_float_denorm_mode_32 3
		.amdhsa_float_denorm_mode_16_64 3
		.amdhsa_dx10_clamp 1
		.amdhsa_ieee_mode 1
		.amdhsa_fp16_overflow 0
		.amdhsa_workgroup_processor_mode 1
		.amdhsa_memory_ordered 1
		.amdhsa_forward_progress 1
		.amdhsa_shared_vgpr_count 0
		.amdhsa_exception_fp_ieee_invalid_op 0
		.amdhsa_exception_fp_denorm_src 0
		.amdhsa_exception_fp_ieee_div_zero 0
		.amdhsa_exception_fp_ieee_overflow 0
		.amdhsa_exception_fp_ieee_underflow 0
		.amdhsa_exception_fp_ieee_inexact 0
		.amdhsa_exception_int_div_zero 0
	.end_amdhsa_kernel
	.section	.text._ZN2at6native29vectorized_elementwise_kernelILi2EZZZNS0_12_GLOBAL__N_119airy_ai_kernel_cudaERNS_18TensorIteratorBaseEENKUlvE_clEvENKUlvE0_clEvEUlfE_St5arrayIPcLm2EEEEviT0_T1_,"axG",@progbits,_ZN2at6native29vectorized_elementwise_kernelILi2EZZZNS0_12_GLOBAL__N_119airy_ai_kernel_cudaERNS_18TensorIteratorBaseEENKUlvE_clEvENKUlvE0_clEvEUlfE_St5arrayIPcLm2EEEEviT0_T1_,comdat
.Lfunc_end17:
	.size	_ZN2at6native29vectorized_elementwise_kernelILi2EZZZNS0_12_GLOBAL__N_119airy_ai_kernel_cudaERNS_18TensorIteratorBaseEENKUlvE_clEvENKUlvE0_clEvEUlfE_St5arrayIPcLm2EEEEviT0_T1_, .Lfunc_end17-_ZN2at6native29vectorized_elementwise_kernelILi2EZZZNS0_12_GLOBAL__N_119airy_ai_kernel_cudaERNS_18TensorIteratorBaseEENKUlvE_clEvENKUlvE0_clEvEUlfE_St5arrayIPcLm2EEEEviT0_T1_
                                        ; -- End function
	.set _ZN2at6native29vectorized_elementwise_kernelILi2EZZZNS0_12_GLOBAL__N_119airy_ai_kernel_cudaERNS_18TensorIteratorBaseEENKUlvE_clEvENKUlvE0_clEvEUlfE_St5arrayIPcLm2EEEEviT0_T1_.num_vgpr, max(33, .L_ZN2at6native25elementwise_kernel_helperILb0EZZZNS0_12_GLOBAL__N_119airy_ai_kernel_cudaERNS_18TensorIteratorBaseEENKUlvE_clEvENKUlvE0_clEvEUlfE_NS0_6memory8policies11unroll_baseILi256ESt5arrayIPcLm2EE23TrivialOffsetCalculatorILi1EjESF_NS8_15LoadWithoutCastENS8_16StoreWithoutCastELi4ELi1EEEEEvT0_T1_.num_vgpr)
	.set _ZN2at6native29vectorized_elementwise_kernelILi2EZZZNS0_12_GLOBAL__N_119airy_ai_kernel_cudaERNS_18TensorIteratorBaseEENKUlvE_clEvENKUlvE0_clEvEUlfE_St5arrayIPcLm2EEEEviT0_T1_.num_agpr, max(0, .L_ZN2at6native25elementwise_kernel_helperILb0EZZZNS0_12_GLOBAL__N_119airy_ai_kernel_cudaERNS_18TensorIteratorBaseEENKUlvE_clEvENKUlvE0_clEvEUlfE_NS0_6memory8policies11unroll_baseILi256ESt5arrayIPcLm2EE23TrivialOffsetCalculatorILi1EjESF_NS8_15LoadWithoutCastENS8_16StoreWithoutCastELi4ELi1EEEEEvT0_T1_.num_agpr)
	.set _ZN2at6native29vectorized_elementwise_kernelILi2EZZZNS0_12_GLOBAL__N_119airy_ai_kernel_cudaERNS_18TensorIteratorBaseEENKUlvE_clEvENKUlvE0_clEvEUlfE_St5arrayIPcLm2EEEEviT0_T1_.numbered_sgpr, max(33, .L_ZN2at6native25elementwise_kernel_helperILb0EZZZNS0_12_GLOBAL__N_119airy_ai_kernel_cudaERNS_18TensorIteratorBaseEENKUlvE_clEvENKUlvE0_clEvEUlfE_NS0_6memory8policies11unroll_baseILi256ESt5arrayIPcLm2EE23TrivialOffsetCalculatorILi1EjESF_NS8_15LoadWithoutCastENS8_16StoreWithoutCastELi4ELi1EEEEEvT0_T1_.numbered_sgpr)
	.set _ZN2at6native29vectorized_elementwise_kernelILi2EZZZNS0_12_GLOBAL__N_119airy_ai_kernel_cudaERNS_18TensorIteratorBaseEENKUlvE_clEvENKUlvE0_clEvEUlfE_St5arrayIPcLm2EEEEviT0_T1_.num_named_barrier, max(0, .L_ZN2at6native25elementwise_kernel_helperILb0EZZZNS0_12_GLOBAL__N_119airy_ai_kernel_cudaERNS_18TensorIteratorBaseEENKUlvE_clEvENKUlvE0_clEvEUlfE_NS0_6memory8policies11unroll_baseILi256ESt5arrayIPcLm2EE23TrivialOffsetCalculatorILi1EjESF_NS8_15LoadWithoutCastENS8_16StoreWithoutCastELi4ELi1EEEEEvT0_T1_.num_named_barrier)
	.set _ZN2at6native29vectorized_elementwise_kernelILi2EZZZNS0_12_GLOBAL__N_119airy_ai_kernel_cudaERNS_18TensorIteratorBaseEENKUlvE_clEvENKUlvE0_clEvEUlfE_St5arrayIPcLm2EEEEviT0_T1_.private_seg_size, 0+max(.L_ZN2at6native25elementwise_kernel_helperILb0EZZZNS0_12_GLOBAL__N_119airy_ai_kernel_cudaERNS_18TensorIteratorBaseEENKUlvE_clEvENKUlvE0_clEvEUlfE_NS0_6memory8policies11unroll_baseILi256ESt5arrayIPcLm2EE23TrivialOffsetCalculatorILi1EjESF_NS8_15LoadWithoutCastENS8_16StoreWithoutCastELi4ELi1EEEEEvT0_T1_.private_seg_size)
	.set _ZN2at6native29vectorized_elementwise_kernelILi2EZZZNS0_12_GLOBAL__N_119airy_ai_kernel_cudaERNS_18TensorIteratorBaseEENKUlvE_clEvENKUlvE0_clEvEUlfE_St5arrayIPcLm2EEEEviT0_T1_.uses_vcc, or(1, .L_ZN2at6native25elementwise_kernel_helperILb0EZZZNS0_12_GLOBAL__N_119airy_ai_kernel_cudaERNS_18TensorIteratorBaseEENKUlvE_clEvENKUlvE0_clEvEUlfE_NS0_6memory8policies11unroll_baseILi256ESt5arrayIPcLm2EE23TrivialOffsetCalculatorILi1EjESF_NS8_15LoadWithoutCastENS8_16StoreWithoutCastELi4ELi1EEEEEvT0_T1_.uses_vcc)
	.set _ZN2at6native29vectorized_elementwise_kernelILi2EZZZNS0_12_GLOBAL__N_119airy_ai_kernel_cudaERNS_18TensorIteratorBaseEENKUlvE_clEvENKUlvE0_clEvEUlfE_St5arrayIPcLm2EEEEviT0_T1_.uses_flat_scratch, or(0, .L_ZN2at6native25elementwise_kernel_helperILb0EZZZNS0_12_GLOBAL__N_119airy_ai_kernel_cudaERNS_18TensorIteratorBaseEENKUlvE_clEvENKUlvE0_clEvEUlfE_NS0_6memory8policies11unroll_baseILi256ESt5arrayIPcLm2EE23TrivialOffsetCalculatorILi1EjESF_NS8_15LoadWithoutCastENS8_16StoreWithoutCastELi4ELi1EEEEEvT0_T1_.uses_flat_scratch)
	.set _ZN2at6native29vectorized_elementwise_kernelILi2EZZZNS0_12_GLOBAL__N_119airy_ai_kernel_cudaERNS_18TensorIteratorBaseEENKUlvE_clEvENKUlvE0_clEvEUlfE_St5arrayIPcLm2EEEEviT0_T1_.has_dyn_sized_stack, or(0, .L_ZN2at6native25elementwise_kernel_helperILb0EZZZNS0_12_GLOBAL__N_119airy_ai_kernel_cudaERNS_18TensorIteratorBaseEENKUlvE_clEvENKUlvE0_clEvEUlfE_NS0_6memory8policies11unroll_baseILi256ESt5arrayIPcLm2EE23TrivialOffsetCalculatorILi1EjESF_NS8_15LoadWithoutCastENS8_16StoreWithoutCastELi4ELi1EEEEEvT0_T1_.has_dyn_sized_stack)
	.set _ZN2at6native29vectorized_elementwise_kernelILi2EZZZNS0_12_GLOBAL__N_119airy_ai_kernel_cudaERNS_18TensorIteratorBaseEENKUlvE_clEvENKUlvE0_clEvEUlfE_St5arrayIPcLm2EEEEviT0_T1_.has_recursion, or(0, .L_ZN2at6native25elementwise_kernel_helperILb0EZZZNS0_12_GLOBAL__N_119airy_ai_kernel_cudaERNS_18TensorIteratorBaseEENKUlvE_clEvENKUlvE0_clEvEUlfE_NS0_6memory8policies11unroll_baseILi256ESt5arrayIPcLm2EE23TrivialOffsetCalculatorILi1EjESF_NS8_15LoadWithoutCastENS8_16StoreWithoutCastELi4ELi1EEEEEvT0_T1_.has_recursion)
	.set _ZN2at6native29vectorized_elementwise_kernelILi2EZZZNS0_12_GLOBAL__N_119airy_ai_kernel_cudaERNS_18TensorIteratorBaseEENKUlvE_clEvENKUlvE0_clEvEUlfE_St5arrayIPcLm2EEEEviT0_T1_.has_indirect_call, or(0, .L_ZN2at6native25elementwise_kernel_helperILb0EZZZNS0_12_GLOBAL__N_119airy_ai_kernel_cudaERNS_18TensorIteratorBaseEENKUlvE_clEvENKUlvE0_clEvEUlfE_NS0_6memory8policies11unroll_baseILi256ESt5arrayIPcLm2EE23TrivialOffsetCalculatorILi1EjESF_NS8_15LoadWithoutCastENS8_16StoreWithoutCastELi4ELi1EEEEEvT0_T1_.has_indirect_call)
	.section	.AMDGPU.csdata,"",@progbits
; Kernel info:
; codeLenInByte = 15924
; TotalNumSgprs: 35
; NumVgprs: 38
; ScratchSize: 0
; MemoryBound: 0
; FloatMode: 240
; IeeeMode: 1
; LDSByteSize: 0 bytes/workgroup (compile time only)
; SGPRBlocks: 0
; VGPRBlocks: 4
; NumSGPRsForWavesPerEU: 35
; NumVGPRsForWavesPerEU: 38
; Occupancy: 16
; WaveLimiterHint : 1
; COMPUTE_PGM_RSRC2:SCRATCH_EN: 0
; COMPUTE_PGM_RSRC2:USER_SGPR: 6
; COMPUTE_PGM_RSRC2:TRAP_HANDLER: 0
; COMPUTE_PGM_RSRC2:TGID_X_EN: 1
; COMPUTE_PGM_RSRC2:TGID_Y_EN: 0
; COMPUTE_PGM_RSRC2:TGID_Z_EN: 0
; COMPUTE_PGM_RSRC2:TIDIG_COMP_CNT: 0
	.section	.text._ZN2at6native27unrolled_elementwise_kernelIZZZNS0_12_GLOBAL__N_119airy_ai_kernel_cudaERNS_18TensorIteratorBaseEENKUlvE_clEvENKUlvE0_clEvEUlfE_St5arrayIPcLm2EELi4E23TrivialOffsetCalculatorILi1EjESC_NS0_6memory15LoadWithoutCastENSD_16StoreWithoutCastEEEviT_T0_T2_T3_T4_T5_,"axG",@progbits,_ZN2at6native27unrolled_elementwise_kernelIZZZNS0_12_GLOBAL__N_119airy_ai_kernel_cudaERNS_18TensorIteratorBaseEENKUlvE_clEvENKUlvE0_clEvEUlfE_St5arrayIPcLm2EELi4E23TrivialOffsetCalculatorILi1EjESC_NS0_6memory15LoadWithoutCastENSD_16StoreWithoutCastEEEviT_T0_T2_T3_T4_T5_,comdat
	.globl	_ZN2at6native27unrolled_elementwise_kernelIZZZNS0_12_GLOBAL__N_119airy_ai_kernel_cudaERNS_18TensorIteratorBaseEENKUlvE_clEvENKUlvE0_clEvEUlfE_St5arrayIPcLm2EELi4E23TrivialOffsetCalculatorILi1EjESC_NS0_6memory15LoadWithoutCastENSD_16StoreWithoutCastEEEviT_T0_T2_T3_T4_T5_ ; -- Begin function _ZN2at6native27unrolled_elementwise_kernelIZZZNS0_12_GLOBAL__N_119airy_ai_kernel_cudaERNS_18TensorIteratorBaseEENKUlvE_clEvENKUlvE0_clEvEUlfE_St5arrayIPcLm2EELi4E23TrivialOffsetCalculatorILi1EjESC_NS0_6memory15LoadWithoutCastENSD_16StoreWithoutCastEEEviT_T0_T2_T3_T4_T5_
	.p2align	8
	.type	_ZN2at6native27unrolled_elementwise_kernelIZZZNS0_12_GLOBAL__N_119airy_ai_kernel_cudaERNS_18TensorIteratorBaseEENKUlvE_clEvENKUlvE0_clEvEUlfE_St5arrayIPcLm2EELi4E23TrivialOffsetCalculatorILi1EjESC_NS0_6memory15LoadWithoutCastENSD_16StoreWithoutCastEEEviT_T0_T2_T3_T4_T5_,@function
_ZN2at6native27unrolled_elementwise_kernelIZZZNS0_12_GLOBAL__N_119airy_ai_kernel_cudaERNS_18TensorIteratorBaseEENKUlvE_clEvENKUlvE0_clEvEUlfE_St5arrayIPcLm2EELi4E23TrivialOffsetCalculatorILi1EjESC_NS0_6memory15LoadWithoutCastENSD_16StoreWithoutCastEEEviT_T0_T2_T3_T4_T5_: ; @_ZN2at6native27unrolled_elementwise_kernelIZZZNS0_12_GLOBAL__N_119airy_ai_kernel_cudaERNS_18TensorIteratorBaseEENKUlvE_clEvENKUlvE0_clEvEUlfE_St5arrayIPcLm2EELi4E23TrivialOffsetCalculatorILi1EjESC_NS0_6memory15LoadWithoutCastENSD_16StoreWithoutCastEEEviT_T0_T2_T3_T4_T5_
; %bb.0:
	s_add_u32 s0, s0, s7
	s_clause 0x1
	s_load_dword s7, s[4:5], 0x0
	s_load_dwordx4 s[8:11], s[4:5], 0x8
	s_addc_u32 s1, s1, 0
	s_lshl_b32 s12, s6, 10
	s_getpc_b64 s[4:5]
	s_add_u32 s4, s4, _ZN2at6native25elementwise_kernel_helperILb0EZZZNS0_12_GLOBAL__N_119airy_ai_kernel_cudaERNS_18TensorIteratorBaseEENKUlvE_clEvENKUlvE0_clEvEUlfE_NS0_6memory8policies11unroll_baseILi256ESt5arrayIPcLm2EE23TrivialOffsetCalculatorILi1EjESF_NS8_15LoadWithoutCastENS8_16StoreWithoutCastELi4ELi1EEEEEvT0_T1_@rel32@lo+4
	s_addc_u32 s5, s5, _ZN2at6native25elementwise_kernel_helperILb0EZZZNS0_12_GLOBAL__N_119airy_ai_kernel_cudaERNS_18TensorIteratorBaseEENKUlvE_clEvENKUlvE0_clEvEUlfE_NS0_6memory8policies11unroll_baseILi256ESt5arrayIPcLm2EE23TrivialOffsetCalculatorILi1EjESF_NS8_15LoadWithoutCastENS8_16StoreWithoutCastELi4ELi1EEEEEvT0_T1_@rel32@hi+12
	v_mov_b32_e32 v31, v0
	s_mov_b32 s32, 0
	s_waitcnt lgkmcnt(0)
	s_sub_i32 s7, s7, s12
	v_mov_b32_e32 v0, s8
	v_mov_b32_e32 v1, s9
	;; [unrolled: 1-line block ×5, first 2 shown]
	s_mov_b32 s12, s6
	s_swappc_b64 s[30:31], s[4:5]
	s_endpgm
	.section	.rodata,"a",@progbits
	.p2align	6, 0x0
	.amdhsa_kernel _ZN2at6native27unrolled_elementwise_kernelIZZZNS0_12_GLOBAL__N_119airy_ai_kernel_cudaERNS_18TensorIteratorBaseEENKUlvE_clEvENKUlvE0_clEvEUlfE_St5arrayIPcLm2EELi4E23TrivialOffsetCalculatorILi1EjESC_NS0_6memory15LoadWithoutCastENSD_16StoreWithoutCastEEEviT_T0_T2_T3_T4_T5_
		.amdhsa_group_segment_fixed_size 0
		.amdhsa_private_segment_fixed_size 0
		.amdhsa_kernarg_size 28
		.amdhsa_user_sgpr_count 6
		.amdhsa_user_sgpr_private_segment_buffer 1
		.amdhsa_user_sgpr_dispatch_ptr 0
		.amdhsa_user_sgpr_queue_ptr 0
		.amdhsa_user_sgpr_kernarg_segment_ptr 1
		.amdhsa_user_sgpr_dispatch_id 0
		.amdhsa_user_sgpr_flat_scratch_init 0
		.amdhsa_user_sgpr_private_segment_size 0
		.amdhsa_wavefront_size32 1
		.amdhsa_uses_dynamic_stack 0
		.amdhsa_system_sgpr_private_segment_wavefront_offset 0
		.amdhsa_system_sgpr_workgroup_id_x 1
		.amdhsa_system_sgpr_workgroup_id_y 0
		.amdhsa_system_sgpr_workgroup_id_z 0
		.amdhsa_system_sgpr_workgroup_info 0
		.amdhsa_system_vgpr_workitem_id 0
		.amdhsa_next_free_vgpr 38
		.amdhsa_next_free_sgpr 33
		.amdhsa_reserve_vcc 1
		.amdhsa_reserve_flat_scratch 0
		.amdhsa_float_round_mode_32 0
		.amdhsa_float_round_mode_16_64 0
		.amdhsa_float_denorm_mode_32 3
		.amdhsa_float_denorm_mode_16_64 3
		.amdhsa_dx10_clamp 1
		.amdhsa_ieee_mode 1
		.amdhsa_fp16_overflow 0
		.amdhsa_workgroup_processor_mode 1
		.amdhsa_memory_ordered 1
		.amdhsa_forward_progress 1
		.amdhsa_shared_vgpr_count 0
		.amdhsa_exception_fp_ieee_invalid_op 0
		.amdhsa_exception_fp_denorm_src 0
		.amdhsa_exception_fp_ieee_div_zero 0
		.amdhsa_exception_fp_ieee_overflow 0
		.amdhsa_exception_fp_ieee_underflow 0
		.amdhsa_exception_fp_ieee_inexact 0
		.amdhsa_exception_int_div_zero 0
	.end_amdhsa_kernel
	.section	.text._ZN2at6native27unrolled_elementwise_kernelIZZZNS0_12_GLOBAL__N_119airy_ai_kernel_cudaERNS_18TensorIteratorBaseEENKUlvE_clEvENKUlvE0_clEvEUlfE_St5arrayIPcLm2EELi4E23TrivialOffsetCalculatorILi1EjESC_NS0_6memory15LoadWithoutCastENSD_16StoreWithoutCastEEEviT_T0_T2_T3_T4_T5_,"axG",@progbits,_ZN2at6native27unrolled_elementwise_kernelIZZZNS0_12_GLOBAL__N_119airy_ai_kernel_cudaERNS_18TensorIteratorBaseEENKUlvE_clEvENKUlvE0_clEvEUlfE_St5arrayIPcLm2EELi4E23TrivialOffsetCalculatorILi1EjESC_NS0_6memory15LoadWithoutCastENSD_16StoreWithoutCastEEEviT_T0_T2_T3_T4_T5_,comdat
.Lfunc_end18:
	.size	_ZN2at6native27unrolled_elementwise_kernelIZZZNS0_12_GLOBAL__N_119airy_ai_kernel_cudaERNS_18TensorIteratorBaseEENKUlvE_clEvENKUlvE0_clEvEUlfE_St5arrayIPcLm2EELi4E23TrivialOffsetCalculatorILi1EjESC_NS0_6memory15LoadWithoutCastENSD_16StoreWithoutCastEEEviT_T0_T2_T3_T4_T5_, .Lfunc_end18-_ZN2at6native27unrolled_elementwise_kernelIZZZNS0_12_GLOBAL__N_119airy_ai_kernel_cudaERNS_18TensorIteratorBaseEENKUlvE_clEvENKUlvE0_clEvEUlfE_St5arrayIPcLm2EELi4E23TrivialOffsetCalculatorILi1EjESC_NS0_6memory15LoadWithoutCastENSD_16StoreWithoutCastEEEviT_T0_T2_T3_T4_T5_
                                        ; -- End function
	.set _ZN2at6native27unrolled_elementwise_kernelIZZZNS0_12_GLOBAL__N_119airy_ai_kernel_cudaERNS_18TensorIteratorBaseEENKUlvE_clEvENKUlvE0_clEvEUlfE_St5arrayIPcLm2EELi4E23TrivialOffsetCalculatorILi1EjESC_NS0_6memory15LoadWithoutCastENSD_16StoreWithoutCastEEEviT_T0_T2_T3_T4_T5_.num_vgpr, max(32, .L_ZN2at6native25elementwise_kernel_helperILb0EZZZNS0_12_GLOBAL__N_119airy_ai_kernel_cudaERNS_18TensorIteratorBaseEENKUlvE_clEvENKUlvE0_clEvEUlfE_NS0_6memory8policies11unroll_baseILi256ESt5arrayIPcLm2EE23TrivialOffsetCalculatorILi1EjESF_NS8_15LoadWithoutCastENS8_16StoreWithoutCastELi4ELi1EEEEEvT0_T1_.num_vgpr)
	.set _ZN2at6native27unrolled_elementwise_kernelIZZZNS0_12_GLOBAL__N_119airy_ai_kernel_cudaERNS_18TensorIteratorBaseEENKUlvE_clEvENKUlvE0_clEvEUlfE_St5arrayIPcLm2EELi4E23TrivialOffsetCalculatorILi1EjESC_NS0_6memory15LoadWithoutCastENSD_16StoreWithoutCastEEEviT_T0_T2_T3_T4_T5_.num_agpr, max(0, .L_ZN2at6native25elementwise_kernel_helperILb0EZZZNS0_12_GLOBAL__N_119airy_ai_kernel_cudaERNS_18TensorIteratorBaseEENKUlvE_clEvENKUlvE0_clEvEUlfE_NS0_6memory8policies11unroll_baseILi256ESt5arrayIPcLm2EE23TrivialOffsetCalculatorILi1EjESF_NS8_15LoadWithoutCastENS8_16StoreWithoutCastELi4ELi1EEEEEvT0_T1_.num_agpr)
	.set _ZN2at6native27unrolled_elementwise_kernelIZZZNS0_12_GLOBAL__N_119airy_ai_kernel_cudaERNS_18TensorIteratorBaseEENKUlvE_clEvENKUlvE0_clEvEUlfE_St5arrayIPcLm2EELi4E23TrivialOffsetCalculatorILi1EjESC_NS0_6memory15LoadWithoutCastENSD_16StoreWithoutCastEEEviT_T0_T2_T3_T4_T5_.numbered_sgpr, max(33, .L_ZN2at6native25elementwise_kernel_helperILb0EZZZNS0_12_GLOBAL__N_119airy_ai_kernel_cudaERNS_18TensorIteratorBaseEENKUlvE_clEvENKUlvE0_clEvEUlfE_NS0_6memory8policies11unroll_baseILi256ESt5arrayIPcLm2EE23TrivialOffsetCalculatorILi1EjESF_NS8_15LoadWithoutCastENS8_16StoreWithoutCastELi4ELi1EEEEEvT0_T1_.numbered_sgpr)
	.set _ZN2at6native27unrolled_elementwise_kernelIZZZNS0_12_GLOBAL__N_119airy_ai_kernel_cudaERNS_18TensorIteratorBaseEENKUlvE_clEvENKUlvE0_clEvEUlfE_St5arrayIPcLm2EELi4E23TrivialOffsetCalculatorILi1EjESC_NS0_6memory15LoadWithoutCastENSD_16StoreWithoutCastEEEviT_T0_T2_T3_T4_T5_.num_named_barrier, max(0, .L_ZN2at6native25elementwise_kernel_helperILb0EZZZNS0_12_GLOBAL__N_119airy_ai_kernel_cudaERNS_18TensorIteratorBaseEENKUlvE_clEvENKUlvE0_clEvEUlfE_NS0_6memory8policies11unroll_baseILi256ESt5arrayIPcLm2EE23TrivialOffsetCalculatorILi1EjESF_NS8_15LoadWithoutCastENS8_16StoreWithoutCastELi4ELi1EEEEEvT0_T1_.num_named_barrier)
	.set _ZN2at6native27unrolled_elementwise_kernelIZZZNS0_12_GLOBAL__N_119airy_ai_kernel_cudaERNS_18TensorIteratorBaseEENKUlvE_clEvENKUlvE0_clEvEUlfE_St5arrayIPcLm2EELi4E23TrivialOffsetCalculatorILi1EjESC_NS0_6memory15LoadWithoutCastENSD_16StoreWithoutCastEEEviT_T0_T2_T3_T4_T5_.private_seg_size, 0+max(.L_ZN2at6native25elementwise_kernel_helperILb0EZZZNS0_12_GLOBAL__N_119airy_ai_kernel_cudaERNS_18TensorIteratorBaseEENKUlvE_clEvENKUlvE0_clEvEUlfE_NS0_6memory8policies11unroll_baseILi256ESt5arrayIPcLm2EE23TrivialOffsetCalculatorILi1EjESF_NS8_15LoadWithoutCastENS8_16StoreWithoutCastELi4ELi1EEEEEvT0_T1_.private_seg_size)
	.set _ZN2at6native27unrolled_elementwise_kernelIZZZNS0_12_GLOBAL__N_119airy_ai_kernel_cudaERNS_18TensorIteratorBaseEENKUlvE_clEvENKUlvE0_clEvEUlfE_St5arrayIPcLm2EELi4E23TrivialOffsetCalculatorILi1EjESC_NS0_6memory15LoadWithoutCastENSD_16StoreWithoutCastEEEviT_T0_T2_T3_T4_T5_.uses_vcc, or(1, .L_ZN2at6native25elementwise_kernel_helperILb0EZZZNS0_12_GLOBAL__N_119airy_ai_kernel_cudaERNS_18TensorIteratorBaseEENKUlvE_clEvENKUlvE0_clEvEUlfE_NS0_6memory8policies11unroll_baseILi256ESt5arrayIPcLm2EE23TrivialOffsetCalculatorILi1EjESF_NS8_15LoadWithoutCastENS8_16StoreWithoutCastELi4ELi1EEEEEvT0_T1_.uses_vcc)
	.set _ZN2at6native27unrolled_elementwise_kernelIZZZNS0_12_GLOBAL__N_119airy_ai_kernel_cudaERNS_18TensorIteratorBaseEENKUlvE_clEvENKUlvE0_clEvEUlfE_St5arrayIPcLm2EELi4E23TrivialOffsetCalculatorILi1EjESC_NS0_6memory15LoadWithoutCastENSD_16StoreWithoutCastEEEviT_T0_T2_T3_T4_T5_.uses_flat_scratch, or(0, .L_ZN2at6native25elementwise_kernel_helperILb0EZZZNS0_12_GLOBAL__N_119airy_ai_kernel_cudaERNS_18TensorIteratorBaseEENKUlvE_clEvENKUlvE0_clEvEUlfE_NS0_6memory8policies11unroll_baseILi256ESt5arrayIPcLm2EE23TrivialOffsetCalculatorILi1EjESF_NS8_15LoadWithoutCastENS8_16StoreWithoutCastELi4ELi1EEEEEvT0_T1_.uses_flat_scratch)
	.set _ZN2at6native27unrolled_elementwise_kernelIZZZNS0_12_GLOBAL__N_119airy_ai_kernel_cudaERNS_18TensorIteratorBaseEENKUlvE_clEvENKUlvE0_clEvEUlfE_St5arrayIPcLm2EELi4E23TrivialOffsetCalculatorILi1EjESC_NS0_6memory15LoadWithoutCastENSD_16StoreWithoutCastEEEviT_T0_T2_T3_T4_T5_.has_dyn_sized_stack, or(0, .L_ZN2at6native25elementwise_kernel_helperILb0EZZZNS0_12_GLOBAL__N_119airy_ai_kernel_cudaERNS_18TensorIteratorBaseEENKUlvE_clEvENKUlvE0_clEvEUlfE_NS0_6memory8policies11unroll_baseILi256ESt5arrayIPcLm2EE23TrivialOffsetCalculatorILi1EjESF_NS8_15LoadWithoutCastENS8_16StoreWithoutCastELi4ELi1EEEEEvT0_T1_.has_dyn_sized_stack)
	.set _ZN2at6native27unrolled_elementwise_kernelIZZZNS0_12_GLOBAL__N_119airy_ai_kernel_cudaERNS_18TensorIteratorBaseEENKUlvE_clEvENKUlvE0_clEvEUlfE_St5arrayIPcLm2EELi4E23TrivialOffsetCalculatorILi1EjESC_NS0_6memory15LoadWithoutCastENSD_16StoreWithoutCastEEEviT_T0_T2_T3_T4_T5_.has_recursion, or(0, .L_ZN2at6native25elementwise_kernel_helperILb0EZZZNS0_12_GLOBAL__N_119airy_ai_kernel_cudaERNS_18TensorIteratorBaseEENKUlvE_clEvENKUlvE0_clEvEUlfE_NS0_6memory8policies11unroll_baseILi256ESt5arrayIPcLm2EE23TrivialOffsetCalculatorILi1EjESF_NS8_15LoadWithoutCastENS8_16StoreWithoutCastELi4ELi1EEEEEvT0_T1_.has_recursion)
	.set _ZN2at6native27unrolled_elementwise_kernelIZZZNS0_12_GLOBAL__N_119airy_ai_kernel_cudaERNS_18TensorIteratorBaseEENKUlvE_clEvENKUlvE0_clEvEUlfE_St5arrayIPcLm2EELi4E23TrivialOffsetCalculatorILi1EjESC_NS0_6memory15LoadWithoutCastENSD_16StoreWithoutCastEEEviT_T0_T2_T3_T4_T5_.has_indirect_call, or(0, .L_ZN2at6native25elementwise_kernel_helperILb0EZZZNS0_12_GLOBAL__N_119airy_ai_kernel_cudaERNS_18TensorIteratorBaseEENKUlvE_clEvENKUlvE0_clEvEUlfE_NS0_6memory8policies11unroll_baseILi256ESt5arrayIPcLm2EE23TrivialOffsetCalculatorILi1EjESF_NS8_15LoadWithoutCastENS8_16StoreWithoutCastELi4ELi1EEEEEvT0_T1_.has_indirect_call)
	.section	.AMDGPU.csdata,"",@progbits
; Kernel info:
; codeLenInByte = 100
; TotalNumSgprs: 35
; NumVgprs: 38
; ScratchSize: 0
; MemoryBound: 0
; FloatMode: 240
; IeeeMode: 1
; LDSByteSize: 0 bytes/workgroup (compile time only)
; SGPRBlocks: 0
; VGPRBlocks: 4
; NumSGPRsForWavesPerEU: 35
; NumVGPRsForWavesPerEU: 38
; Occupancy: 16
; WaveLimiterHint : 0
; COMPUTE_PGM_RSRC2:SCRATCH_EN: 0
; COMPUTE_PGM_RSRC2:USER_SGPR: 6
; COMPUTE_PGM_RSRC2:TRAP_HANDLER: 0
; COMPUTE_PGM_RSRC2:TGID_X_EN: 1
; COMPUTE_PGM_RSRC2:TGID_Y_EN: 0
; COMPUTE_PGM_RSRC2:TGID_Z_EN: 0
; COMPUTE_PGM_RSRC2:TIDIG_COMP_CNT: 0
	.section	.text._ZN2at6native32elementwise_kernel_manual_unrollILi128ELi4EZNS0_22gpu_kernel_impl_nocastIZZZNS0_12_GLOBAL__N_119airy_ai_kernel_cudaERNS_18TensorIteratorBaseEENKUlvE_clEvENKUlvE0_clEvEUlfE_EEvS5_RKT_EUlibE_EEviT1_,"axG",@progbits,_ZN2at6native32elementwise_kernel_manual_unrollILi128ELi4EZNS0_22gpu_kernel_impl_nocastIZZZNS0_12_GLOBAL__N_119airy_ai_kernel_cudaERNS_18TensorIteratorBaseEENKUlvE_clEvENKUlvE0_clEvEUlfE_EEvS5_RKT_EUlibE_EEviT1_,comdat
	.globl	_ZN2at6native32elementwise_kernel_manual_unrollILi128ELi4EZNS0_22gpu_kernel_impl_nocastIZZZNS0_12_GLOBAL__N_119airy_ai_kernel_cudaERNS_18TensorIteratorBaseEENKUlvE_clEvENKUlvE0_clEvEUlfE_EEvS5_RKT_EUlibE_EEviT1_ ; -- Begin function _ZN2at6native32elementwise_kernel_manual_unrollILi128ELi4EZNS0_22gpu_kernel_impl_nocastIZZZNS0_12_GLOBAL__N_119airy_ai_kernel_cudaERNS_18TensorIteratorBaseEENKUlvE_clEvENKUlvE0_clEvEUlfE_EEvS5_RKT_EUlibE_EEviT1_
	.p2align	8
	.type	_ZN2at6native32elementwise_kernel_manual_unrollILi128ELi4EZNS0_22gpu_kernel_impl_nocastIZZZNS0_12_GLOBAL__N_119airy_ai_kernel_cudaERNS_18TensorIteratorBaseEENKUlvE_clEvENKUlvE0_clEvEUlfE_EEvS5_RKT_EUlibE_EEviT1_,@function
_ZN2at6native32elementwise_kernel_manual_unrollILi128ELi4EZNS0_22gpu_kernel_impl_nocastIZZZNS0_12_GLOBAL__N_119airy_ai_kernel_cudaERNS_18TensorIteratorBaseEENKUlvE_clEvENKUlvE0_clEvEUlfE_EEvS5_RKT_EUlibE_EEviT1_: ; @_ZN2at6native32elementwise_kernel_manual_unrollILi128ELi4EZNS0_22gpu_kernel_impl_nocastIZZZNS0_12_GLOBAL__N_119airy_ai_kernel_cudaERNS_18TensorIteratorBaseEENKUlvE_clEvENKUlvE0_clEvEUlfE_EEvS5_RKT_EUlibE_EEviT1_
; %bb.0:
	s_clause 0x1
	s_load_dword s22, s[4:5], 0x8
	s_load_dword s27, s[4:5], 0x0
	v_lshl_or_b32 v4, s6, 9, v0
	s_add_u32 s16, s4, 8
	s_addc_u32 s17, s5, 0
	s_mov_b32 s0, exec_lo
	v_or_b32_e32 v13, 0x180, v4
	s_waitcnt lgkmcnt(0)
	s_add_i32 s23, s22, -1
	s_cmp_gt_u32 s23, 1
	s_cselect_b32 s24, -1, 0
	v_cmpx_le_i32_e64 s27, v13
	s_xor_b32 s25, exec_lo, s0
	s_cbranch_execz .LBB19_7
; %bb.1:
	s_clause 0x3
	s_load_dwordx4 s[12:15], s[16:17], 0x4
	s_load_dwordx2 s[18:19], s[16:17], 0x14
	s_load_dwordx4 s[8:11], s[16:17], 0xc4
	s_load_dwordx4 s[4:7], s[16:17], 0x148
	s_cmp_lg_u32 s22, 0
	s_mov_b32 s30, exec_lo
	s_cselect_b32 s29, -1, 0
	s_add_u32 s20, s16, 0xc4
	s_addc_u32 s21, s17, 0
	s_min_u32 s28, s23, 15
	s_cmp_gt_u32 s22, 1
	s_cselect_b32 s26, -1, 0
	v_cmpx_gt_i32_e64 s27, v4
	s_cbranch_execz .LBB19_14
; %bb.2:
	s_andn2_b32 vcc_lo, exec_lo, s24
	s_cbranch_vccnz .LBB19_21
; %bb.3:
	s_andn2_b32 vcc_lo, exec_lo, s29
	s_cbranch_vccnz .LBB19_161
; %bb.4:
	s_add_i32 s33, s28, 1
	s_cmp_eq_u32 s23, 2
	s_cbranch_scc1 .LBB19_163
; %bb.5:
	v_mov_b32_e32 v2, 0
	v_mov_b32_e32 v0, 0
	;; [unrolled: 1-line block ×3, first 2 shown]
	s_and_b32 s31, s33, 28
	s_mov_b32 s34, 0
	s_mov_b64 s[0:1], s[16:17]
	s_mov_b64 s[2:3], s[20:21]
.LBB19_6:                               ; =>This Inner Loop Header: Depth=1
	s_clause 0x1
	s_load_dwordx8 s[36:43], s[0:1], 0x4
	s_load_dwordx4 s[52:55], s[0:1], 0x24
	s_load_dwordx8 s[44:51], s[2:3], 0x0
	s_add_u32 s0, s0, 48
	s_addc_u32 s1, s1, 0
	s_add_i32 s34, s34, 4
	s_add_u32 s2, s2, 32
	s_addc_u32 s3, s3, 0
	s_cmp_lg_u32 s31, s34
	s_waitcnt lgkmcnt(0)
	v_mul_hi_u32 v3, s37, v1
	v_add_nc_u32_e32 v3, v1, v3
	v_lshrrev_b32_e32 v3, s38, v3
	v_mul_hi_u32 v5, s40, v3
	v_mul_lo_u32 v7, v3, s36
	v_add_nc_u32_e32 v5, v3, v5
	v_sub_nc_u32_e32 v1, v1, v7
	v_lshrrev_b32_e32 v5, s41, v5
	v_mul_lo_u32 v7, v1, s44
	v_mul_lo_u32 v9, v1, s45
	v_mul_hi_u32 v6, s43, v5
	v_add_nc_u32_e32 v6, v5, v6
	v_lshrrev_b32_e32 v6, s52, v6
	v_mul_hi_u32 v8, s54, v6
	v_mul_lo_u32 v10, v6, s42
	v_add_nc_u32_e32 v1, v6, v8
	v_mul_lo_u32 v8, v5, s39
	v_sub_nc_u32_e32 v5, v5, v10
	v_lshrrev_b32_e32 v1, s55, v1
	v_mul_lo_u32 v10, v5, s48
	v_mul_lo_u32 v5, v5, s49
	v_sub_nc_u32_e32 v3, v3, v8
	v_mul_lo_u32 v11, v1, s53
	v_mul_lo_u32 v8, v3, s46
	;; [unrolled: 1-line block ×3, first 2 shown]
	v_sub_nc_u32_e32 v6, v6, v11
	v_add3_u32 v0, v7, v0, v8
	v_mul_lo_u32 v11, v6, s50
	v_mul_lo_u32 v6, v6, s51
	v_add3_u32 v2, v9, v2, v3
	v_add3_u32 v0, v10, v0, v11
	;; [unrolled: 1-line block ×3, first 2 shown]
	s_cbranch_scc1 .LBB19_6
	s_branch .LBB19_164
.LBB19_7:
	s_andn2_saveexec_b32 s0, s25
	s_cbranch_execz .LBB19_253
.LBB19_8:
	v_cndmask_b32_e64 v5, 0, 1, s24
	s_andn2_b32 vcc_lo, exec_lo, s24
	s_cbranch_vccnz .LBB19_20
; %bb.9:
	s_cmp_lg_u32 s22, 0
	s_waitcnt lgkmcnt(0)
	s_mov_b32 s4, 0
	s_cbranch_scc0 .LBB19_23
; %bb.10:
	s_min_u32 s6, s23, 15
	s_add_i32 s6, s6, 1
	s_cmp_eq_u32 s23, 2
	s_cbranch_scc1 .LBB19_24
; %bb.11:
	v_mov_b32_e32 v11, 0
	v_mov_b32_e32 v0, 0
	;; [unrolled: 1-line block ×3, first 2 shown]
	s_and_b32 s5, s6, 28
	s_add_u32 s0, s16, 0xc4
	s_addc_u32 s1, s17, 0
	s_mov_b32 s7, 0
	s_mov_b64 s[2:3], s[16:17]
.LBB19_12:                              ; =>This Inner Loop Header: Depth=1
	s_clause 0x1
	s_load_dwordx8 s[8:15], s[2:3], 0x4
	s_load_dwordx4 s[36:39], s[2:3], 0x24
	s_load_dwordx8 s[24:31], s[0:1], 0x0
	s_add_u32 s2, s2, 48
	s_addc_u32 s3, s3, 0
	s_add_i32 s7, s7, 4
	s_add_u32 s0, s0, 32
	s_addc_u32 s1, s1, 0
	s_cmp_lg_u32 s5, s7
	s_waitcnt lgkmcnt(0)
	v_mul_hi_u32 v2, s9, v1
	v_add_nc_u32_e32 v2, v1, v2
	v_lshrrev_b32_e32 v2, s10, v2
	v_mul_hi_u32 v3, s12, v2
	v_mul_lo_u32 v7, v2, s8
	v_add_nc_u32_e32 v3, v2, v3
	v_sub_nc_u32_e32 v1, v1, v7
	v_lshrrev_b32_e32 v3, s13, v3
	v_mul_lo_u32 v7, v1, s24
	v_mul_lo_u32 v9, v1, s25
	v_mul_hi_u32 v6, s15, v3
	v_add_nc_u32_e32 v6, v3, v6
	v_lshrrev_b32_e32 v6, s36, v6
	v_mul_hi_u32 v8, s38, v6
	v_mul_lo_u32 v10, v6, s14
	v_add_nc_u32_e32 v1, v6, v8
	v_mul_lo_u32 v8, v3, s11
	v_sub_nc_u32_e32 v3, v3, v10
	v_lshrrev_b32_e32 v1, s39, v1
	v_mul_lo_u32 v10, v3, s28
	v_mul_lo_u32 v3, v3, s29
	v_sub_nc_u32_e32 v2, v2, v8
	v_mul_lo_u32 v12, v1, s37
	v_mul_lo_u32 v8, v2, s26
	v_mul_lo_u32 v2, v2, s27
	v_sub_nc_u32_e32 v6, v6, v12
	v_add3_u32 v0, v7, v0, v8
	v_mul_lo_u32 v12, v6, s30
	v_mul_lo_u32 v6, v6, s31
	v_add3_u32 v2, v9, v11, v2
	v_add3_u32 v0, v10, v0, v12
	;; [unrolled: 1-line block ×3, first 2 shown]
	s_cbranch_scc1 .LBB19_12
; %bb.13:
	s_and_b32 s6, s6, 3
	s_cmp_eq_u32 s6, 0
	s_cbranch_scc0 .LBB19_25
	s_branch .LBB19_27
.LBB19_14:
	s_or_b32 exec_lo, exec_lo, s30
	s_mov_b32 s30, exec_lo
	v_cmpx_gt_i32_e64 s27, v4
	s_cbranch_execz .LBB19_217
.LBB19_15:
	s_andn2_b32 vcc_lo, exec_lo, s24
	s_cbranch_vccnz .LBB19_22
; %bb.16:
	s_andn2_b32 vcc_lo, exec_lo, s29
	s_cbranch_vccnz .LBB19_162
; %bb.17:
	s_add_i32 s33, s28, 1
	s_cmp_eq_u32 s23, 2
	s_cbranch_scc1 .LBB19_183
; %bb.18:
	v_mov_b32_e32 v2, 0
	v_mov_b32_e32 v0, 0
	;; [unrolled: 1-line block ×3, first 2 shown]
	s_and_b32 s31, s33, 28
	s_mov_b32 s34, 0
	s_mov_b64 s[0:1], s[16:17]
	s_mov_b64 s[2:3], s[20:21]
.LBB19_19:                              ; =>This Inner Loop Header: Depth=1
	s_clause 0x1
	s_load_dwordx8 s[36:43], s[0:1], 0x4
	s_load_dwordx4 s[52:55], s[0:1], 0x24
	s_load_dwordx8 s[44:51], s[2:3], 0x0
	s_add_u32 s0, s0, 48
	s_addc_u32 s1, s1, 0
	s_add_i32 s34, s34, 4
	s_add_u32 s2, s2, 32
	s_addc_u32 s3, s3, 0
	s_cmp_eq_u32 s31, s34
	s_waitcnt lgkmcnt(0)
	v_mul_hi_u32 v3, s37, v1
	v_add_nc_u32_e32 v3, v1, v3
	v_lshrrev_b32_e32 v3, s38, v3
	v_mul_hi_u32 v5, s40, v3
	v_mul_lo_u32 v7, v3, s36
	v_add_nc_u32_e32 v5, v3, v5
	v_sub_nc_u32_e32 v1, v1, v7
	v_lshrrev_b32_e32 v5, s41, v5
	v_mul_lo_u32 v7, v1, s44
	v_mul_lo_u32 v9, v1, s45
	v_mul_hi_u32 v6, s43, v5
	v_add_nc_u32_e32 v6, v5, v6
	v_lshrrev_b32_e32 v6, s52, v6
	v_mul_hi_u32 v8, s54, v6
	v_mul_lo_u32 v10, v6, s42
	v_add_nc_u32_e32 v1, v6, v8
	v_mul_lo_u32 v8, v5, s39
	v_sub_nc_u32_e32 v5, v5, v10
	v_lshrrev_b32_e32 v1, s55, v1
	v_mul_lo_u32 v10, v5, s48
	v_mul_lo_u32 v5, v5, s49
	v_sub_nc_u32_e32 v3, v3, v8
	v_mul_lo_u32 v11, v1, s53
	v_mul_lo_u32 v8, v3, s46
	;; [unrolled: 1-line block ×3, first 2 shown]
	v_sub_nc_u32_e32 v6, v6, v11
	v_add3_u32 v0, v7, v0, v8
	v_mul_lo_u32 v11, v6, s50
	v_mul_lo_u32 v6, v6, s51
	v_add3_u32 v2, v9, v2, v3
	v_add3_u32 v0, v10, v0, v11
	v_add3_u32 v2, v5, v2, v6
	s_cbranch_scc0 .LBB19_19
	s_branch .LBB19_184
.LBB19_20:
	s_waitcnt lgkmcnt(0)
	s_mov_b32 s4, -1
                                        ; implicit-def: $vgpr0
                                        ; implicit-def: $vgpr11
	s_branch .LBB19_27
.LBB19_21:
                                        ; implicit-def: $vgpr0
                                        ; implicit-def: $vgpr2
	s_branch .LBB19_168
.LBB19_22:
                                        ; implicit-def: $vgpr0
                                        ; implicit-def: $vgpr2
	s_branch .LBB19_188
.LBB19_23:
	v_mov_b32_e32 v0, 0
	v_mov_b32_e32 v11, 0
	s_branch .LBB19_27
.LBB19_24:
	v_mov_b32_e32 v0, 0
	v_mov_b32_e32 v11, 0
	;; [unrolled: 1-line block ×3, first 2 shown]
	s_mov_b32 s5, 0
	s_and_b32 s6, s6, 3
	s_cmp_eq_u32 s6, 0
	s_cbranch_scc1 .LBB19_27
.LBB19_25:
	s_lshl_b32 s0, s5, 3
	s_mul_i32 s2, s5, 12
	s_add_u32 s0, s16, s0
	s_addc_u32 s1, s17, 0
	s_add_u32 s0, s0, 0xc4
	s_addc_u32 s1, s1, 0
	;; [unrolled: 2-line block ×3, first 2 shown]
	.p2align	6
.LBB19_26:                              ; =>This Inner Loop Header: Depth=1
	s_clause 0x1
	s_load_dwordx2 s[8:9], s[2:3], 0x4
	s_load_dword s5, s[2:3], 0xc
	s_load_dwordx2 s[10:11], s[0:1], 0x0
	s_add_u32 s2, s2, 12
	s_addc_u32 s3, s3, 0
	s_add_u32 s0, s0, 8
	s_addc_u32 s1, s1, 0
	s_add_i32 s6, s6, -1
	s_cmp_lg_u32 s6, 0
	s_waitcnt lgkmcnt(0)
	v_mul_hi_u32 v2, s9, v1
	v_add_nc_u32_e32 v2, v1, v2
	v_lshrrev_b32_e32 v2, s5, v2
	v_mul_lo_u32 v3, v2, s8
	v_sub_nc_u32_e32 v3, v1, v3
	v_mad_u64_u32 v[0:1], null, v3, s10, v[0:1]
	v_mad_u64_u32 v[11:12], null, v3, s11, v[11:12]
	v_mov_b32_e32 v1, v2
	s_cbranch_scc1 .LBB19_26
.LBB19_27:
	s_andn2_b32 vcc_lo, exec_lo, s4
	s_cbranch_vccnz .LBB19_30
; %bb.28:
	s_clause 0x1
	s_load_dwordx4 s[0:3], s[16:17], 0x4
	s_load_dwordx2 s[4:5], s[16:17], 0xc4
	s_cmp_lt_u32 s22, 2
	s_waitcnt lgkmcnt(0)
	v_mul_hi_u32 v0, s1, v4
	v_add_nc_u32_e32 v0, v4, v0
	v_lshrrev_b32_e32 v1, s2, v0
	v_mul_lo_u32 v0, v1, s0
	v_sub_nc_u32_e32 v2, v4, v0
	v_mul_lo_u32 v0, v2, s4
	v_mul_lo_u32 v11, v2, s5
	s_cbranch_scc1 .LBB19_30
; %bb.29:
	s_clause 0x1
	s_load_dwordx4 s[0:3], s[16:17], 0x10
	s_load_dwordx2 s[4:5], s[16:17], 0xcc
	s_waitcnt lgkmcnt(0)
	v_mul_hi_u32 v2, s1, v1
	v_add_nc_u32_e32 v2, v1, v2
	v_lshrrev_b32_e32 v2, s2, v2
	v_mul_lo_u32 v2, v2, s0
	v_sub_nc_u32_e32 v2, v1, v2
	v_mad_u64_u32 v[0:1], null, v2, s4, v[0:1]
	v_mad_u64_u32 v[11:12], null, v2, s5, v[11:12]
.LBB19_30:
	v_cmp_ne_u32_e32 vcc_lo, 1, v5
	v_add_nc_u32_e32 v3, 0x80, v4
	s_cbranch_vccnz .LBB19_36
; %bb.31:
	s_cmp_lg_u32 s22, 0
	s_mov_b32 s4, 0
	s_cbranch_scc0 .LBB19_37
; %bb.32:
	s_min_u32 s6, s23, 15
	s_add_i32 s6, s6, 1
	s_cmp_eq_u32 s23, 2
	s_cbranch_scc1 .LBB19_38
; %bb.33:
	v_mov_b32_e32 v9, 0
	v_mov_b32_e32 v1, 0
	;; [unrolled: 1-line block ×3, first 2 shown]
	s_and_b32 s5, s6, 28
	s_add_u32 s0, s16, 0xc4
	s_addc_u32 s1, s17, 0
	s_mov_b32 s7, 0
	s_mov_b64 s[2:3], s[16:17]
.LBB19_34:                              ; =>This Inner Loop Header: Depth=1
	s_clause 0x1
	s_load_dwordx8 s[8:15], s[2:3], 0x4
	s_load_dwordx4 s[36:39], s[2:3], 0x24
	s_load_dwordx8 s[24:31], s[0:1], 0x0
	s_add_u32 s2, s2, 48
	s_addc_u32 s3, s3, 0
	s_add_i32 s7, s7, 4
	s_add_u32 s0, s0, 32
	s_addc_u32 s1, s1, 0
	s_cmp_lg_u32 s5, s7
	s_waitcnt lgkmcnt(0)
	v_mul_hi_u32 v6, s9, v2
	v_add_nc_u32_e32 v6, v2, v6
	v_lshrrev_b32_e32 v6, s10, v6
	v_mul_hi_u32 v7, s12, v6
	v_mul_lo_u32 v10, v6, s8
	v_add_nc_u32_e32 v7, v6, v7
	v_sub_nc_u32_e32 v2, v2, v10
	v_lshrrev_b32_e32 v7, s13, v7
	v_mul_lo_u32 v10, v2, s24
	v_mul_lo_u32 v14, v2, s25
	v_mul_hi_u32 v8, s15, v7
	v_add_nc_u32_e32 v8, v7, v8
	v_lshrrev_b32_e32 v8, s36, v8
	v_mul_hi_u32 v12, s38, v8
	v_mul_lo_u32 v15, v8, s14
	v_add_nc_u32_e32 v2, v8, v12
	v_mul_lo_u32 v12, v7, s11
	v_sub_nc_u32_e32 v7, v7, v15
	v_lshrrev_b32_e32 v2, s39, v2
	v_mul_lo_u32 v15, v7, s28
	v_mul_lo_u32 v7, v7, s29
	v_sub_nc_u32_e32 v6, v6, v12
	v_mul_lo_u32 v16, v2, s37
	v_mul_lo_u32 v12, v6, s26
	;; [unrolled: 1-line block ×3, first 2 shown]
	v_sub_nc_u32_e32 v8, v8, v16
	v_add3_u32 v1, v10, v1, v12
	v_mul_lo_u32 v16, v8, s30
	v_mul_lo_u32 v8, v8, s31
	v_add3_u32 v6, v14, v9, v6
	v_add3_u32 v1, v15, v1, v16
	;; [unrolled: 1-line block ×3, first 2 shown]
	s_cbranch_scc1 .LBB19_34
; %bb.35:
	s_and_b32 s6, s6, 3
	s_cmp_eq_u32 s6, 0
	s_cbranch_scc0 .LBB19_39
	s_branch .LBB19_41
.LBB19_36:
	s_mov_b32 s4, -1
                                        ; implicit-def: $vgpr1
                                        ; implicit-def: $vgpr9
	s_branch .LBB19_41
.LBB19_37:
	v_mov_b32_e32 v1, 0
	v_mov_b32_e32 v9, 0
	s_branch .LBB19_41
.LBB19_38:
	v_mov_b32_e32 v1, 0
	v_mov_b32_e32 v9, 0
	v_mov_b32_e32 v2, v3
	s_mov_b32 s5, 0
	s_and_b32 s6, s6, 3
	s_cmp_eq_u32 s6, 0
	s_cbranch_scc1 .LBB19_41
.LBB19_39:
	s_lshl_b32 s0, s5, 3
	s_mul_i32 s2, s5, 12
	s_add_u32 s0, s16, s0
	s_addc_u32 s1, s17, 0
	s_add_u32 s0, s0, 0xc4
	s_addc_u32 s1, s1, 0
	;; [unrolled: 2-line block ×3, first 2 shown]
	.p2align	6
.LBB19_40:                              ; =>This Inner Loop Header: Depth=1
	s_clause 0x1
	s_load_dwordx2 s[8:9], s[2:3], 0x4
	s_load_dword s5, s[2:3], 0xc
	s_load_dwordx2 s[10:11], s[0:1], 0x0
	s_add_u32 s2, s2, 12
	s_addc_u32 s3, s3, 0
	s_add_u32 s0, s0, 8
	s_addc_u32 s1, s1, 0
	s_add_i32 s6, s6, -1
	s_cmp_lg_u32 s6, 0
	s_waitcnt lgkmcnt(0)
	v_mul_hi_u32 v6, s9, v2
	v_add_nc_u32_e32 v6, v2, v6
	v_lshrrev_b32_e32 v6, s5, v6
	v_mul_lo_u32 v7, v6, s8
	v_sub_nc_u32_e32 v7, v2, v7
	v_mad_u64_u32 v[1:2], null, v7, s10, v[1:2]
	v_mad_u64_u32 v[9:10], null, v7, s11, v[9:10]
	v_mov_b32_e32 v2, v6
	s_cbranch_scc1 .LBB19_40
.LBB19_41:
	s_andn2_b32 vcc_lo, exec_lo, s4
	s_cbranch_vccnz .LBB19_44
; %bb.42:
	s_clause 0x1
	s_load_dwordx4 s[0:3], s[16:17], 0x4
	s_load_dwordx2 s[4:5], s[16:17], 0xc4
	s_cmp_lt_u32 s22, 2
	s_waitcnt lgkmcnt(0)
	v_mul_hi_u32 v1, s1, v3
	v_add_nc_u32_e32 v1, v3, v1
	v_lshrrev_b32_e32 v2, s2, v1
	v_mul_lo_u32 v1, v2, s0
	v_sub_nc_u32_e32 v3, v3, v1
	v_mul_lo_u32 v1, v3, s4
	v_mul_lo_u32 v9, v3, s5
	s_cbranch_scc1 .LBB19_44
; %bb.43:
	s_clause 0x1
	s_load_dwordx4 s[0:3], s[16:17], 0x10
	s_load_dwordx2 s[4:5], s[16:17], 0xcc
	s_waitcnt lgkmcnt(0)
	v_mul_hi_u32 v3, s1, v2
	v_add_nc_u32_e32 v3, v2, v3
	v_lshrrev_b32_e32 v3, s2, v3
	v_mul_lo_u32 v3, v3, s0
	v_sub_nc_u32_e32 v3, v2, v3
	v_mad_u64_u32 v[1:2], null, v3, s4, v[1:2]
	v_mad_u64_u32 v[9:10], null, v3, s5, v[9:10]
.LBB19_44:
	v_cmp_ne_u32_e32 vcc_lo, 1, v5
	v_add_nc_u32_e32 v4, 0x100, v4
	s_cbranch_vccnz .LBB19_50
; %bb.45:
	s_cmp_lg_u32 s22, 0
	s_mov_b32 s4, 0
	s_cbranch_scc0 .LBB19_51
; %bb.46:
	s_min_u32 s6, s23, 15
	s_add_i32 s6, s6, 1
	s_cmp_eq_u32 s23, 2
	s_cbranch_scc1 .LBB19_52
; %bb.47:
	v_mov_b32_e32 v7, 0
	v_mov_b32_e32 v2, 0
	;; [unrolled: 1-line block ×3, first 2 shown]
	s_and_b32 s5, s6, 28
	s_add_u32 s0, s16, 0xc4
	s_addc_u32 s1, s17, 0
	s_mov_b32 s7, 0
	s_mov_b64 s[2:3], s[16:17]
.LBB19_48:                              ; =>This Inner Loop Header: Depth=1
	s_clause 0x1
	s_load_dwordx8 s[8:15], s[2:3], 0x4
	s_load_dwordx4 s[36:39], s[2:3], 0x24
	s_load_dwordx8 s[24:31], s[0:1], 0x0
	s_add_u32 s2, s2, 48
	s_addc_u32 s3, s3, 0
	s_add_i32 s7, s7, 4
	s_add_u32 s0, s0, 32
	s_addc_u32 s1, s1, 0
	s_cmp_lg_u32 s5, s7
	s_waitcnt lgkmcnt(0)
	v_mul_hi_u32 v6, s9, v3
	v_add_nc_u32_e32 v6, v3, v6
	v_lshrrev_b32_e32 v6, s10, v6
	v_mul_hi_u32 v8, s12, v6
	v_mul_lo_u32 v12, v6, s8
	v_add_nc_u32_e32 v8, v6, v8
	v_sub_nc_u32_e32 v3, v3, v12
	v_lshrrev_b32_e32 v8, s13, v8
	v_mul_lo_u32 v12, v3, s24
	v_mul_lo_u32 v15, v3, s25
	v_mul_hi_u32 v10, s15, v8
	v_add_nc_u32_e32 v10, v8, v10
	v_lshrrev_b32_e32 v10, s36, v10
	v_mul_hi_u32 v14, s38, v10
	v_mul_lo_u32 v16, v10, s14
	v_add_nc_u32_e32 v3, v10, v14
	v_mul_lo_u32 v14, v8, s11
	v_sub_nc_u32_e32 v8, v8, v16
	v_lshrrev_b32_e32 v3, s39, v3
	v_mul_lo_u32 v16, v8, s28
	v_mul_lo_u32 v8, v8, s29
	v_sub_nc_u32_e32 v6, v6, v14
	v_mul_lo_u32 v17, v3, s37
	v_mul_lo_u32 v14, v6, s26
	;; [unrolled: 1-line block ×3, first 2 shown]
	v_sub_nc_u32_e32 v10, v10, v17
	v_add3_u32 v2, v12, v2, v14
	v_mul_lo_u32 v17, v10, s30
	v_mul_lo_u32 v10, v10, s31
	v_add3_u32 v6, v15, v7, v6
	v_add3_u32 v2, v16, v2, v17
	;; [unrolled: 1-line block ×3, first 2 shown]
	s_cbranch_scc1 .LBB19_48
; %bb.49:
	s_and_b32 s6, s6, 3
	s_cmp_eq_u32 s6, 0
	s_cbranch_scc0 .LBB19_53
	s_branch .LBB19_55
.LBB19_50:
	s_mov_b32 s4, -1
                                        ; implicit-def: $vgpr2
                                        ; implicit-def: $vgpr7
	s_branch .LBB19_55
.LBB19_51:
	v_mov_b32_e32 v2, 0
	v_mov_b32_e32 v7, 0
	s_branch .LBB19_55
.LBB19_52:
	v_mov_b32_e32 v2, 0
	v_mov_b32_e32 v7, 0
	;; [unrolled: 1-line block ×3, first 2 shown]
	s_mov_b32 s5, 0
	s_and_b32 s6, s6, 3
	s_cmp_eq_u32 s6, 0
	s_cbranch_scc1 .LBB19_55
.LBB19_53:
	s_lshl_b32 s0, s5, 3
	s_mul_i32 s2, s5, 12
	s_add_u32 s0, s16, s0
	s_addc_u32 s1, s17, 0
	s_add_u32 s0, s0, 0xc4
	s_addc_u32 s1, s1, 0
	;; [unrolled: 2-line block ×3, first 2 shown]
	.p2align	6
.LBB19_54:                              ; =>This Inner Loop Header: Depth=1
	s_clause 0x1
	s_load_dwordx2 s[8:9], s[2:3], 0x4
	s_load_dword s5, s[2:3], 0xc
	s_load_dwordx2 s[10:11], s[0:1], 0x0
	s_add_u32 s2, s2, 12
	s_addc_u32 s3, s3, 0
	s_add_u32 s0, s0, 8
	s_addc_u32 s1, s1, 0
	s_add_i32 s6, s6, -1
	s_cmp_lg_u32 s6, 0
	s_waitcnt lgkmcnt(0)
	v_mul_hi_u32 v6, s9, v3
	v_add_nc_u32_e32 v6, v3, v6
	v_lshrrev_b32_e32 v6, s5, v6
	v_mul_lo_u32 v8, v6, s8
	v_sub_nc_u32_e32 v8, v3, v8
	v_mad_u64_u32 v[2:3], null, v8, s10, v[2:3]
	v_mad_u64_u32 v[7:8], null, v8, s11, v[7:8]
	v_mov_b32_e32 v3, v6
	s_cbranch_scc1 .LBB19_54
.LBB19_55:
	s_andn2_b32 vcc_lo, exec_lo, s4
	s_cbranch_vccnz .LBB19_58
; %bb.56:
	s_clause 0x1
	s_load_dwordx4 s[0:3], s[16:17], 0x4
	s_load_dwordx2 s[4:5], s[16:17], 0xc4
	s_cmp_lt_u32 s22, 2
	s_waitcnt lgkmcnt(0)
	v_mul_hi_u32 v2, s1, v4
	v_add_nc_u32_e32 v2, v4, v2
	v_lshrrev_b32_e32 v3, s2, v2
	v_mul_lo_u32 v2, v3, s0
	v_sub_nc_u32_e32 v4, v4, v2
	v_mul_lo_u32 v2, v4, s4
	v_mul_lo_u32 v7, v4, s5
	s_cbranch_scc1 .LBB19_58
; %bb.57:
	s_clause 0x1
	s_load_dwordx4 s[0:3], s[16:17], 0x10
	s_load_dwordx2 s[4:5], s[16:17], 0xcc
	s_waitcnt lgkmcnt(0)
	v_mul_hi_u32 v4, s1, v3
	v_add_nc_u32_e32 v4, v3, v4
	v_lshrrev_b32_e32 v4, s2, v4
	v_mul_lo_u32 v4, v4, s0
	v_sub_nc_u32_e32 v4, v3, v4
	v_mad_u64_u32 v[2:3], null, v4, s4, v[2:3]
	v_mad_u64_u32 v[7:8], null, v4, s5, v[7:8]
.LBB19_58:
	v_cmp_ne_u32_e32 vcc_lo, 1, v5
	s_cbranch_vccnz .LBB19_64
; %bb.59:
	s_cmp_lg_u32 s22, 0
	s_mov_b32 s4, 0
	s_cbranch_scc0 .LBB19_65
; %bb.60:
	s_min_u32 s6, s23, 15
	s_add_i32 s6, s6, 1
	s_cmp_eq_u32 s23, 2
	s_cbranch_scc1 .LBB19_66
; %bb.61:
	v_mov_b32_e32 v5, 0
	v_mov_b32_e32 v3, 0
	;; [unrolled: 1-line block ×3, first 2 shown]
	s_and_b32 s5, s6, 28
	s_add_u32 s0, s16, 0xc4
	s_addc_u32 s1, s17, 0
	s_mov_b32 s7, 0
	s_mov_b64 s[2:3], s[16:17]
.LBB19_62:                              ; =>This Inner Loop Header: Depth=1
	s_clause 0x1
	s_load_dwordx8 s[8:15], s[2:3], 0x4
	s_load_dwordx4 s[36:39], s[2:3], 0x24
	s_load_dwordx8 s[24:31], s[0:1], 0x0
	s_add_u32 s2, s2, 48
	s_addc_u32 s3, s3, 0
	s_add_i32 s7, s7, 4
	s_add_u32 s0, s0, 32
	s_addc_u32 s1, s1, 0
	s_cmp_lg_u32 s5, s7
	s_waitcnt lgkmcnt(0)
	v_mul_hi_u32 v6, s9, v4
	v_add_nc_u32_e32 v6, v4, v6
	v_lshrrev_b32_e32 v6, s10, v6
	v_mul_hi_u32 v8, s12, v6
	v_mul_lo_u32 v12, v6, s8
	v_add_nc_u32_e32 v8, v6, v8
	v_sub_nc_u32_e32 v4, v4, v12
	v_lshrrev_b32_e32 v8, s13, v8
	v_mul_lo_u32 v12, v4, s24
	v_mul_lo_u32 v15, v4, s25
	v_mul_hi_u32 v10, s15, v8
	v_add_nc_u32_e32 v10, v8, v10
	v_lshrrev_b32_e32 v10, s36, v10
	v_mul_hi_u32 v14, s38, v10
	v_mul_lo_u32 v16, v10, s14
	v_add_nc_u32_e32 v4, v10, v14
	v_mul_lo_u32 v14, v8, s11
	v_sub_nc_u32_e32 v8, v8, v16
	v_lshrrev_b32_e32 v4, s39, v4
	v_mul_lo_u32 v16, v8, s28
	v_mul_lo_u32 v8, v8, s29
	v_sub_nc_u32_e32 v6, v6, v14
	v_mul_lo_u32 v17, v4, s37
	v_mul_lo_u32 v14, v6, s26
	v_mul_lo_u32 v6, v6, s27
	v_sub_nc_u32_e32 v10, v10, v17
	v_add3_u32 v3, v12, v3, v14
	v_mul_lo_u32 v17, v10, s30
	v_mul_lo_u32 v10, v10, s31
	v_add3_u32 v5, v15, v5, v6
	v_add3_u32 v3, v16, v3, v17
	v_add3_u32 v5, v8, v5, v10
	s_cbranch_scc1 .LBB19_62
; %bb.63:
	s_and_b32 s6, s6, 3
	s_cmp_eq_u32 s6, 0
	s_cbranch_scc0 .LBB19_67
	s_branch .LBB19_69
.LBB19_64:
	s_mov_b32 s4, -1
                                        ; implicit-def: $vgpr3
                                        ; implicit-def: $vgpr5
	s_branch .LBB19_69
.LBB19_65:
	v_mov_b32_e32 v3, 0
	v_mov_b32_e32 v5, 0
	s_branch .LBB19_69
.LBB19_66:
	v_mov_b32_e32 v3, 0
	v_mov_b32_e32 v5, 0
	;; [unrolled: 1-line block ×3, first 2 shown]
	s_mov_b32 s5, 0
	s_and_b32 s6, s6, 3
	s_cmp_eq_u32 s6, 0
	s_cbranch_scc1 .LBB19_69
.LBB19_67:
	s_lshl_b32 s0, s5, 3
	s_mul_i32 s2, s5, 12
	s_add_u32 s0, s16, s0
	s_addc_u32 s1, s17, 0
	s_add_u32 s0, s0, 0xc4
	s_addc_u32 s1, s1, 0
	;; [unrolled: 2-line block ×3, first 2 shown]
	.p2align	6
.LBB19_68:                              ; =>This Inner Loop Header: Depth=1
	s_clause 0x1
	s_load_dwordx2 s[8:9], s[2:3], 0x4
	s_load_dword s5, s[2:3], 0xc
	s_load_dwordx2 s[10:11], s[0:1], 0x0
	s_add_u32 s2, s2, 12
	s_addc_u32 s3, s3, 0
	s_add_u32 s0, s0, 8
	s_addc_u32 s1, s1, 0
	s_add_i32 s6, s6, -1
	s_cmp_lg_u32 s6, 0
	s_waitcnt lgkmcnt(0)
	v_mul_hi_u32 v6, s9, v4
	v_add_nc_u32_e32 v6, v4, v6
	v_lshrrev_b32_e32 v8, s5, v6
	v_mul_lo_u32 v6, v8, s8
	v_sub_nc_u32_e32 v6, v4, v6
	v_mad_u64_u32 v[3:4], null, v6, s10, v[3:4]
	v_mad_u64_u32 v[5:6], null, v6, s11, v[5:6]
	v_mov_b32_e32 v4, v8
	s_cbranch_scc1 .LBB19_68
.LBB19_69:
	s_andn2_b32 vcc_lo, exec_lo, s4
	s_cbranch_vccnz .LBB19_72
; %bb.70:
	s_clause 0x1
	s_load_dwordx4 s[0:3], s[16:17], 0x4
	s_load_dwordx2 s[4:5], s[16:17], 0xc4
	s_cmp_lt_u32 s22, 2
	s_waitcnt lgkmcnt(0)
	v_mul_hi_u32 v3, s1, v13
	v_add_nc_u32_e32 v3, v13, v3
	v_lshrrev_b32_e32 v4, s2, v3
	v_mul_lo_u32 v3, v4, s0
	v_sub_nc_u32_e32 v5, v13, v3
	v_mul_lo_u32 v3, v5, s4
	v_mul_lo_u32 v5, v5, s5
	s_cbranch_scc1 .LBB19_72
; %bb.71:
	s_clause 0x1
	s_load_dwordx4 s[0:3], s[16:17], 0x10
	s_load_dwordx2 s[4:5], s[16:17], 0xcc
	s_waitcnt lgkmcnt(0)
	v_mul_hi_u32 v6, s1, v4
	v_add_nc_u32_e32 v6, v4, v6
	v_lshrrev_b32_e32 v6, s2, v6
	v_mul_lo_u32 v6, v6, s0
	v_sub_nc_u32_e32 v6, v4, v6
	v_mad_u64_u32 v[3:4], null, v6, s4, v[3:4]
	v_mad_u64_u32 v[5:6], null, v6, s5, v[5:6]
.LBB19_72:
	s_load_dwordx4 s[4:7], s[16:17], 0x148
	v_mov_b32_e32 v4, 0x7fc00000
	v_mov_b32_e32 v6, 0x7fc00000
	s_mov_b32 s3, exec_lo
	s_waitcnt lgkmcnt(0)
	global_load_dword v8, v11, s[6:7]
	s_waitcnt vmcnt(0)
	v_cmpx_neq_f32_e64 0x7f800000, |v8|
	s_cbranch_execz .LBB19_94
; %bb.73:
	v_mov_b32_e32 v6, 0
	s_mov_b32 s8, exec_lo
	v_cmpx_nlt_f32_e32 0x42cfc8b4, v8
	s_cbranch_execz .LBB19_93
; %bb.74:
                                        ; implicit-def: $vgpr6
	s_mov_b32 s0, exec_lo
	v_cmpx_ngt_f32_e32 0xc005c28f, v8
	s_xor_b32 s2, exec_lo, s0
	s_cbranch_execz .LBB19_82
; %bb.75:
	v_cmp_nle_f32_e64 s9, 0x4005c28f, v8
	v_mov_b32_e32 v6, 0
	s_mov_b32 s10, exec_lo
	s_mov_b32 s0, s9
	v_cmpx_le_f32_e32 0x4005c28f, v8
	s_cbranch_execz .LBB19_77
; %bb.76:
	v_mul_f32_e32 v6, 0x4f800000, v8
	v_cmp_gt_f32_e32 vcc_lo, 0xf800000, v8
	v_cndmask_b32_e32 v6, v8, v6, vcc_lo
	v_sqrt_f32_e32 v10, v6
	v_add_nc_u32_e32 v11, -1, v10
	v_add_nc_u32_e32 v12, 1, v10
	v_fma_f32 v13, -v11, v10, v6
	v_fma_f32 v14, -v12, v10, v6
	v_cmp_ge_f32_e64 s0, 0, v13
	v_cndmask_b32_e64 v10, v10, v11, s0
	v_cmp_lt_f32_e64 s0, 0, v14
	v_cndmask_b32_e64 v10, v10, v12, s0
	v_mul_f32_e32 v11, 0x37800000, v10
	v_cndmask_b32_e32 v10, v10, v11, vcc_lo
	v_cmp_class_f32_e64 vcc_lo, v6, 0x260
	v_add_f32_e32 v11, v8, v8
	v_cndmask_b32_e32 v6, v10, v6, vcc_lo
	v_mul_f32_e32 v10, v11, v6
	v_div_scale_f32 v11, null, 0x40400000, 0x40400000, v10
	v_div_scale_f32 v14, vcc_lo, v10, 0x40400000, v10
	v_rcp_f32_e32 v12, v11
	v_fma_f32 v13, -v11, v12, 1.0
	v_fmac_f32_e32 v12, v13, v12
	v_mul_f32_e32 v13, v14, v12
	v_fma_f32 v15, -v11, v13, v14
	v_fmac_f32_e32 v13, v15, v12
	v_fma_f32 v11, -v11, v13, v14
	v_div_fmas_f32 v11, v11, v12, v13
	v_div_fixup_f32 v10, v11, 0x40400000, v10
	v_div_scale_f32 v11, null, v10, v10, 1.0
	v_div_scale_f32 v14, vcc_lo, 1.0, v10, 1.0
	v_mul_f32_e32 v18, 0x3fb8aa3b, v10
	v_rcp_f32_e32 v12, v11
	v_fma_f32 v21, 0x3fb8aa3b, v10, -v18
	v_rndne_f32_e32 v22, v18
	v_sub_f32_e32 v18, v18, v22
	v_fma_f32 v13, -v11, v12, 1.0
	v_fmac_f32_e32 v12, v13, v12
	v_mul_f32_e32 v13, v14, v12
	v_fma_f32 v15, -v11, v13, v14
	v_fmac_f32_e32 v13, v15, v12
	v_fma_f32 v11, -v11, v13, v14
	v_mul_f32_e32 v14, 0x4f800000, v6
	v_div_fmas_f32 v11, v11, v12, v13
	v_cmp_gt_f32_e32 vcc_lo, 0xf800000, v6
	v_div_fixup_f32 v11, v11, v10, 1.0
	v_cndmask_b32_e32 v6, v6, v14, vcc_lo
	v_fmaak_f32 v12, 0, v11, 0x3f114de0
	v_fmaak_f32 v13, 0, v11, 0x3eb16d71
	v_sqrt_f32_e32 v14, v6
	v_fmaak_f32 v12, v11, v12, 0x416c19a0
	v_fmaak_f32 v13, v11, v13, 0x41401f1c
	;; [unrolled: 1-line block ×4, first 2 shown]
	v_add_nc_u32_e32 v15, -1, v14
	v_add_nc_u32_e32 v16, 1, v14
	v_fmaak_f32 v12, v11, v12, 0x4331516e
	v_fmaak_f32 v13, v11, v13, 0x432816d7
	v_fma_f32 v19, -v15, v14, v6
	v_fma_f32 v20, -v16, v14, v6
	v_fmaak_f32 v12, v11, v12, 0x43243c15
	v_fmaak_f32 v13, v11, v13, 0x431fc1a3
	v_cmp_ge_f32_e64 s0, 0, v19
	v_fmamk_f32 v19, v10, 0x32a5705f, v21
	v_cmp_lt_f32_e64 s1, 0, v20
	v_fmaak_f32 v12, v11, v12, 0x428ef4a7
	v_fmaak_f32 v13, v11, v13, 0x428d127a
	v_cndmask_b32_e64 v14, v14, v15, s0
	v_cvt_i32_f32_e32 v20, v22
	v_fmaak_f32 v12, v11, v12, 0x416188dd
	v_fmaak_f32 v13, v11, v13, 0x41606c6b
	v_cndmask_b32_e64 v14, v14, v16, s1
	v_fma_f32 v12, v11, v12, 1.0
	v_fma_f32 v11, v11, v13, 1.0
	v_div_scale_f32 v13, null, v12, v12, v11
	v_div_scale_f32 v21, s0, v11, v12, v11
	v_rcp_f32_e32 v17, v13
	v_fma_f32 v15, -v13, v17, 1.0
	v_fmac_f32_e32 v17, v15, v17
	v_add_f32_e32 v15, v18, v19
	v_mul_f32_e32 v18, 0x37800000, v14
	v_mul_f32_e32 v16, v21, v17
	v_exp_f32_e32 v15, v15
	v_cndmask_b32_e32 v14, v14, v18, vcc_lo
	v_cmp_class_f32_e64 vcc_lo, v6, 0x260
	v_fma_f32 v19, -v13, v16, v21
	v_cndmask_b32_e32 v6, v14, v6, vcc_lo
	v_cmp_ngt_f32_e32 vcc_lo, 0xc2ce8ed0, v10
	v_fmac_f32_e32 v16, v19, v17
	v_ldexp_f32 v15, v15, v20
	v_add_f32_e32 v6, v6, v6
	v_fma_f32 v13, -v13, v16, v21
	v_cndmask_b32_e32 v14, 0, v15, vcc_lo
	s_mov_b32 vcc_lo, s0
	s_andn2_b32 s0, s9, exec_lo
	v_div_fmas_f32 v13, v13, v17, v16
	v_cmp_nlt_f32_e32 vcc_lo, 0x42b17218, v10
	v_div_fixup_f32 v11, v13, v12, v11
	v_cndmask_b32_e32 v10, 0x7f800000, v14, vcc_lo
	v_mul_f32_e32 v6, v6, v10
	v_mul_f32_e32 v10, 0x3f106ebb, v11
	v_div_scale_f32 v11, null, v6, v6, v10
	v_div_scale_f32 v14, vcc_lo, v10, v6, v10
	v_rcp_f32_e32 v12, v11
	v_fma_f32 v13, -v11, v12, 1.0
	v_fmac_f32_e32 v12, v13, v12
	v_mul_f32_e32 v13, v14, v12
	v_fma_f32 v15, -v11, v13, v14
	v_fmac_f32_e32 v13, v15, v12
	v_fma_f32 v11, -v11, v13, v14
	v_div_fmas_f32 v11, v11, v12, v13
	v_cmp_nlt_f32_e32 vcc_lo, 0x41052018, v8
	v_div_fixup_f32 v6, v11, v6, v10
	s_and_b32 s1, vcc_lo, exec_lo
	s_or_b32 s0, s0, s1
.LBB19_77:
	s_or_b32 exec_lo, exec_lo, s10
	s_and_saveexec_b32 s1, s0
	s_cbranch_execz .LBB19_81
; %bb.78:
	v_mul_f32_e32 v11, v8, v8
	v_mov_b32_e32 v13, 1.0
	v_mov_b32_e32 v14, 1.0
	v_mov_b32_e32 v10, v8
	s_mov_b32 s10, 0
	v_mul_f32_e32 v12, v8, v11
	v_mov_b32_e32 v11, 1.0
.LBB19_79:                              ; =>This Inner Loop Header: Depth=1
	v_mul_f32_e32 v13, v12, v13
	v_add_f32_e32 v14, 1.0, v14
	v_mul_f32_e32 v8, v12, v8
	v_div_scale_f32 v15, null, v14, v14, v13
	v_div_scale_f32 v18, vcc_lo, v13, v14, v13
	v_add_f32_e32 v17, 1.0, v14
	v_rcp_f32_e32 v16, v15
	v_div_scale_f32 v19, null, v17, v17, v8
	v_fma_f32 v20, -v15, v16, 1.0
	v_fmac_f32_e32 v16, v20, v16
	v_mul_f32_e32 v20, v18, v16
	v_fma_f32 v21, -v15, v20, v18
	v_fmac_f32_e32 v20, v21, v16
	v_fma_f32 v15, -v15, v20, v18
	v_div_fmas_f32 v15, v15, v16, v20
	v_div_scale_f32 v18, vcc_lo, v8, v17, v8
	v_div_fixup_f32 v13, v15, v14, v13
	v_rcp_f32_e32 v15, v19
	v_div_scale_f32 v14, null, v17, v17, v13
	v_div_scale_f32 v21, s0, v13, v17, v13
	v_rcp_f32_e32 v16, v14
	v_fma_f32 v20, -v19, v15, 1.0
	v_fmac_f32_e32 v15, v20, v15
	v_fma_f32 v20, -v14, v16, 1.0
	v_fmac_f32_e32 v16, v20, v16
	v_mul_f32_e32 v20, v18, v15
	v_mul_f32_e32 v22, v21, v16
	v_fma_f32 v23, -v19, v20, v18
	v_fma_f32 v24, -v14, v22, v21
	v_fmac_f32_e32 v20, v23, v15
	v_fmac_f32_e32 v22, v24, v16
	v_fma_f32 v18, -v19, v20, v18
	v_fma_f32 v14, -v14, v22, v21
	v_div_fmas_f32 v15, v18, v15, v20
	s_mov_b32 vcc_lo, s0
	v_div_fmas_f32 v16, v14, v16, v22
	v_add_f32_e32 v14, 1.0, v17
	v_div_fixup_f32 v8, v15, v17, v8
	v_div_fixup_f32 v13, v16, v17, v13
	v_div_scale_f32 v15, null, v14, v14, v8
	v_div_scale_f32 v19, vcc_lo, v8, v14, v8
	v_add_f32_e32 v11, v11, v13
	v_rcp_f32_e32 v17, v15
	v_div_scale_f32 v16, null, v11, v11, v13
	v_rcp_f32_e32 v18, v16
	v_fma_f32 v20, -v15, v17, 1.0
	v_fmac_f32_e32 v17, v20, v17
	v_div_scale_f32 v20, s0, v13, v11, v13
	v_fma_f32 v21, -v16, v18, 1.0
	v_fmac_f32_e32 v18, v21, v18
	v_mul_f32_e32 v21, v19, v17
	v_mul_f32_e32 v22, v20, v18
	v_fma_f32 v23, -v15, v21, v19
	v_fma_f32 v24, -v16, v22, v20
	v_fmac_f32_e32 v21, v23, v17
	v_fmac_f32_e32 v22, v24, v18
	v_fma_f32 v15, -v15, v21, v19
	v_fma_f32 v16, -v16, v22, v20
	v_div_fmas_f32 v15, v15, v17, v21
	s_mov_b32 vcc_lo, s0
	v_div_fmas_f32 v16, v16, v18, v22
	v_div_fixup_f32 v8, v15, v14, v8
	v_div_fixup_f32 v16, v16, v11, v13
	v_add_f32_e32 v10, v10, v8
	v_cmp_nlt_f32_e64 s0, 0x34000000, |v16|
	s_or_b32 s10, s0, s10
	s_andn2_b32 exec_lo, exec_lo, s10
	s_cbranch_execnz .LBB19_79
; %bb.80:
	s_or_b32 exec_lo, exec_lo, s10
	v_mul_f32_e32 v8, 0xbe8483fa, v10
	v_fmamk_f32 v8, v11, 0x3eb5c63d, v8
	v_cndmask_b32_e64 v6, v6, v8, s9
.LBB19_81:
	s_or_b32 exec_lo, exec_lo, s1
                                        ; implicit-def: $vgpr8
.LBB19_82:
	s_andn2_saveexec_b32 s9, s2
	s_cbranch_execz .LBB19_92
; %bb.83:
	v_mul_f32_e32 v6, 0xcf800000, v8
	v_cmp_lt_f32_e32 vcc_lo, 0x8f800000, v8
	v_cndmask_b32_e64 v6, -v8, v6, vcc_lo
	v_sqrt_f32_e32 v10, v6
	v_add_nc_u32_e32 v11, -1, v10
	v_add_nc_u32_e32 v12, 1, v10
	v_fma_f32 v13, -v11, v10, v6
	v_fma_f32 v14, -v12, v10, v6
	v_cmp_ge_f32_e64 s0, 0, v13
	v_cndmask_b32_e64 v10, v10, v11, s0
	v_cmp_lt_f32_e64 s0, 0, v14
	v_cndmask_b32_e64 v10, v10, v12, s0
	v_mul_f32_e32 v11, 0x37800000, v10
	v_cndmask_b32_e32 v10, v10, v11, vcc_lo
	v_cmp_class_f32_e64 vcc_lo, v6, 0x260
	v_mul_f32_e32 v11, -2.0, v8
	v_cndmask_b32_e32 v8, v10, v6, vcc_lo
	v_mul_f32_e32 v6, v11, v8
	v_div_scale_f32 v10, null, 0x40400000, 0x40400000, v6
	v_div_scale_f32 v13, vcc_lo, v6, 0x40400000, v6
	v_rcp_f32_e32 v11, v10
	v_fma_f32 v12, -v10, v11, 1.0
	v_fmac_f32_e32 v11, v12, v11
	v_mul_f32_e32 v12, v13, v11
	v_fma_f32 v14, -v10, v12, v13
	v_fmac_f32_e32 v12, v14, v11
                                        ; implicit-def: $vgpr14
	v_fma_f32 v10, -v10, v12, v13
	v_div_fmas_f32 v10, v10, v11, v12
                                        ; implicit-def: $vgpr11
	v_div_fixup_f32 v10, v10, 0x40400000, v6
	v_add_f32_e32 v6, 0x3f490fdb, v10
	v_and_b32_e32 v12, 0x7fffffff, v6
	v_cmp_ngt_f32_e64 s2, 0x48000000, |v6|
	s_and_saveexec_b32 s0, s2
	s_xor_b32 s10, exec_lo, s0
	s_cbranch_execz .LBB19_85
; %bb.84:
	s_mov_b32 s0, 0x7fffff
	v_mov_b32_e32 v15, 0
	v_and_or_b32 v11, v12, s0, 0x800000
	v_lshrrev_b32_e32 v20, 23, v12
	v_mad_u64_u32 v[13:14], null, 0xfe5163ab, v11, 0
	v_add_nc_u32_e32 v21, 0xffffff88, v20
	v_cmp_lt_u32_e32 vcc_lo, 63, v21
	v_mad_u64_u32 v[16:17], null, 0x3c439041, v11, v[14:15]
	v_cndmask_b32_e64 v22, 0, 0xffffffc0, vcc_lo
	v_mov_b32_e32 v14, v17
	v_add_nc_u32_e32 v22, v22, v21
	v_mad_u64_u32 v[17:18], null, 0xdb629599, v11, v[14:15]
	v_cmp_lt_u32_e64 s0, 31, v22
	v_cndmask_b32_e64 v23, 0, 0xffffffe0, s0
	v_mov_b32_e32 v14, v18
	v_cndmask_b32_e32 v13, v17, v13, vcc_lo
	v_mad_u64_u32 v[18:19], null, 0xf534ddc0, v11, v[14:15]
	v_mov_b32_e32 v14, v19
	v_cndmask_b32_e32 v16, v18, v16, vcc_lo
	v_mad_u64_u32 v[19:20], null, 0xfc2757d1, v11, v[14:15]
	v_cndmask_b32_e64 v13, v16, v13, s0
	v_mov_b32_e32 v14, v20
	v_mad_u64_u32 v[20:21], null, 0x4e441529, v11, v[14:15]
	v_mov_b32_e32 v14, v21
	v_add_nc_u32_e32 v21, v23, v22
	v_cndmask_b32_e32 v22, v20, v18, vcc_lo
	v_mad_u64_u32 v[14:15], null, 0xa2f9836e, v11, v[14:15]
	v_cmp_lt_u32_e64 s1, 31, v21
	v_cndmask_b32_e64 v11, 0, 0xffffffe0, s1
	v_cndmask_b32_e32 v14, v14, v19, vcc_lo
	v_cndmask_b32_e32 v15, v15, v20, vcc_lo
	;; [unrolled: 1-line block ×3, first 2 shown]
	v_add_nc_u32_e32 v11, v11, v21
	v_cndmask_b32_e64 v18, v14, v22, s0
	v_cndmask_b32_e64 v14, v15, v14, s0
	;; [unrolled: 1-line block ×4, first 2 shown]
	v_sub_nc_u32_e32 v20, 32, v11
	v_cmp_eq_u32_e32 vcc_lo, 0, v11
	v_cndmask_b32_e64 v14, v14, v18, s1
	v_cndmask_b32_e64 v18, v18, v15, s1
	;; [unrolled: 1-line block ×4, first 2 shown]
	v_alignbit_b32 v21, v14, v18, v20
	v_alignbit_b32 v17, v18, v15, v20
	;; [unrolled: 1-line block ×3, first 2 shown]
	v_cndmask_b32_e32 v11, v21, v14, vcc_lo
	v_cndmask_b32_e32 v14, v17, v18, vcc_lo
	;; [unrolled: 1-line block ×3, first 2 shown]
	v_bfe_u32 v16, v11, 29, 1
	v_alignbit_b32 v17, v11, v14, 30
	v_alignbit_b32 v14, v14, v15, 30
	;; [unrolled: 1-line block ×3, first 2 shown]
	v_sub_nc_u32_e32 v18, 0, v16
	v_xor_b32_e32 v17, v17, v18
	v_xor_b32_e32 v14, v14, v18
	;; [unrolled: 1-line block ×3, first 2 shown]
	v_lshrrev_b32_e32 v18, 29, v11
	v_ffbh_u32_e32 v19, v17
	v_min_u32_e32 v19, 32, v19
	v_sub_nc_u32_e32 v15, 31, v19
	v_lshlrev_b32_e32 v20, 23, v19
	v_alignbit_b32 v17, v17, v14, v15
	v_alignbit_b32 v13, v14, v13, v15
	v_lshlrev_b32_e32 v14, 31, v18
	v_alignbit_b32 v15, v17, v13, 9
	v_or_b32_e32 v18, 0.5, v14
	v_lshrrev_b32_e32 v17, 9, v17
	v_or_b32_e32 v14, 0x33000000, v14
	v_ffbh_u32_e32 v21, v15
	v_sub_nc_u32_e32 v18, v18, v20
	v_min_u32_e32 v20, 32, v21
	v_or_b32_e32 v17, v17, v18
	v_not_b32_e32 v18, v20
	v_mul_f32_e32 v21, 0x3fc90fda, v17
	v_add_lshl_u32 v19, v20, v19, 23
	v_alignbit_b32 v13, v15, v13, v18
	v_fma_f32 v15, 0x3fc90fda, v17, -v21
	v_sub_nc_u32_e32 v14, v14, v19
	v_lshrrev_b32_e32 v13, 9, v13
	v_fmamk_f32 v15, v17, 0x33a22168, v15
	v_or_b32_e32 v13, v14, v13
	v_fmac_f32_e32 v15, 0x3fc90fda, v13
	v_lshrrev_b32_e32 v13, 30, v11
	v_add_f32_e32 v11, v21, v15
	v_add_nc_u32_e32 v14, v16, v13
	s_andn2_saveexec_b32 s0, s10
	s_branch .LBB19_86
.LBB19_85:
	s_andn2_saveexec_b32 s0, s10
.LBB19_86:
	v_mul_f32_e64 v11, 0x3f22f983, |v6|
	v_rndne_f32_e32 v13, v11
	v_fma_f32 v11, 0xbfc90fda, v13, |v6|
	v_cvt_i32_f32_e32 v14, v13
	v_fmamk_f32 v11, v13, 0xb3a22168, v11
	v_fmamk_f32 v11, v13, 0xa7c234c4, v11
; %bb.87:
	s_or_b32 exec_lo, exec_lo, s0
                                        ; implicit-def: $vgpr15
                                        ; implicit-def: $vgpr13
	s_and_saveexec_b32 s0, s2
	s_xor_b32 s2, exec_lo, s0
	s_cbranch_execz .LBB19_89
; %bb.88:
	s_mov_b32 s0, 0x7fffff
	v_mov_b32_e32 v17, 0
	v_and_or_b32 v13, v12, s0, 0x800000
	v_lshrrev_b32_e32 v22, 23, v12
	v_mad_u64_u32 v[15:16], null, 0xfe5163ab, v13, 0
	v_add_nc_u32_e32 v23, 0xffffff88, v22
	v_cmp_lt_u32_e32 vcc_lo, 63, v23
	v_mad_u64_u32 v[18:19], null, 0x3c439041, v13, v[16:17]
	v_cndmask_b32_e64 v24, 0, 0xffffffc0, vcc_lo
	v_mov_b32_e32 v16, v19
	v_add_nc_u32_e32 v24, v24, v23
	v_mad_u64_u32 v[19:20], null, 0xdb629599, v13, v[16:17]
	v_cmp_lt_u32_e64 s0, 31, v24
	v_cndmask_b32_e64 v25, 0, 0xffffffe0, s0
	v_mov_b32_e32 v16, v20
	v_cndmask_b32_e32 v15, v19, v15, vcc_lo
	v_mad_u64_u32 v[20:21], null, 0xf534ddc0, v13, v[16:17]
	v_mov_b32_e32 v16, v21
	v_cndmask_b32_e32 v18, v20, v18, vcc_lo
	v_mad_u64_u32 v[21:22], null, 0xfc2757d1, v13, v[16:17]
	v_cndmask_b32_e64 v15, v18, v15, s0
	v_mov_b32_e32 v16, v22
	v_mad_u64_u32 v[22:23], null, 0x4e441529, v13, v[16:17]
	v_mov_b32_e32 v16, v23
	v_add_nc_u32_e32 v23, v25, v24
	v_cndmask_b32_e32 v24, v22, v20, vcc_lo
	v_mad_u64_u32 v[16:17], null, 0xa2f9836e, v13, v[16:17]
	v_cmp_lt_u32_e64 s1, 31, v23
	v_cndmask_b32_e64 v13, 0, 0xffffffe0, s1
	v_cndmask_b32_e32 v16, v16, v21, vcc_lo
	v_cndmask_b32_e32 v17, v17, v22, vcc_lo
	;; [unrolled: 1-line block ×3, first 2 shown]
	v_add_nc_u32_e32 v13, v13, v23
	v_cndmask_b32_e64 v20, v16, v24, s0
	v_cndmask_b32_e64 v16, v17, v16, s0
	;; [unrolled: 1-line block ×4, first 2 shown]
	v_sub_nc_u32_e32 v22, 32, v13
	v_cmp_eq_u32_e32 vcc_lo, 0, v13
	v_cndmask_b32_e64 v16, v16, v20, s1
	v_cndmask_b32_e64 v20, v20, v17, s1
	;; [unrolled: 1-line block ×4, first 2 shown]
	v_alignbit_b32 v23, v16, v20, v22
	v_alignbit_b32 v19, v20, v17, v22
	;; [unrolled: 1-line block ×3, first 2 shown]
	v_cndmask_b32_e32 v13, v23, v16, vcc_lo
	v_cndmask_b32_e32 v16, v19, v20, vcc_lo
	v_cndmask_b32_e32 v17, v21, v17, vcc_lo
	v_bfe_u32 v18, v13, 29, 1
	v_alignbit_b32 v19, v13, v16, 30
	v_alignbit_b32 v16, v16, v17, 30
	;; [unrolled: 1-line block ×3, first 2 shown]
	v_sub_nc_u32_e32 v20, 0, v18
	v_xor_b32_e32 v19, v19, v20
	v_xor_b32_e32 v16, v16, v20
	;; [unrolled: 1-line block ×3, first 2 shown]
	v_lshrrev_b32_e32 v20, 29, v13
	v_ffbh_u32_e32 v21, v19
	v_min_u32_e32 v21, 32, v21
	v_sub_nc_u32_e32 v17, 31, v21
	v_lshlrev_b32_e32 v22, 23, v21
	v_alignbit_b32 v19, v19, v16, v17
	v_alignbit_b32 v15, v16, v15, v17
	v_lshlrev_b32_e32 v16, 31, v20
	v_alignbit_b32 v17, v19, v15, 9
	v_or_b32_e32 v20, 0.5, v16
	v_lshrrev_b32_e32 v19, 9, v19
	v_or_b32_e32 v16, 0x33000000, v16
	v_ffbh_u32_e32 v23, v17
	v_sub_nc_u32_e32 v20, v20, v22
	v_min_u32_e32 v22, 32, v23
	v_or_b32_e32 v19, v19, v20
	v_not_b32_e32 v20, v22
	v_mul_f32_e32 v23, 0x3fc90fda, v19
	v_add_lshl_u32 v21, v22, v21, 23
	v_alignbit_b32 v15, v17, v15, v20
	v_fma_f32 v17, 0x3fc90fda, v19, -v23
	v_sub_nc_u32_e32 v16, v16, v21
	v_lshrrev_b32_e32 v15, 9, v15
	v_fmamk_f32 v17, v19, 0x33a22168, v17
	v_or_b32_e32 v15, v16, v15
	v_fmac_f32_e32 v17, 0x3fc90fda, v15
	v_lshrrev_b32_e32 v15, 30, v13
	v_add_f32_e32 v13, v23, v17
	v_add_nc_u32_e32 v15, v18, v15
	s_andn2_saveexec_b32 s0, s2
	s_cbranch_execnz .LBB19_90
	s_branch .LBB19_91
.LBB19_89:
	s_andn2_saveexec_b32 s0, s2
.LBB19_90:
	v_mul_f32_e64 v13, 0x3f22f983, |v6|
	v_rndne_f32_e32 v15, v13
	v_fma_f32 v13, 0xbfc90fda, v15, |v6|
	v_fmamk_f32 v13, v15, 0xb3a22168, v13
	v_fmamk_f32 v13, v15, 0xa7c234c4, v13
	v_cvt_i32_f32_e32 v15, v15
.LBB19_91:
	s_or_b32 exec_lo, exec_lo, s0
	v_div_scale_f32 v16, null, v10, v10, 1.0
	v_div_scale_f32 v19, vcc_lo, 1.0, v10, 1.0
	v_mul_f32_e32 v22, 0x4f800000, v8
	v_rcp_f32_e32 v17, v16
	v_mul_f32_e32 v21, v11, v11
	s_mov_b32 s0, 0xb94c1982
	s_mov_b32 s1, 0x37d75334
	v_and_b32_e32 v23, 1, v15
	v_xor_b32_e32 v12, v12, v6
	v_lshlrev_b32_e32 v15, 30, v15
	v_fma_f32 v18, -v16, v17, 1.0
	v_and_b32_e32 v15, 0x80000000, v15
	v_fmac_f32_e32 v17, v18, v17
	v_mul_f32_e32 v18, v19, v17
	v_fma_f32 v20, -v16, v18, v19
	v_fmac_f32_e32 v18, v20, v17
	v_and_b32_e32 v20, 1, v14
	v_lshlrev_b32_e32 v14, 30, v14
	v_fma_f32 v16, -v16, v18, v19
	v_mul_f32_e32 v19, v13, v13
	v_cmp_eq_u32_e64 s2, 0, v20
	v_and_b32_e32 v14, 0x80000000, v14
	v_div_fmas_f32 v16, v16, v17, v18
	v_cmp_gt_f32_e32 vcc_lo, 0xf800000, v8
	v_fmaak_f32 v17, s0, v21, 0x3c0881c4
	v_fmaak_f32 v18, s1, v21, 0xbab64f3b
	v_div_fixup_f32 v10, v16, v10, 1.0
	v_cndmask_b32_e32 v8, v8, v22, vcc_lo
	v_fmaak_f32 v16, s0, v19, 0x3c0881c4
	v_fmaak_f32 v22, s1, v19, 0xbab64f3b
	;; [unrolled: 1-line block ×3, first 2 shown]
	v_mul_f32_e32 v24, v10, v10
	v_sqrt_f32_e32 v25, v8
	v_fmaak_f32 v18, v21, v18, 0x3d2aabf7
	v_fmaak_f32 v16, v19, v16, 0xbe2aaa9d
	;; [unrolled: 1-line block ×7, first 2 shown]
	v_mul_f32_e32 v17, v21, v17
	v_fmaak_f32 v26, v24, v26, 0x3ec83ea8
	v_fmaak_f32 v27, v24, v27, 0xbf205f75
	;; [unrolled: 1-line block ×4, first 2 shown]
	v_add_nc_u32_e32 v30, -1, v25
	v_fmaak_f32 v26, v24, v26, 0x3f886c1a
	v_fmaak_f32 v27, v24, v27, 0xbf3172ce
	;; [unrolled: 1-line block ×4, first 2 shown]
	v_add_nc_u32_e32 v31, 1, v25
	v_fmaak_f32 v26, v24, v26, 0x3f706d65
	v_fmaak_f32 v27, v24, v27, 0xbe8f3f52
	v_fma_f32 v32, -v30, v25, v8
	v_fmaak_f32 v28, v24, v28, 0x4112fe41
	v_fmaak_f32 v29, v24, v29, 0x40af4271
	;; [unrolled: 1-line block ×4, first 2 shown]
	v_fma_f32 v33, -v31, v25, v8
	v_cmp_ge_f32_e64 s0, 0, v32
	v_fmaak_f32 v28, v24, v28, 0x3fbcd65a
	v_fmaak_f32 v26, v24, v26, 0x3d81d209
	;; [unrolled: 1-line block ×4, first 2 shown]
	v_cndmask_b32_e64 v25, v25, v30, s0
	v_cmp_lt_f32_e64 s0, 0, v33
	v_fmaak_f32 v26, v24, v26, 0x3bbff4d0
	v_fmaak_f32 v28, v24, v28, 0x3deced66
	;; [unrolled: 1-line block ×4, first 2 shown]
	v_cndmask_b32_e64 v25, v25, v31, s0
	v_fmaak_f32 v26, v24, v26, 0x39944bb3
	v_fmaak_f32 v28, v24, v28, 0x3b904657
	;; [unrolled: 1-line block ×4, first 2 shown]
	v_mul_f32_e32 v30, 0x37800000, v25
	v_fmaak_f32 v26, v24, v26, 0x36ea79eb
	v_fmaak_f32 v28, v24, v28, 0x389e46bd
	;; [unrolled: 1-line block ×4, first 2 shown]
	v_cndmask_b32_e32 v25, v25, v30, vcc_lo
	v_fmaak_f32 v26, v24, v26, 0x33ae5496
	v_cmp_class_f32_e64 vcc_lo, v8, 0x260
	v_fmaak_f32 v28, v24, v28, 0x34f295ce
	v_fmaak_f32 v29, v24, v29, 0x359d422f
	v_mul_f32_e32 v27, v24, v27
	v_fmaak_f32 v26, v24, v26, 0x2fbbc524
	v_cndmask_b32_e32 v8, v25, v8, vcc_lo
	v_fmaak_f32 v18, v21, v18, 0xbf000004
	v_fmaak_f32 v24, v24, v29, 0x31a8fe3a
	v_div_scale_f32 v25, null, v28, v28, v27
	v_mul_f32_e32 v10, v10, v26
	v_div_scale_f32 v26, null, v8, v8, 0x3f106ebb
	v_rcp_f32_e32 v29, v25
	v_mul_f32_e32 v16, v19, v16
	v_div_scale_f32 v30, null, v24, v24, v10
	v_rcp_f32_e32 v31, v26
	v_fmaak_f32 v22, v19, v22, 0xbf000004
	v_fmac_f32_e32 v11, v11, v17
	v_fma_f32 v17, v21, v18, 1.0
	v_rcp_f32_e32 v18, v30
	v_fmac_f32_e32 v13, v13, v16
	v_fma_f32 v16, v19, v22, 1.0
	v_fma_f32 v19, -v25, v29, 1.0
	v_div_scale_f32 v32, vcc_lo, v27, v28, v27
	v_fma_f32 v22, -v26, v31, 1.0
	v_div_scale_f32 v21, s0, 0x3f106ebb, v8, 0x3f106ebb
	v_fmac_f32_e32 v29, v19, v29
	v_fma_f32 v19, -v30, v18, 1.0
	v_fmac_f32_e32 v31, v22, v31
	v_div_scale_f32 v22, s1, v10, v24, v10
	v_mul_f32_e32 v33, v32, v29
	v_fmac_f32_e32 v18, v19, v18
	v_mul_f32_e32 v19, v21, v31
	v_cndmask_b32_e64 v11, v17, v11, s2
	v_cmp_eq_u32_e64 s2, 0, v23
	v_fma_f32 v17, -v25, v33, v32
	v_mul_f32_e32 v20, v22, v18
	v_fma_f32 v34, -v26, v19, v21
	v_xor3_b32 v11, v12, v14, v11
	v_cndmask_b32_e64 v13, -v13, v16, s2
	v_fmac_f32_e32 v33, v17, v29
	v_fma_f32 v16, -v30, v20, v22
	v_fmac_f32_e32 v19, v34, v31
	v_cmp_class_f32_e64 s2, v6, 0x1f8
	v_xor_b32_e32 v13, v15, v13
	v_fma_f32 v6, -v25, v33, v32
	v_fmac_f32_e32 v20, v16, v18
	v_fma_f32 v12, -v26, v19, v21
	v_cndmask_b32_e64 v11, 0x7fc00000, v11, s2
	v_cndmask_b32_e64 v13, 0x7fc00000, v13, s2
	v_div_fmas_f32 v6, v6, v29, v33
	v_fma_f32 v14, -v30, v20, v22
	s_mov_b32 vcc_lo, s0
	v_div_fmas_f32 v12, v12, v31, v19
	s_mov_b32 vcc_lo, s1
	v_div_fixup_f32 v6, v6, v28, v27
	v_div_fmas_f32 v14, v14, v18, v20
	v_div_fixup_f32 v8, v12, v8, 0x3f106ebb
	v_add_f32_e32 v6, 1.0, v6
	v_div_fixup_f32 v10, v14, v24, v10
	v_mul_f32_e32 v10, v10, v13
	v_fma_f32 v6, v6, v11, -v10
	v_mul_f32_e32 v6, v8, v6
.LBB19_92:
	s_or_b32 exec_lo, exec_lo, s9
.LBB19_93:
	s_or_b32 exec_lo, exec_lo, s8
.LBB19_94:
	s_or_b32 exec_lo, exec_lo, s3
	global_load_dword v8, v9, s[6:7]
	s_mov_b32 s3, exec_lo
	s_waitcnt vmcnt(0)
	v_cmpx_neq_f32_e64 0x7f800000, |v8|
	s_cbranch_execz .LBB19_116
; %bb.95:
	v_mov_b32_e32 v4, 0
	s_mov_b32 s8, exec_lo
	v_cmpx_nlt_f32_e32 0x42cfc8b4, v8
	s_cbranch_execz .LBB19_115
; %bb.96:
                                        ; implicit-def: $vgpr4
	s_mov_b32 s0, exec_lo
	v_cmpx_ngt_f32_e32 0xc005c28f, v8
	s_xor_b32 s2, exec_lo, s0
	s_cbranch_execz .LBB19_104
; %bb.97:
	v_cmp_nle_f32_e64 s9, 0x4005c28f, v8
	v_mov_b32_e32 v4, 0
	s_mov_b32 s10, exec_lo
	s_mov_b32 s0, s9
	v_cmpx_le_f32_e32 0x4005c28f, v8
	s_cbranch_execz .LBB19_99
; %bb.98:
	v_mul_f32_e32 v4, 0x4f800000, v8
	v_cmp_gt_f32_e32 vcc_lo, 0xf800000, v8
	v_cndmask_b32_e32 v4, v8, v4, vcc_lo
	v_sqrt_f32_e32 v9, v4
	v_add_nc_u32_e32 v10, -1, v9
	v_add_nc_u32_e32 v11, 1, v9
	v_fma_f32 v12, -v10, v9, v4
	v_fma_f32 v13, -v11, v9, v4
	v_cmp_ge_f32_e64 s0, 0, v12
	v_cndmask_b32_e64 v9, v9, v10, s0
	v_cmp_lt_f32_e64 s0, 0, v13
	v_cndmask_b32_e64 v9, v9, v11, s0
	v_mul_f32_e32 v10, 0x37800000, v9
	v_cndmask_b32_e32 v9, v9, v10, vcc_lo
	v_cmp_class_f32_e64 vcc_lo, v4, 0x260
	v_add_f32_e32 v10, v8, v8
	v_cndmask_b32_e32 v4, v9, v4, vcc_lo
	v_mul_f32_e32 v9, v10, v4
	v_div_scale_f32 v10, null, 0x40400000, 0x40400000, v9
	v_div_scale_f32 v13, vcc_lo, v9, 0x40400000, v9
	v_rcp_f32_e32 v11, v10
	v_fma_f32 v12, -v10, v11, 1.0
	v_fmac_f32_e32 v11, v12, v11
	v_mul_f32_e32 v12, v13, v11
	v_fma_f32 v14, -v10, v12, v13
	v_fmac_f32_e32 v12, v14, v11
	v_fma_f32 v10, -v10, v12, v13
	v_div_fmas_f32 v10, v10, v11, v12
	v_div_fixup_f32 v9, v10, 0x40400000, v9
	v_div_scale_f32 v10, null, v9, v9, 1.0
	v_div_scale_f32 v13, vcc_lo, 1.0, v9, 1.0
	v_mul_f32_e32 v17, 0x3fb8aa3b, v9
	v_rcp_f32_e32 v11, v10
	v_fma_f32 v20, 0x3fb8aa3b, v9, -v17
	v_rndne_f32_e32 v21, v17
	v_sub_f32_e32 v17, v17, v21
	v_fma_f32 v12, -v10, v11, 1.0
	v_fmac_f32_e32 v11, v12, v11
	v_mul_f32_e32 v12, v13, v11
	v_fma_f32 v14, -v10, v12, v13
	v_fmac_f32_e32 v12, v14, v11
	v_fma_f32 v10, -v10, v12, v13
	v_mul_f32_e32 v13, 0x4f800000, v4
	v_div_fmas_f32 v10, v10, v11, v12
	v_cmp_gt_f32_e32 vcc_lo, 0xf800000, v4
	v_div_fixup_f32 v10, v10, v9, 1.0
	v_cndmask_b32_e32 v4, v4, v13, vcc_lo
	v_fmaak_f32 v11, 0, v10, 0x3f114de0
	v_fmaak_f32 v12, 0, v10, 0x3eb16d71
	v_sqrt_f32_e32 v13, v4
	v_fmaak_f32 v11, v10, v11, 0x416c19a0
	v_fmaak_f32 v12, v10, v12, 0x41401f1c
	;; [unrolled: 1-line block ×4, first 2 shown]
	v_add_nc_u32_e32 v14, -1, v13
	v_add_nc_u32_e32 v15, 1, v13
	v_fmaak_f32 v11, v10, v11, 0x4331516e
	v_fmaak_f32 v12, v10, v12, 0x432816d7
	v_fma_f32 v18, -v14, v13, v4
	v_fma_f32 v19, -v15, v13, v4
	v_fmaak_f32 v11, v10, v11, 0x43243c15
	v_fmaak_f32 v12, v10, v12, 0x431fc1a3
	v_cmp_ge_f32_e64 s0, 0, v18
	v_fmamk_f32 v18, v9, 0x32a5705f, v20
	v_cmp_lt_f32_e64 s1, 0, v19
	v_fmaak_f32 v11, v10, v11, 0x428ef4a7
	v_fmaak_f32 v12, v10, v12, 0x428d127a
	v_cndmask_b32_e64 v13, v13, v14, s0
	v_cvt_i32_f32_e32 v19, v21
	v_fmaak_f32 v11, v10, v11, 0x416188dd
	v_fmaak_f32 v12, v10, v12, 0x41606c6b
	v_cndmask_b32_e64 v13, v13, v15, s1
	v_fma_f32 v11, v10, v11, 1.0
	v_fma_f32 v10, v10, v12, 1.0
	v_div_scale_f32 v12, null, v11, v11, v10
	v_div_scale_f32 v20, s0, v10, v11, v10
	v_rcp_f32_e32 v16, v12
	v_fma_f32 v14, -v12, v16, 1.0
	v_fmac_f32_e32 v16, v14, v16
	v_add_f32_e32 v14, v17, v18
	v_mul_f32_e32 v17, 0x37800000, v13
	v_mul_f32_e32 v15, v20, v16
	v_exp_f32_e32 v14, v14
	v_cndmask_b32_e32 v13, v13, v17, vcc_lo
	v_cmp_class_f32_e64 vcc_lo, v4, 0x260
	v_fma_f32 v18, -v12, v15, v20
	v_cndmask_b32_e32 v4, v13, v4, vcc_lo
	v_cmp_ngt_f32_e32 vcc_lo, 0xc2ce8ed0, v9
	v_fmac_f32_e32 v15, v18, v16
	v_ldexp_f32 v14, v14, v19
	v_add_f32_e32 v4, v4, v4
	v_fma_f32 v12, -v12, v15, v20
	v_cndmask_b32_e32 v13, 0, v14, vcc_lo
	s_mov_b32 vcc_lo, s0
	s_andn2_b32 s0, s9, exec_lo
	v_div_fmas_f32 v12, v12, v16, v15
	v_cmp_nlt_f32_e32 vcc_lo, 0x42b17218, v9
	v_div_fixup_f32 v10, v12, v11, v10
	v_cndmask_b32_e32 v9, 0x7f800000, v13, vcc_lo
	v_mul_f32_e32 v4, v4, v9
	v_mul_f32_e32 v9, 0x3f106ebb, v10
	v_div_scale_f32 v10, null, v4, v4, v9
	v_div_scale_f32 v13, vcc_lo, v9, v4, v9
	v_rcp_f32_e32 v11, v10
	v_fma_f32 v12, -v10, v11, 1.0
	v_fmac_f32_e32 v11, v12, v11
	v_mul_f32_e32 v12, v13, v11
	v_fma_f32 v14, -v10, v12, v13
	v_fmac_f32_e32 v12, v14, v11
	v_fma_f32 v10, -v10, v12, v13
	v_div_fmas_f32 v10, v10, v11, v12
	v_cmp_nlt_f32_e32 vcc_lo, 0x41052018, v8
	v_div_fixup_f32 v4, v10, v4, v9
	s_and_b32 s1, vcc_lo, exec_lo
	s_or_b32 s0, s0, s1
.LBB19_99:
	s_or_b32 exec_lo, exec_lo, s10
	s_and_saveexec_b32 s1, s0
	s_cbranch_execz .LBB19_103
; %bb.100:
	v_mul_f32_e32 v10, v8, v8
	v_mov_b32_e32 v12, 1.0
	v_mov_b32_e32 v13, 1.0
	v_mov_b32_e32 v9, v8
	s_mov_b32 s10, 0
	v_mul_f32_e32 v11, v8, v10
	v_mov_b32_e32 v10, 1.0
.LBB19_101:                             ; =>This Inner Loop Header: Depth=1
	v_mul_f32_e32 v12, v11, v12
	v_add_f32_e32 v13, 1.0, v13
	v_mul_f32_e32 v8, v11, v8
	v_div_scale_f32 v14, null, v13, v13, v12
	v_div_scale_f32 v17, vcc_lo, v12, v13, v12
	v_add_f32_e32 v16, 1.0, v13
	v_rcp_f32_e32 v15, v14
	v_div_scale_f32 v18, null, v16, v16, v8
	v_fma_f32 v19, -v14, v15, 1.0
	v_fmac_f32_e32 v15, v19, v15
	v_mul_f32_e32 v19, v17, v15
	v_fma_f32 v20, -v14, v19, v17
	v_fmac_f32_e32 v19, v20, v15
	v_fma_f32 v14, -v14, v19, v17
	v_div_fmas_f32 v14, v14, v15, v19
	v_div_scale_f32 v17, vcc_lo, v8, v16, v8
	v_div_fixup_f32 v12, v14, v13, v12
	v_rcp_f32_e32 v14, v18
	v_div_scale_f32 v13, null, v16, v16, v12
	v_div_scale_f32 v20, s0, v12, v16, v12
	v_rcp_f32_e32 v15, v13
	v_fma_f32 v19, -v18, v14, 1.0
	v_fmac_f32_e32 v14, v19, v14
	v_fma_f32 v19, -v13, v15, 1.0
	v_fmac_f32_e32 v15, v19, v15
	v_mul_f32_e32 v19, v17, v14
	v_mul_f32_e32 v21, v20, v15
	v_fma_f32 v22, -v18, v19, v17
	v_fma_f32 v23, -v13, v21, v20
	v_fmac_f32_e32 v19, v22, v14
	v_fmac_f32_e32 v21, v23, v15
	v_fma_f32 v17, -v18, v19, v17
	v_fma_f32 v13, -v13, v21, v20
	v_div_fmas_f32 v14, v17, v14, v19
	s_mov_b32 vcc_lo, s0
	v_div_fmas_f32 v15, v13, v15, v21
	v_add_f32_e32 v13, 1.0, v16
	v_div_fixup_f32 v8, v14, v16, v8
	v_div_fixup_f32 v12, v15, v16, v12
	v_div_scale_f32 v14, null, v13, v13, v8
	v_div_scale_f32 v18, vcc_lo, v8, v13, v8
	v_add_f32_e32 v10, v10, v12
	v_rcp_f32_e32 v16, v14
	v_div_scale_f32 v15, null, v10, v10, v12
	v_rcp_f32_e32 v17, v15
	v_fma_f32 v19, -v14, v16, 1.0
	v_fmac_f32_e32 v16, v19, v16
	v_div_scale_f32 v19, s0, v12, v10, v12
	v_fma_f32 v20, -v15, v17, 1.0
	v_fmac_f32_e32 v17, v20, v17
	v_mul_f32_e32 v20, v18, v16
	v_mul_f32_e32 v21, v19, v17
	v_fma_f32 v22, -v14, v20, v18
	v_fma_f32 v23, -v15, v21, v19
	v_fmac_f32_e32 v20, v22, v16
	v_fmac_f32_e32 v21, v23, v17
	v_fma_f32 v14, -v14, v20, v18
	v_fma_f32 v15, -v15, v21, v19
	v_div_fmas_f32 v14, v14, v16, v20
	s_mov_b32 vcc_lo, s0
	v_div_fmas_f32 v15, v15, v17, v21
	v_div_fixup_f32 v8, v14, v13, v8
	v_div_fixup_f32 v15, v15, v10, v12
	v_add_f32_e32 v9, v9, v8
	v_cmp_nlt_f32_e64 s0, 0x34000000, |v15|
	s_or_b32 s10, s0, s10
	s_andn2_b32 exec_lo, exec_lo, s10
	s_cbranch_execnz .LBB19_101
; %bb.102:
	s_or_b32 exec_lo, exec_lo, s10
	v_mul_f32_e32 v8, 0xbe8483fa, v9
	v_fmamk_f32 v8, v10, 0x3eb5c63d, v8
	v_cndmask_b32_e64 v4, v4, v8, s9
.LBB19_103:
	s_or_b32 exec_lo, exec_lo, s1
                                        ; implicit-def: $vgpr8
.LBB19_104:
	s_andn2_saveexec_b32 s9, s2
	s_cbranch_execz .LBB19_114
; %bb.105:
	v_mul_f32_e32 v4, 0xcf800000, v8
	v_cmp_lt_f32_e32 vcc_lo, 0x8f800000, v8
	v_cndmask_b32_e64 v4, -v8, v4, vcc_lo
	v_sqrt_f32_e32 v9, v4
	v_add_nc_u32_e32 v10, -1, v9
	v_add_nc_u32_e32 v11, 1, v9
	v_fma_f32 v12, -v10, v9, v4
	v_fma_f32 v13, -v11, v9, v4
	v_cmp_ge_f32_e64 s0, 0, v12
	v_cndmask_b32_e64 v9, v9, v10, s0
	v_cmp_lt_f32_e64 s0, 0, v13
	v_cndmask_b32_e64 v9, v9, v11, s0
	v_mul_f32_e32 v10, 0x37800000, v9
	v_cndmask_b32_e32 v9, v9, v10, vcc_lo
	v_cmp_class_f32_e64 vcc_lo, v4, 0x260
	v_mul_f32_e32 v10, -2.0, v8
	v_cndmask_b32_e32 v8, v9, v4, vcc_lo
	v_mul_f32_e32 v4, v10, v8
	v_div_scale_f32 v9, null, 0x40400000, 0x40400000, v4
	v_div_scale_f32 v12, vcc_lo, v4, 0x40400000, v4
	v_rcp_f32_e32 v10, v9
	v_fma_f32 v11, -v9, v10, 1.0
	v_fmac_f32_e32 v10, v11, v10
	v_mul_f32_e32 v11, v12, v10
	v_fma_f32 v13, -v9, v11, v12
	v_fmac_f32_e32 v11, v13, v10
                                        ; implicit-def: $vgpr13
	v_fma_f32 v9, -v9, v11, v12
	v_div_fmas_f32 v9, v9, v10, v11
                                        ; implicit-def: $vgpr10
	v_div_fixup_f32 v9, v9, 0x40400000, v4
	v_add_f32_e32 v4, 0x3f490fdb, v9
	v_and_b32_e32 v11, 0x7fffffff, v4
	v_cmp_ngt_f32_e64 s2, 0x48000000, |v4|
	s_and_saveexec_b32 s0, s2
	s_xor_b32 s10, exec_lo, s0
	s_cbranch_execz .LBB19_107
; %bb.106:
	s_mov_b32 s0, 0x7fffff
	v_mov_b32_e32 v14, 0
	v_and_or_b32 v10, v11, s0, 0x800000
	v_lshrrev_b32_e32 v19, 23, v11
	v_mad_u64_u32 v[12:13], null, 0xfe5163ab, v10, 0
	v_add_nc_u32_e32 v20, 0xffffff88, v19
	v_cmp_lt_u32_e32 vcc_lo, 63, v20
	v_mad_u64_u32 v[15:16], null, 0x3c439041, v10, v[13:14]
	v_cndmask_b32_e64 v21, 0, 0xffffffc0, vcc_lo
	v_mov_b32_e32 v13, v16
	v_add_nc_u32_e32 v21, v21, v20
	v_mad_u64_u32 v[16:17], null, 0xdb629599, v10, v[13:14]
	v_cmp_lt_u32_e64 s0, 31, v21
	v_cndmask_b32_e64 v22, 0, 0xffffffe0, s0
	v_mov_b32_e32 v13, v17
	v_cndmask_b32_e32 v12, v16, v12, vcc_lo
	v_mad_u64_u32 v[17:18], null, 0xf534ddc0, v10, v[13:14]
	v_mov_b32_e32 v13, v18
	v_cndmask_b32_e32 v15, v17, v15, vcc_lo
	v_mad_u64_u32 v[18:19], null, 0xfc2757d1, v10, v[13:14]
	v_cndmask_b32_e64 v12, v15, v12, s0
	v_mov_b32_e32 v13, v19
	v_mad_u64_u32 v[19:20], null, 0x4e441529, v10, v[13:14]
	v_mov_b32_e32 v13, v20
	v_add_nc_u32_e32 v20, v22, v21
	v_cndmask_b32_e32 v21, v19, v17, vcc_lo
	v_mad_u64_u32 v[13:14], null, 0xa2f9836e, v10, v[13:14]
	v_cmp_lt_u32_e64 s1, 31, v20
	v_cndmask_b32_e64 v10, 0, 0xffffffe0, s1
	v_cndmask_b32_e32 v13, v13, v18, vcc_lo
	v_cndmask_b32_e32 v14, v14, v19, vcc_lo
	;; [unrolled: 1-line block ×3, first 2 shown]
	v_add_nc_u32_e32 v10, v10, v20
	v_cndmask_b32_e64 v17, v13, v21, s0
	v_cndmask_b32_e64 v13, v14, v13, s0
	;; [unrolled: 1-line block ×4, first 2 shown]
	v_sub_nc_u32_e32 v19, 32, v10
	v_cmp_eq_u32_e32 vcc_lo, 0, v10
	v_cndmask_b32_e64 v13, v13, v17, s1
	v_cndmask_b32_e64 v17, v17, v14, s1
	;; [unrolled: 1-line block ×4, first 2 shown]
	v_alignbit_b32 v20, v13, v17, v19
	v_alignbit_b32 v16, v17, v14, v19
	v_alignbit_b32 v18, v14, v12, v19
	v_cndmask_b32_e32 v10, v20, v13, vcc_lo
	v_cndmask_b32_e32 v13, v16, v17, vcc_lo
	;; [unrolled: 1-line block ×3, first 2 shown]
	v_bfe_u32 v15, v10, 29, 1
	v_alignbit_b32 v16, v10, v13, 30
	v_alignbit_b32 v13, v13, v14, 30
	;; [unrolled: 1-line block ×3, first 2 shown]
	v_sub_nc_u32_e32 v17, 0, v15
	v_xor_b32_e32 v16, v16, v17
	v_xor_b32_e32 v13, v13, v17
	;; [unrolled: 1-line block ×3, first 2 shown]
	v_lshrrev_b32_e32 v17, 29, v10
	v_ffbh_u32_e32 v18, v16
	v_min_u32_e32 v18, 32, v18
	v_sub_nc_u32_e32 v14, 31, v18
	v_lshlrev_b32_e32 v19, 23, v18
	v_alignbit_b32 v16, v16, v13, v14
	v_alignbit_b32 v12, v13, v12, v14
	v_lshlrev_b32_e32 v13, 31, v17
	v_alignbit_b32 v14, v16, v12, 9
	v_or_b32_e32 v17, 0.5, v13
	v_lshrrev_b32_e32 v16, 9, v16
	v_or_b32_e32 v13, 0x33000000, v13
	v_ffbh_u32_e32 v20, v14
	v_sub_nc_u32_e32 v17, v17, v19
	v_min_u32_e32 v19, 32, v20
	v_or_b32_e32 v16, v16, v17
	v_not_b32_e32 v17, v19
	v_mul_f32_e32 v20, 0x3fc90fda, v16
	v_add_lshl_u32 v18, v19, v18, 23
	v_alignbit_b32 v12, v14, v12, v17
	v_fma_f32 v14, 0x3fc90fda, v16, -v20
	v_sub_nc_u32_e32 v13, v13, v18
	v_lshrrev_b32_e32 v12, 9, v12
	v_fmamk_f32 v14, v16, 0x33a22168, v14
	v_or_b32_e32 v12, v13, v12
	v_fmac_f32_e32 v14, 0x3fc90fda, v12
	v_lshrrev_b32_e32 v12, 30, v10
	v_add_f32_e32 v10, v20, v14
	v_add_nc_u32_e32 v13, v15, v12
	s_andn2_saveexec_b32 s0, s10
	s_branch .LBB19_108
.LBB19_107:
	s_andn2_saveexec_b32 s0, s10
.LBB19_108:
	v_mul_f32_e64 v10, 0x3f22f983, |v4|
	v_rndne_f32_e32 v12, v10
	v_fma_f32 v10, 0xbfc90fda, v12, |v4|
	v_cvt_i32_f32_e32 v13, v12
	v_fmamk_f32 v10, v12, 0xb3a22168, v10
	v_fmamk_f32 v10, v12, 0xa7c234c4, v10
; %bb.109:
	s_or_b32 exec_lo, exec_lo, s0
                                        ; implicit-def: $vgpr14
                                        ; implicit-def: $vgpr12
	s_and_saveexec_b32 s0, s2
	s_xor_b32 s2, exec_lo, s0
	s_cbranch_execz .LBB19_111
; %bb.110:
	s_mov_b32 s0, 0x7fffff
	v_mov_b32_e32 v16, 0
	v_and_or_b32 v12, v11, s0, 0x800000
	v_lshrrev_b32_e32 v21, 23, v11
	v_mad_u64_u32 v[14:15], null, 0xfe5163ab, v12, 0
	v_add_nc_u32_e32 v22, 0xffffff88, v21
	v_cmp_lt_u32_e32 vcc_lo, 63, v22
	v_mad_u64_u32 v[17:18], null, 0x3c439041, v12, v[15:16]
	v_cndmask_b32_e64 v23, 0, 0xffffffc0, vcc_lo
	v_mov_b32_e32 v15, v18
	v_add_nc_u32_e32 v23, v23, v22
	v_mad_u64_u32 v[18:19], null, 0xdb629599, v12, v[15:16]
	v_cmp_lt_u32_e64 s0, 31, v23
	v_cndmask_b32_e64 v24, 0, 0xffffffe0, s0
	v_mov_b32_e32 v15, v19
	v_cndmask_b32_e32 v14, v18, v14, vcc_lo
	v_mad_u64_u32 v[19:20], null, 0xf534ddc0, v12, v[15:16]
	v_mov_b32_e32 v15, v20
	v_cndmask_b32_e32 v17, v19, v17, vcc_lo
	v_mad_u64_u32 v[20:21], null, 0xfc2757d1, v12, v[15:16]
	v_cndmask_b32_e64 v14, v17, v14, s0
	v_mov_b32_e32 v15, v21
	v_mad_u64_u32 v[21:22], null, 0x4e441529, v12, v[15:16]
	v_mov_b32_e32 v15, v22
	v_add_nc_u32_e32 v22, v24, v23
	v_cndmask_b32_e32 v23, v21, v19, vcc_lo
	v_mad_u64_u32 v[15:16], null, 0xa2f9836e, v12, v[15:16]
	v_cmp_lt_u32_e64 s1, 31, v22
	v_cndmask_b32_e64 v12, 0, 0xffffffe0, s1
	v_cndmask_b32_e32 v15, v15, v20, vcc_lo
	v_cndmask_b32_e32 v16, v16, v21, vcc_lo
	;; [unrolled: 1-line block ×3, first 2 shown]
	v_add_nc_u32_e32 v12, v12, v22
	v_cndmask_b32_e64 v19, v15, v23, s0
	v_cndmask_b32_e64 v15, v16, v15, s0
	v_cndmask_b32_e64 v16, v23, v20, s0
	v_cndmask_b32_e64 v20, v20, v17, s0
	v_sub_nc_u32_e32 v21, 32, v12
	v_cmp_eq_u32_e32 vcc_lo, 0, v12
	v_cndmask_b32_e64 v15, v15, v19, s1
	v_cndmask_b32_e64 v19, v19, v16, s1
	;; [unrolled: 1-line block ×4, first 2 shown]
	v_alignbit_b32 v22, v15, v19, v21
	v_alignbit_b32 v18, v19, v16, v21
	;; [unrolled: 1-line block ×3, first 2 shown]
	v_cndmask_b32_e32 v12, v22, v15, vcc_lo
	v_cndmask_b32_e32 v15, v18, v19, vcc_lo
	;; [unrolled: 1-line block ×3, first 2 shown]
	v_bfe_u32 v17, v12, 29, 1
	v_alignbit_b32 v18, v12, v15, 30
	v_alignbit_b32 v15, v15, v16, 30
	;; [unrolled: 1-line block ×3, first 2 shown]
	v_sub_nc_u32_e32 v19, 0, v17
	v_xor_b32_e32 v18, v18, v19
	v_xor_b32_e32 v15, v15, v19
	;; [unrolled: 1-line block ×3, first 2 shown]
	v_lshrrev_b32_e32 v19, 29, v12
	v_ffbh_u32_e32 v20, v18
	v_min_u32_e32 v20, 32, v20
	v_sub_nc_u32_e32 v16, 31, v20
	v_lshlrev_b32_e32 v21, 23, v20
	v_alignbit_b32 v18, v18, v15, v16
	v_alignbit_b32 v14, v15, v14, v16
	v_lshlrev_b32_e32 v15, 31, v19
	v_alignbit_b32 v16, v18, v14, 9
	v_or_b32_e32 v19, 0.5, v15
	v_lshrrev_b32_e32 v18, 9, v18
	v_or_b32_e32 v15, 0x33000000, v15
	v_ffbh_u32_e32 v22, v16
	v_sub_nc_u32_e32 v19, v19, v21
	v_min_u32_e32 v21, 32, v22
	v_or_b32_e32 v18, v18, v19
	v_not_b32_e32 v19, v21
	v_mul_f32_e32 v22, 0x3fc90fda, v18
	v_add_lshl_u32 v20, v21, v20, 23
	v_alignbit_b32 v14, v16, v14, v19
	v_fma_f32 v16, 0x3fc90fda, v18, -v22
	v_sub_nc_u32_e32 v15, v15, v20
	v_lshrrev_b32_e32 v14, 9, v14
	v_fmamk_f32 v16, v18, 0x33a22168, v16
	v_or_b32_e32 v14, v15, v14
	v_fmac_f32_e32 v16, 0x3fc90fda, v14
	v_lshrrev_b32_e32 v14, 30, v12
	v_add_f32_e32 v12, v22, v16
	v_add_nc_u32_e32 v14, v17, v14
	s_andn2_saveexec_b32 s0, s2
	s_cbranch_execnz .LBB19_112
	s_branch .LBB19_113
.LBB19_111:
	s_andn2_saveexec_b32 s0, s2
.LBB19_112:
	v_mul_f32_e64 v12, 0x3f22f983, |v4|
	v_rndne_f32_e32 v14, v12
	v_fma_f32 v12, 0xbfc90fda, v14, |v4|
	v_fmamk_f32 v12, v14, 0xb3a22168, v12
	v_fmamk_f32 v12, v14, 0xa7c234c4, v12
	v_cvt_i32_f32_e32 v14, v14
.LBB19_113:
	s_or_b32 exec_lo, exec_lo, s0
	v_div_scale_f32 v15, null, v9, v9, 1.0
	v_div_scale_f32 v18, vcc_lo, 1.0, v9, 1.0
	v_mul_f32_e32 v21, 0x4f800000, v8
	v_rcp_f32_e32 v16, v15
	v_mul_f32_e32 v20, v10, v10
	s_mov_b32 s0, 0xb94c1982
	s_mov_b32 s1, 0x37d75334
	v_and_b32_e32 v22, 1, v14
	v_xor_b32_e32 v11, v11, v4
	v_lshlrev_b32_e32 v14, 30, v14
	v_fma_f32 v17, -v15, v16, 1.0
	v_and_b32_e32 v14, 0x80000000, v14
	v_fmac_f32_e32 v16, v17, v16
	v_mul_f32_e32 v17, v18, v16
	v_fma_f32 v19, -v15, v17, v18
	v_fmac_f32_e32 v17, v19, v16
	v_and_b32_e32 v19, 1, v13
	v_lshlrev_b32_e32 v13, 30, v13
	v_fma_f32 v15, -v15, v17, v18
	v_mul_f32_e32 v18, v12, v12
	v_cmp_eq_u32_e64 s2, 0, v19
	v_and_b32_e32 v13, 0x80000000, v13
	v_div_fmas_f32 v15, v15, v16, v17
	v_cmp_gt_f32_e32 vcc_lo, 0xf800000, v8
	v_fmaak_f32 v16, s0, v20, 0x3c0881c4
	v_fmaak_f32 v17, s1, v20, 0xbab64f3b
	v_div_fixup_f32 v9, v15, v9, 1.0
	v_cndmask_b32_e32 v8, v8, v21, vcc_lo
	v_fmaak_f32 v15, s0, v18, 0x3c0881c4
	v_fmaak_f32 v21, s1, v18, 0xbab64f3b
	;; [unrolled: 1-line block ×3, first 2 shown]
	v_mul_f32_e32 v23, v9, v9
	v_sqrt_f32_e32 v24, v8
	v_fmaak_f32 v17, v20, v17, 0x3d2aabf7
	v_fmaak_f32 v15, v18, v15, 0xbe2aaa9d
	v_fmaak_f32 v21, v18, v21, 0x3d2aabf7
	v_fmaak_f32 v25, 0, v23, 0x3ca1a92f
	v_fmaak_f32 v26, 0, v23, 0xbe06db67
	v_fmaak_f32 v27, 0, v23, 0x4155b259
	v_fmaak_f32 v28, 0, v23, 0x4114f160
	v_mul_f32_e32 v16, v20, v16
	v_fmaak_f32 v25, v23, v25, 0x3ec83ea8
	v_fmaak_f32 v26, v23, v26, 0xbf205f75
	;; [unrolled: 1-line block ×4, first 2 shown]
	v_add_nc_u32_e32 v29, -1, v24
	v_fmaak_f32 v25, v23, v25, 0x3f886c1a
	v_fmaak_f32 v26, v23, v26, 0xbf3172ce
	v_fmaak_f32 v27, v23, v27, 0x41d5e4c5
	v_fmaak_f32 v28, v23, v28, 0x417908dc
	v_add_nc_u32_e32 v30, 1, v24
	v_fmaak_f32 v25, v23, v25, 0x3f706d65
	v_fmaak_f32 v26, v23, v26, 0xbe8f3f52
	v_fma_f32 v31, -v29, v24, v8
	v_fmaak_f32 v27, v23, v27, 0x4112fe41
	v_fmaak_f32 v28, v23, v28, 0x40af4271
	;; [unrolled: 1-line block ×4, first 2 shown]
	v_fma_f32 v32, -v30, v24, v8
	v_cmp_ge_f32_e64 s0, 0, v31
	v_fmaak_f32 v27, v23, v27, 0x3fbcd65a
	v_fmaak_f32 v25, v23, v25, 0x3d81d209
	;; [unrolled: 1-line block ×4, first 2 shown]
	v_cndmask_b32_e64 v24, v24, v29, s0
	v_cmp_lt_f32_e64 s0, 0, v32
	v_fmaak_f32 v25, v23, v25, 0x3bbff4d0
	v_fmaak_f32 v27, v23, v27, 0x3deced66
	;; [unrolled: 1-line block ×4, first 2 shown]
	v_cndmask_b32_e64 v24, v24, v30, s0
	v_fmaak_f32 v25, v23, v25, 0x39944bb3
	v_fmaak_f32 v27, v23, v27, 0x3b904657
	v_fmaak_f32 v28, v23, v28, 0x3b873823
	v_fmaak_f32 v26, v23, v26, 0xb63a53c1
	v_mul_f32_e32 v29, 0x37800000, v24
	v_fmaak_f32 v25, v23, v25, 0x36ea79eb
	v_fmaak_f32 v27, v23, v27, 0x389e46bd
	;; [unrolled: 1-line block ×4, first 2 shown]
	v_cndmask_b32_e32 v24, v24, v29, vcc_lo
	v_fmaak_f32 v25, v23, v25, 0x33ae5496
	v_cmp_class_f32_e64 vcc_lo, v8, 0x260
	v_fmaak_f32 v27, v23, v27, 0x34f295ce
	v_fmaak_f32 v28, v23, v28, 0x359d422f
	v_mul_f32_e32 v26, v23, v26
	v_fmaak_f32 v25, v23, v25, 0x2fbbc524
	v_cndmask_b32_e32 v8, v24, v8, vcc_lo
	v_fmaak_f32 v17, v20, v17, 0xbf000004
	v_fmaak_f32 v23, v23, v28, 0x31a8fe3a
	v_div_scale_f32 v24, null, v27, v27, v26
	v_mul_f32_e32 v9, v9, v25
	v_div_scale_f32 v25, null, v8, v8, 0x3f106ebb
	v_rcp_f32_e32 v28, v24
	v_mul_f32_e32 v15, v18, v15
	v_div_scale_f32 v29, null, v23, v23, v9
	v_rcp_f32_e32 v30, v25
	v_fmaak_f32 v21, v18, v21, 0xbf000004
	v_fmac_f32_e32 v10, v10, v16
	v_fma_f32 v16, v20, v17, 1.0
	v_rcp_f32_e32 v17, v29
	v_fmac_f32_e32 v12, v12, v15
	v_fma_f32 v15, v18, v21, 1.0
	v_fma_f32 v18, -v24, v28, 1.0
	v_div_scale_f32 v31, vcc_lo, v26, v27, v26
	v_fma_f32 v21, -v25, v30, 1.0
	v_div_scale_f32 v20, s0, 0x3f106ebb, v8, 0x3f106ebb
	v_fmac_f32_e32 v28, v18, v28
	v_fma_f32 v18, -v29, v17, 1.0
	v_fmac_f32_e32 v30, v21, v30
	v_div_scale_f32 v21, s1, v9, v23, v9
	v_mul_f32_e32 v32, v31, v28
	v_fmac_f32_e32 v17, v18, v17
	v_mul_f32_e32 v18, v20, v30
	v_cndmask_b32_e64 v10, v16, v10, s2
	v_cmp_eq_u32_e64 s2, 0, v22
	v_fma_f32 v16, -v24, v32, v31
	v_mul_f32_e32 v19, v21, v17
	v_fma_f32 v33, -v25, v18, v20
	v_xor3_b32 v10, v11, v13, v10
	v_cndmask_b32_e64 v12, -v12, v15, s2
	v_fmac_f32_e32 v32, v16, v28
	v_fma_f32 v15, -v29, v19, v21
	v_fmac_f32_e32 v18, v33, v30
	v_cmp_class_f32_e64 s2, v4, 0x1f8
	v_xor_b32_e32 v12, v14, v12
	v_fma_f32 v4, -v24, v32, v31
	v_fmac_f32_e32 v19, v15, v17
	v_fma_f32 v11, -v25, v18, v20
	v_cndmask_b32_e64 v10, 0x7fc00000, v10, s2
	v_cndmask_b32_e64 v12, 0x7fc00000, v12, s2
	v_div_fmas_f32 v4, v4, v28, v32
	v_fma_f32 v13, -v29, v19, v21
	s_mov_b32 vcc_lo, s0
	v_div_fmas_f32 v11, v11, v30, v18
	s_mov_b32 vcc_lo, s1
	v_div_fixup_f32 v4, v4, v27, v26
	v_div_fmas_f32 v13, v13, v17, v19
	v_div_fixup_f32 v8, v11, v8, 0x3f106ebb
	v_add_f32_e32 v4, 1.0, v4
	v_div_fixup_f32 v9, v13, v23, v9
	v_mul_f32_e32 v9, v9, v12
	v_fma_f32 v4, v4, v10, -v9
	v_mul_f32_e32 v4, v8, v4
.LBB19_114:
	s_or_b32 exec_lo, exec_lo, s9
.LBB19_115:
	s_or_b32 exec_lo, exec_lo, s8
.LBB19_116:
	s_or_b32 exec_lo, exec_lo, s3
	global_load_dword v9, v7, s[6:7]
	v_mov_b32_e32 v7, 0x7fc00000
	v_mov_b32_e32 v8, 0x7fc00000
	s_mov_b32 s3, exec_lo
	s_waitcnt vmcnt(0)
	v_cmpx_neq_f32_e64 0x7f800000, |v9|
	s_cbranch_execz .LBB19_138
; %bb.117:
	v_mov_b32_e32 v8, 0
	s_mov_b32 s8, exec_lo
	v_cmpx_nlt_f32_e32 0x42cfc8b4, v9
	s_cbranch_execz .LBB19_137
; %bb.118:
                                        ; implicit-def: $vgpr8
	s_mov_b32 s0, exec_lo
	v_cmpx_ngt_f32_e32 0xc005c28f, v9
	s_xor_b32 s2, exec_lo, s0
	s_cbranch_execz .LBB19_126
; %bb.119:
	v_cmp_nle_f32_e64 s9, 0x4005c28f, v9
	v_mov_b32_e32 v8, 0
	s_mov_b32 s10, exec_lo
	s_mov_b32 s0, s9
	v_cmpx_le_f32_e32 0x4005c28f, v9
	s_cbranch_execz .LBB19_121
; %bb.120:
	v_mul_f32_e32 v8, 0x4f800000, v9
	v_cmp_gt_f32_e32 vcc_lo, 0xf800000, v9
	v_cndmask_b32_e32 v8, v9, v8, vcc_lo
	v_sqrt_f32_e32 v10, v8
	v_add_nc_u32_e32 v11, -1, v10
	v_add_nc_u32_e32 v12, 1, v10
	v_fma_f32 v13, -v11, v10, v8
	v_fma_f32 v14, -v12, v10, v8
	v_cmp_ge_f32_e64 s0, 0, v13
	v_cndmask_b32_e64 v10, v10, v11, s0
	v_cmp_lt_f32_e64 s0, 0, v14
	v_cndmask_b32_e64 v10, v10, v12, s0
	v_mul_f32_e32 v11, 0x37800000, v10
	v_cndmask_b32_e32 v10, v10, v11, vcc_lo
	v_cmp_class_f32_e64 vcc_lo, v8, 0x260
	v_add_f32_e32 v11, v9, v9
	v_cndmask_b32_e32 v8, v10, v8, vcc_lo
	v_mul_f32_e32 v10, v11, v8
	v_div_scale_f32 v11, null, 0x40400000, 0x40400000, v10
	v_div_scale_f32 v14, vcc_lo, v10, 0x40400000, v10
	v_rcp_f32_e32 v12, v11
	v_fma_f32 v13, -v11, v12, 1.0
	v_fmac_f32_e32 v12, v13, v12
	v_mul_f32_e32 v13, v14, v12
	v_fma_f32 v15, -v11, v13, v14
	v_fmac_f32_e32 v13, v15, v12
	v_fma_f32 v11, -v11, v13, v14
	v_div_fmas_f32 v11, v11, v12, v13
	v_div_fixup_f32 v10, v11, 0x40400000, v10
	v_div_scale_f32 v11, null, v10, v10, 1.0
	v_div_scale_f32 v14, vcc_lo, 1.0, v10, 1.0
	v_mul_f32_e32 v18, 0x3fb8aa3b, v10
	v_rcp_f32_e32 v12, v11
	v_fma_f32 v21, 0x3fb8aa3b, v10, -v18
	v_rndne_f32_e32 v22, v18
	v_sub_f32_e32 v18, v18, v22
	v_fma_f32 v13, -v11, v12, 1.0
	v_fmac_f32_e32 v12, v13, v12
	v_mul_f32_e32 v13, v14, v12
	v_fma_f32 v15, -v11, v13, v14
	v_fmac_f32_e32 v13, v15, v12
	v_fma_f32 v11, -v11, v13, v14
	v_mul_f32_e32 v14, 0x4f800000, v8
	v_div_fmas_f32 v11, v11, v12, v13
	v_cmp_gt_f32_e32 vcc_lo, 0xf800000, v8
	v_div_fixup_f32 v11, v11, v10, 1.0
	v_cndmask_b32_e32 v8, v8, v14, vcc_lo
	v_fmaak_f32 v12, 0, v11, 0x3f114de0
	v_fmaak_f32 v13, 0, v11, 0x3eb16d71
	v_sqrt_f32_e32 v14, v8
	v_fmaak_f32 v12, v11, v12, 0x416c19a0
	v_fmaak_f32 v13, v11, v13, 0x41401f1c
	;; [unrolled: 1-line block ×4, first 2 shown]
	v_add_nc_u32_e32 v15, -1, v14
	v_add_nc_u32_e32 v16, 1, v14
	v_fmaak_f32 v12, v11, v12, 0x4331516e
	v_fmaak_f32 v13, v11, v13, 0x432816d7
	v_fma_f32 v19, -v15, v14, v8
	v_fma_f32 v20, -v16, v14, v8
	v_fmaak_f32 v12, v11, v12, 0x43243c15
	v_fmaak_f32 v13, v11, v13, 0x431fc1a3
	v_cmp_ge_f32_e64 s0, 0, v19
	v_fmamk_f32 v19, v10, 0x32a5705f, v21
	v_cmp_lt_f32_e64 s1, 0, v20
	v_fmaak_f32 v12, v11, v12, 0x428ef4a7
	v_fmaak_f32 v13, v11, v13, 0x428d127a
	v_cndmask_b32_e64 v14, v14, v15, s0
	v_cvt_i32_f32_e32 v20, v22
	v_fmaak_f32 v12, v11, v12, 0x416188dd
	v_fmaak_f32 v13, v11, v13, 0x41606c6b
	v_cndmask_b32_e64 v14, v14, v16, s1
	v_fma_f32 v12, v11, v12, 1.0
	v_fma_f32 v11, v11, v13, 1.0
	v_div_scale_f32 v13, null, v12, v12, v11
	v_div_scale_f32 v21, s0, v11, v12, v11
	v_rcp_f32_e32 v17, v13
	v_fma_f32 v15, -v13, v17, 1.0
	v_fmac_f32_e32 v17, v15, v17
	v_add_f32_e32 v15, v18, v19
	v_mul_f32_e32 v18, 0x37800000, v14
	v_mul_f32_e32 v16, v21, v17
	v_exp_f32_e32 v15, v15
	v_cndmask_b32_e32 v14, v14, v18, vcc_lo
	v_cmp_class_f32_e64 vcc_lo, v8, 0x260
	v_fma_f32 v19, -v13, v16, v21
	v_cndmask_b32_e32 v8, v14, v8, vcc_lo
	v_cmp_ngt_f32_e32 vcc_lo, 0xc2ce8ed0, v10
	v_fmac_f32_e32 v16, v19, v17
	v_ldexp_f32 v15, v15, v20
	v_add_f32_e32 v8, v8, v8
	v_fma_f32 v13, -v13, v16, v21
	v_cndmask_b32_e32 v14, 0, v15, vcc_lo
	s_mov_b32 vcc_lo, s0
	s_andn2_b32 s0, s9, exec_lo
	v_div_fmas_f32 v13, v13, v17, v16
	v_cmp_nlt_f32_e32 vcc_lo, 0x42b17218, v10
	v_div_fixup_f32 v11, v13, v12, v11
	v_cndmask_b32_e32 v10, 0x7f800000, v14, vcc_lo
	v_mul_f32_e32 v8, v8, v10
	v_mul_f32_e32 v10, 0x3f106ebb, v11
	v_div_scale_f32 v11, null, v8, v8, v10
	v_div_scale_f32 v14, vcc_lo, v10, v8, v10
	v_rcp_f32_e32 v12, v11
	v_fma_f32 v13, -v11, v12, 1.0
	v_fmac_f32_e32 v12, v13, v12
	v_mul_f32_e32 v13, v14, v12
	v_fma_f32 v15, -v11, v13, v14
	v_fmac_f32_e32 v13, v15, v12
	v_fma_f32 v11, -v11, v13, v14
	v_div_fmas_f32 v11, v11, v12, v13
	v_cmp_nlt_f32_e32 vcc_lo, 0x41052018, v9
	v_div_fixup_f32 v8, v11, v8, v10
	s_and_b32 s1, vcc_lo, exec_lo
	s_or_b32 s0, s0, s1
.LBB19_121:
	s_or_b32 exec_lo, exec_lo, s10
	s_and_saveexec_b32 s1, s0
	s_cbranch_execz .LBB19_125
; %bb.122:
	v_mul_f32_e32 v11, v9, v9
	v_mov_b32_e32 v13, 1.0
	v_mov_b32_e32 v14, 1.0
	v_mov_b32_e32 v10, v9
	s_mov_b32 s10, 0
	v_mul_f32_e32 v12, v9, v11
	v_mov_b32_e32 v11, 1.0
.LBB19_123:                             ; =>This Inner Loop Header: Depth=1
	v_mul_f32_e32 v13, v12, v13
	v_add_f32_e32 v14, 1.0, v14
	v_mul_f32_e32 v9, v12, v9
	v_div_scale_f32 v15, null, v14, v14, v13
	v_div_scale_f32 v18, vcc_lo, v13, v14, v13
	v_add_f32_e32 v17, 1.0, v14
	v_rcp_f32_e32 v16, v15
	v_div_scale_f32 v19, null, v17, v17, v9
	v_fma_f32 v20, -v15, v16, 1.0
	v_fmac_f32_e32 v16, v20, v16
	v_mul_f32_e32 v20, v18, v16
	v_fma_f32 v21, -v15, v20, v18
	v_fmac_f32_e32 v20, v21, v16
	v_fma_f32 v15, -v15, v20, v18
	v_div_fmas_f32 v15, v15, v16, v20
	v_div_scale_f32 v18, vcc_lo, v9, v17, v9
	v_div_fixup_f32 v13, v15, v14, v13
	v_rcp_f32_e32 v15, v19
	v_div_scale_f32 v14, null, v17, v17, v13
	v_div_scale_f32 v21, s0, v13, v17, v13
	v_rcp_f32_e32 v16, v14
	v_fma_f32 v20, -v19, v15, 1.0
	v_fmac_f32_e32 v15, v20, v15
	v_fma_f32 v20, -v14, v16, 1.0
	v_fmac_f32_e32 v16, v20, v16
	v_mul_f32_e32 v20, v18, v15
	v_mul_f32_e32 v22, v21, v16
	v_fma_f32 v23, -v19, v20, v18
	v_fma_f32 v24, -v14, v22, v21
	v_fmac_f32_e32 v20, v23, v15
	v_fmac_f32_e32 v22, v24, v16
	v_fma_f32 v18, -v19, v20, v18
	v_fma_f32 v14, -v14, v22, v21
	v_div_fmas_f32 v15, v18, v15, v20
	s_mov_b32 vcc_lo, s0
	v_div_fmas_f32 v16, v14, v16, v22
	v_add_f32_e32 v14, 1.0, v17
	v_div_fixup_f32 v9, v15, v17, v9
	v_div_fixup_f32 v13, v16, v17, v13
	v_div_scale_f32 v15, null, v14, v14, v9
	v_div_scale_f32 v19, vcc_lo, v9, v14, v9
	v_add_f32_e32 v11, v11, v13
	v_rcp_f32_e32 v17, v15
	v_div_scale_f32 v16, null, v11, v11, v13
	v_rcp_f32_e32 v18, v16
	v_fma_f32 v20, -v15, v17, 1.0
	v_fmac_f32_e32 v17, v20, v17
	v_div_scale_f32 v20, s0, v13, v11, v13
	v_fma_f32 v21, -v16, v18, 1.0
	v_fmac_f32_e32 v18, v21, v18
	v_mul_f32_e32 v21, v19, v17
	v_mul_f32_e32 v22, v20, v18
	v_fma_f32 v23, -v15, v21, v19
	v_fma_f32 v24, -v16, v22, v20
	v_fmac_f32_e32 v21, v23, v17
	v_fmac_f32_e32 v22, v24, v18
	v_fma_f32 v15, -v15, v21, v19
	v_fma_f32 v16, -v16, v22, v20
	v_div_fmas_f32 v15, v15, v17, v21
	s_mov_b32 vcc_lo, s0
	v_div_fmas_f32 v16, v16, v18, v22
	v_div_fixup_f32 v9, v15, v14, v9
	v_div_fixup_f32 v16, v16, v11, v13
	v_add_f32_e32 v10, v10, v9
	v_cmp_nlt_f32_e64 s0, 0x34000000, |v16|
	s_or_b32 s10, s0, s10
	s_andn2_b32 exec_lo, exec_lo, s10
	s_cbranch_execnz .LBB19_123
; %bb.124:
	s_or_b32 exec_lo, exec_lo, s10
	v_mul_f32_e32 v9, 0xbe8483fa, v10
	v_fmamk_f32 v9, v11, 0x3eb5c63d, v9
	v_cndmask_b32_e64 v8, v8, v9, s9
.LBB19_125:
	s_or_b32 exec_lo, exec_lo, s1
                                        ; implicit-def: $vgpr9
.LBB19_126:
	s_andn2_saveexec_b32 s9, s2
	s_cbranch_execz .LBB19_136
; %bb.127:
	v_mul_f32_e32 v8, 0xcf800000, v9
	v_cmp_lt_f32_e32 vcc_lo, 0x8f800000, v9
	v_cndmask_b32_e64 v8, -v9, v8, vcc_lo
	v_sqrt_f32_e32 v10, v8
	v_add_nc_u32_e32 v11, -1, v10
	v_add_nc_u32_e32 v12, 1, v10
	v_fma_f32 v13, -v11, v10, v8
	v_fma_f32 v14, -v12, v10, v8
	v_cmp_ge_f32_e64 s0, 0, v13
	v_cndmask_b32_e64 v10, v10, v11, s0
	v_cmp_lt_f32_e64 s0, 0, v14
	v_cndmask_b32_e64 v10, v10, v12, s0
	v_mul_f32_e32 v11, 0x37800000, v10
	v_cndmask_b32_e32 v10, v10, v11, vcc_lo
	v_cmp_class_f32_e64 vcc_lo, v8, 0x260
	v_mul_f32_e32 v11, -2.0, v9
	v_cndmask_b32_e32 v9, v10, v8, vcc_lo
	v_mul_f32_e32 v8, v11, v9
	v_div_scale_f32 v10, null, 0x40400000, 0x40400000, v8
	v_div_scale_f32 v13, vcc_lo, v8, 0x40400000, v8
	v_rcp_f32_e32 v11, v10
	v_fma_f32 v12, -v10, v11, 1.0
	v_fmac_f32_e32 v11, v12, v11
	v_mul_f32_e32 v12, v13, v11
	v_fma_f32 v14, -v10, v12, v13
	v_fmac_f32_e32 v12, v14, v11
                                        ; implicit-def: $vgpr14
	v_fma_f32 v10, -v10, v12, v13
	v_div_fmas_f32 v10, v10, v11, v12
                                        ; implicit-def: $vgpr11
	v_div_fixup_f32 v10, v10, 0x40400000, v8
	v_add_f32_e32 v8, 0x3f490fdb, v10
	v_and_b32_e32 v12, 0x7fffffff, v8
	v_cmp_ngt_f32_e64 s2, 0x48000000, |v8|
	s_and_saveexec_b32 s0, s2
	s_xor_b32 s10, exec_lo, s0
	s_cbranch_execz .LBB19_129
; %bb.128:
	s_mov_b32 s0, 0x7fffff
	v_mov_b32_e32 v15, 0
	v_and_or_b32 v11, v12, s0, 0x800000
	v_lshrrev_b32_e32 v20, 23, v12
	v_mad_u64_u32 v[13:14], null, 0xfe5163ab, v11, 0
	v_add_nc_u32_e32 v21, 0xffffff88, v20
	v_cmp_lt_u32_e32 vcc_lo, 63, v21
	v_mad_u64_u32 v[16:17], null, 0x3c439041, v11, v[14:15]
	v_cndmask_b32_e64 v22, 0, 0xffffffc0, vcc_lo
	v_mov_b32_e32 v14, v17
	v_add_nc_u32_e32 v22, v22, v21
	v_mad_u64_u32 v[17:18], null, 0xdb629599, v11, v[14:15]
	v_cmp_lt_u32_e64 s0, 31, v22
	v_cndmask_b32_e64 v23, 0, 0xffffffe0, s0
	v_mov_b32_e32 v14, v18
	v_cndmask_b32_e32 v13, v17, v13, vcc_lo
	v_mad_u64_u32 v[18:19], null, 0xf534ddc0, v11, v[14:15]
	v_mov_b32_e32 v14, v19
	v_cndmask_b32_e32 v16, v18, v16, vcc_lo
	v_mad_u64_u32 v[19:20], null, 0xfc2757d1, v11, v[14:15]
	v_cndmask_b32_e64 v13, v16, v13, s0
	v_mov_b32_e32 v14, v20
	v_mad_u64_u32 v[20:21], null, 0x4e441529, v11, v[14:15]
	v_mov_b32_e32 v14, v21
	v_add_nc_u32_e32 v21, v23, v22
	v_cndmask_b32_e32 v22, v20, v18, vcc_lo
	v_mad_u64_u32 v[14:15], null, 0xa2f9836e, v11, v[14:15]
	v_cmp_lt_u32_e64 s1, 31, v21
	v_cndmask_b32_e64 v11, 0, 0xffffffe0, s1
	v_cndmask_b32_e32 v14, v14, v19, vcc_lo
	v_cndmask_b32_e32 v15, v15, v20, vcc_lo
	;; [unrolled: 1-line block ×3, first 2 shown]
	v_add_nc_u32_e32 v11, v11, v21
	v_cndmask_b32_e64 v18, v14, v22, s0
	v_cndmask_b32_e64 v14, v15, v14, s0
	;; [unrolled: 1-line block ×4, first 2 shown]
	v_sub_nc_u32_e32 v20, 32, v11
	v_cmp_eq_u32_e32 vcc_lo, 0, v11
	v_cndmask_b32_e64 v14, v14, v18, s1
	v_cndmask_b32_e64 v18, v18, v15, s1
	;; [unrolled: 1-line block ×4, first 2 shown]
	v_alignbit_b32 v21, v14, v18, v20
	v_alignbit_b32 v17, v18, v15, v20
	;; [unrolled: 1-line block ×3, first 2 shown]
	v_cndmask_b32_e32 v11, v21, v14, vcc_lo
	v_cndmask_b32_e32 v14, v17, v18, vcc_lo
	;; [unrolled: 1-line block ×3, first 2 shown]
	v_bfe_u32 v16, v11, 29, 1
	v_alignbit_b32 v17, v11, v14, 30
	v_alignbit_b32 v14, v14, v15, 30
	;; [unrolled: 1-line block ×3, first 2 shown]
	v_sub_nc_u32_e32 v18, 0, v16
	v_xor_b32_e32 v17, v17, v18
	v_xor_b32_e32 v14, v14, v18
	;; [unrolled: 1-line block ×3, first 2 shown]
	v_lshrrev_b32_e32 v18, 29, v11
	v_ffbh_u32_e32 v19, v17
	v_min_u32_e32 v19, 32, v19
	v_sub_nc_u32_e32 v15, 31, v19
	v_lshlrev_b32_e32 v20, 23, v19
	v_alignbit_b32 v17, v17, v14, v15
	v_alignbit_b32 v13, v14, v13, v15
	v_lshlrev_b32_e32 v14, 31, v18
	v_alignbit_b32 v15, v17, v13, 9
	v_or_b32_e32 v18, 0.5, v14
	v_lshrrev_b32_e32 v17, 9, v17
	v_or_b32_e32 v14, 0x33000000, v14
	v_ffbh_u32_e32 v21, v15
	v_sub_nc_u32_e32 v18, v18, v20
	v_min_u32_e32 v20, 32, v21
	v_or_b32_e32 v17, v17, v18
	v_not_b32_e32 v18, v20
	v_mul_f32_e32 v21, 0x3fc90fda, v17
	v_add_lshl_u32 v19, v20, v19, 23
	v_alignbit_b32 v13, v15, v13, v18
	v_fma_f32 v15, 0x3fc90fda, v17, -v21
	v_sub_nc_u32_e32 v14, v14, v19
	v_lshrrev_b32_e32 v13, 9, v13
	v_fmamk_f32 v15, v17, 0x33a22168, v15
	v_or_b32_e32 v13, v14, v13
	v_fmac_f32_e32 v15, 0x3fc90fda, v13
	v_lshrrev_b32_e32 v13, 30, v11
	v_add_f32_e32 v11, v21, v15
	v_add_nc_u32_e32 v14, v16, v13
	s_andn2_saveexec_b32 s0, s10
	s_branch .LBB19_130
.LBB19_129:
	s_andn2_saveexec_b32 s0, s10
.LBB19_130:
	v_mul_f32_e64 v11, 0x3f22f983, |v8|
	v_rndne_f32_e32 v13, v11
	v_fma_f32 v11, 0xbfc90fda, v13, |v8|
	v_cvt_i32_f32_e32 v14, v13
	v_fmamk_f32 v11, v13, 0xb3a22168, v11
	v_fmamk_f32 v11, v13, 0xa7c234c4, v11
; %bb.131:
	s_or_b32 exec_lo, exec_lo, s0
                                        ; implicit-def: $vgpr15
                                        ; implicit-def: $vgpr13
	s_and_saveexec_b32 s0, s2
	s_xor_b32 s2, exec_lo, s0
	s_cbranch_execz .LBB19_133
; %bb.132:
	s_mov_b32 s0, 0x7fffff
	v_mov_b32_e32 v17, 0
	v_and_or_b32 v13, v12, s0, 0x800000
	v_lshrrev_b32_e32 v22, 23, v12
	v_mad_u64_u32 v[15:16], null, 0xfe5163ab, v13, 0
	v_add_nc_u32_e32 v23, 0xffffff88, v22
	v_cmp_lt_u32_e32 vcc_lo, 63, v23
	v_mad_u64_u32 v[18:19], null, 0x3c439041, v13, v[16:17]
	v_cndmask_b32_e64 v24, 0, 0xffffffc0, vcc_lo
	v_mov_b32_e32 v16, v19
	v_add_nc_u32_e32 v24, v24, v23
	v_mad_u64_u32 v[19:20], null, 0xdb629599, v13, v[16:17]
	v_cmp_lt_u32_e64 s0, 31, v24
	v_cndmask_b32_e64 v25, 0, 0xffffffe0, s0
	v_mov_b32_e32 v16, v20
	v_cndmask_b32_e32 v15, v19, v15, vcc_lo
	v_mad_u64_u32 v[20:21], null, 0xf534ddc0, v13, v[16:17]
	v_mov_b32_e32 v16, v21
	v_cndmask_b32_e32 v18, v20, v18, vcc_lo
	v_mad_u64_u32 v[21:22], null, 0xfc2757d1, v13, v[16:17]
	v_cndmask_b32_e64 v15, v18, v15, s0
	v_mov_b32_e32 v16, v22
	v_mad_u64_u32 v[22:23], null, 0x4e441529, v13, v[16:17]
	v_mov_b32_e32 v16, v23
	v_add_nc_u32_e32 v23, v25, v24
	v_cndmask_b32_e32 v24, v22, v20, vcc_lo
	v_mad_u64_u32 v[16:17], null, 0xa2f9836e, v13, v[16:17]
	v_cmp_lt_u32_e64 s1, 31, v23
	v_cndmask_b32_e64 v13, 0, 0xffffffe0, s1
	v_cndmask_b32_e32 v16, v16, v21, vcc_lo
	v_cndmask_b32_e32 v17, v17, v22, vcc_lo
	;; [unrolled: 1-line block ×3, first 2 shown]
	v_add_nc_u32_e32 v13, v13, v23
	v_cndmask_b32_e64 v20, v16, v24, s0
	v_cndmask_b32_e64 v16, v17, v16, s0
	;; [unrolled: 1-line block ×4, first 2 shown]
	v_sub_nc_u32_e32 v22, 32, v13
	v_cmp_eq_u32_e32 vcc_lo, 0, v13
	v_cndmask_b32_e64 v16, v16, v20, s1
	v_cndmask_b32_e64 v20, v20, v17, s1
	;; [unrolled: 1-line block ×4, first 2 shown]
	v_alignbit_b32 v23, v16, v20, v22
	v_alignbit_b32 v19, v20, v17, v22
	;; [unrolled: 1-line block ×3, first 2 shown]
	v_cndmask_b32_e32 v13, v23, v16, vcc_lo
	v_cndmask_b32_e32 v16, v19, v20, vcc_lo
	;; [unrolled: 1-line block ×3, first 2 shown]
	v_bfe_u32 v18, v13, 29, 1
	v_alignbit_b32 v19, v13, v16, 30
	v_alignbit_b32 v16, v16, v17, 30
	;; [unrolled: 1-line block ×3, first 2 shown]
	v_sub_nc_u32_e32 v20, 0, v18
	v_xor_b32_e32 v19, v19, v20
	v_xor_b32_e32 v16, v16, v20
	;; [unrolled: 1-line block ×3, first 2 shown]
	v_lshrrev_b32_e32 v20, 29, v13
	v_ffbh_u32_e32 v21, v19
	v_min_u32_e32 v21, 32, v21
	v_sub_nc_u32_e32 v17, 31, v21
	v_lshlrev_b32_e32 v22, 23, v21
	v_alignbit_b32 v19, v19, v16, v17
	v_alignbit_b32 v15, v16, v15, v17
	v_lshlrev_b32_e32 v16, 31, v20
	v_alignbit_b32 v17, v19, v15, 9
	v_or_b32_e32 v20, 0.5, v16
	v_lshrrev_b32_e32 v19, 9, v19
	v_or_b32_e32 v16, 0x33000000, v16
	v_ffbh_u32_e32 v23, v17
	v_sub_nc_u32_e32 v20, v20, v22
	v_min_u32_e32 v22, 32, v23
	v_or_b32_e32 v19, v19, v20
	v_not_b32_e32 v20, v22
	v_mul_f32_e32 v23, 0x3fc90fda, v19
	v_add_lshl_u32 v21, v22, v21, 23
	v_alignbit_b32 v15, v17, v15, v20
	v_fma_f32 v17, 0x3fc90fda, v19, -v23
	v_sub_nc_u32_e32 v16, v16, v21
	v_lshrrev_b32_e32 v15, 9, v15
	v_fmamk_f32 v17, v19, 0x33a22168, v17
	v_or_b32_e32 v15, v16, v15
	v_fmac_f32_e32 v17, 0x3fc90fda, v15
	v_lshrrev_b32_e32 v15, 30, v13
	v_add_f32_e32 v13, v23, v17
	v_add_nc_u32_e32 v15, v18, v15
	s_andn2_saveexec_b32 s0, s2
	s_cbranch_execnz .LBB19_134
	s_branch .LBB19_135
.LBB19_133:
	s_andn2_saveexec_b32 s0, s2
.LBB19_134:
	v_mul_f32_e64 v13, 0x3f22f983, |v8|
	v_rndne_f32_e32 v15, v13
	v_fma_f32 v13, 0xbfc90fda, v15, |v8|
	v_fmamk_f32 v13, v15, 0xb3a22168, v13
	v_fmamk_f32 v13, v15, 0xa7c234c4, v13
	v_cvt_i32_f32_e32 v15, v15
.LBB19_135:
	s_or_b32 exec_lo, exec_lo, s0
	v_div_scale_f32 v16, null, v10, v10, 1.0
	v_div_scale_f32 v19, vcc_lo, 1.0, v10, 1.0
	v_mul_f32_e32 v22, 0x4f800000, v9
	v_rcp_f32_e32 v17, v16
	v_mul_f32_e32 v21, v11, v11
	s_mov_b32 s0, 0xb94c1982
	s_mov_b32 s1, 0x37d75334
	v_and_b32_e32 v23, 1, v15
	v_xor_b32_e32 v12, v12, v8
	v_lshlrev_b32_e32 v15, 30, v15
	v_fma_f32 v18, -v16, v17, 1.0
	v_and_b32_e32 v15, 0x80000000, v15
	v_fmac_f32_e32 v17, v18, v17
	v_mul_f32_e32 v18, v19, v17
	v_fma_f32 v20, -v16, v18, v19
	v_fmac_f32_e32 v18, v20, v17
	v_and_b32_e32 v20, 1, v14
	v_lshlrev_b32_e32 v14, 30, v14
	v_fma_f32 v16, -v16, v18, v19
	v_mul_f32_e32 v19, v13, v13
	v_cmp_eq_u32_e64 s2, 0, v20
	v_and_b32_e32 v14, 0x80000000, v14
	v_div_fmas_f32 v16, v16, v17, v18
	v_cmp_gt_f32_e32 vcc_lo, 0xf800000, v9
	v_fmaak_f32 v17, s0, v21, 0x3c0881c4
	v_fmaak_f32 v18, s1, v21, 0xbab64f3b
	v_div_fixup_f32 v10, v16, v10, 1.0
	v_cndmask_b32_e32 v9, v9, v22, vcc_lo
	v_fmaak_f32 v16, s0, v19, 0x3c0881c4
	v_fmaak_f32 v22, s1, v19, 0xbab64f3b
	;; [unrolled: 1-line block ×3, first 2 shown]
	v_mul_f32_e32 v24, v10, v10
	v_sqrt_f32_e32 v25, v9
	v_fmaak_f32 v18, v21, v18, 0x3d2aabf7
	v_fmaak_f32 v16, v19, v16, 0xbe2aaa9d
	;; [unrolled: 1-line block ×7, first 2 shown]
	v_mul_f32_e32 v17, v21, v17
	v_fmaak_f32 v26, v24, v26, 0x3ec83ea8
	v_fmaak_f32 v27, v24, v27, 0xbf205f75
	;; [unrolled: 1-line block ×4, first 2 shown]
	v_add_nc_u32_e32 v30, -1, v25
	v_fmaak_f32 v26, v24, v26, 0x3f886c1a
	v_fmaak_f32 v27, v24, v27, 0xbf3172ce
	;; [unrolled: 1-line block ×4, first 2 shown]
	v_add_nc_u32_e32 v31, 1, v25
	v_fmaak_f32 v26, v24, v26, 0x3f706d65
	v_fmaak_f32 v27, v24, v27, 0xbe8f3f52
	v_fma_f32 v32, -v30, v25, v9
	v_fmaak_f32 v28, v24, v28, 0x4112fe41
	v_fmaak_f32 v29, v24, v29, 0x40af4271
	;; [unrolled: 1-line block ×4, first 2 shown]
	v_fma_f32 v33, -v31, v25, v9
	v_cmp_ge_f32_e64 s0, 0, v32
	v_fmaak_f32 v28, v24, v28, 0x3fbcd65a
	v_fmaak_f32 v26, v24, v26, 0x3d81d209
	;; [unrolled: 1-line block ×4, first 2 shown]
	v_cndmask_b32_e64 v25, v25, v30, s0
	v_cmp_lt_f32_e64 s0, 0, v33
	v_fmaak_f32 v26, v24, v26, 0x3bbff4d0
	v_fmaak_f32 v28, v24, v28, 0x3deced66
	;; [unrolled: 1-line block ×4, first 2 shown]
	v_cndmask_b32_e64 v25, v25, v31, s0
	v_fmaak_f32 v26, v24, v26, 0x39944bb3
	v_fmaak_f32 v28, v24, v28, 0x3b904657
	;; [unrolled: 1-line block ×4, first 2 shown]
	v_mul_f32_e32 v30, 0x37800000, v25
	v_fmaak_f32 v26, v24, v26, 0x36ea79eb
	v_fmaak_f32 v28, v24, v28, 0x389e46bd
	;; [unrolled: 1-line block ×4, first 2 shown]
	v_cndmask_b32_e32 v25, v25, v30, vcc_lo
	v_fmaak_f32 v26, v24, v26, 0x33ae5496
	v_cmp_class_f32_e64 vcc_lo, v9, 0x260
	v_fmaak_f32 v28, v24, v28, 0x34f295ce
	v_fmaak_f32 v29, v24, v29, 0x359d422f
	v_mul_f32_e32 v27, v24, v27
	v_fmaak_f32 v26, v24, v26, 0x2fbbc524
	v_cndmask_b32_e32 v9, v25, v9, vcc_lo
	v_fmaak_f32 v18, v21, v18, 0xbf000004
	v_fmaak_f32 v24, v24, v29, 0x31a8fe3a
	v_div_scale_f32 v25, null, v28, v28, v27
	v_mul_f32_e32 v10, v10, v26
	v_div_scale_f32 v26, null, v9, v9, 0x3f106ebb
	v_rcp_f32_e32 v29, v25
	v_mul_f32_e32 v16, v19, v16
	v_div_scale_f32 v30, null, v24, v24, v10
	v_rcp_f32_e32 v31, v26
	v_fmaak_f32 v22, v19, v22, 0xbf000004
	v_fmac_f32_e32 v11, v11, v17
	v_fma_f32 v17, v21, v18, 1.0
	v_rcp_f32_e32 v18, v30
	v_fmac_f32_e32 v13, v13, v16
	v_fma_f32 v16, v19, v22, 1.0
	v_fma_f32 v19, -v25, v29, 1.0
	v_div_scale_f32 v32, vcc_lo, v27, v28, v27
	v_fma_f32 v22, -v26, v31, 1.0
	v_div_scale_f32 v21, s0, 0x3f106ebb, v9, 0x3f106ebb
	v_fmac_f32_e32 v29, v19, v29
	v_fma_f32 v19, -v30, v18, 1.0
	v_fmac_f32_e32 v31, v22, v31
	v_div_scale_f32 v22, s1, v10, v24, v10
	v_mul_f32_e32 v33, v32, v29
	v_fmac_f32_e32 v18, v19, v18
	v_mul_f32_e32 v19, v21, v31
	v_cndmask_b32_e64 v11, v17, v11, s2
	v_cmp_eq_u32_e64 s2, 0, v23
	v_fma_f32 v17, -v25, v33, v32
	v_mul_f32_e32 v20, v22, v18
	v_fma_f32 v34, -v26, v19, v21
	v_xor3_b32 v11, v12, v14, v11
	v_cndmask_b32_e64 v13, -v13, v16, s2
	v_fmac_f32_e32 v33, v17, v29
	v_fma_f32 v16, -v30, v20, v22
	v_fmac_f32_e32 v19, v34, v31
	v_cmp_class_f32_e64 s2, v8, 0x1f8
	v_xor_b32_e32 v13, v15, v13
	v_fma_f32 v8, -v25, v33, v32
	v_fmac_f32_e32 v20, v16, v18
	v_fma_f32 v12, -v26, v19, v21
	v_cndmask_b32_e64 v11, 0x7fc00000, v11, s2
	v_cndmask_b32_e64 v13, 0x7fc00000, v13, s2
	v_div_fmas_f32 v8, v8, v29, v33
	v_fma_f32 v14, -v30, v20, v22
	s_mov_b32 vcc_lo, s0
	v_div_fmas_f32 v12, v12, v31, v19
	s_mov_b32 vcc_lo, s1
	v_div_fixup_f32 v8, v8, v28, v27
	v_div_fmas_f32 v14, v14, v18, v20
	v_div_fixup_f32 v9, v12, v9, 0x3f106ebb
	v_add_f32_e32 v8, 1.0, v8
	v_div_fixup_f32 v10, v14, v24, v10
	v_mul_f32_e32 v10, v10, v13
	v_fma_f32 v8, v8, v11, -v10
	v_mul_f32_e32 v8, v9, v8
.LBB19_136:
	s_or_b32 exec_lo, exec_lo, s9
.LBB19_137:
	s_or_b32 exec_lo, exec_lo, s8
.LBB19_138:
	s_or_b32 exec_lo, exec_lo, s3
	global_load_dword v5, v5, s[6:7]
	s_mov_b32 s3, exec_lo
	s_waitcnt vmcnt(0)
	v_cmpx_neq_f32_e64 0x7f800000, |v5|
	s_cbranch_execz .LBB19_160
; %bb.139:
	v_mov_b32_e32 v7, 0
	s_mov_b32 s6, exec_lo
	v_cmpx_nlt_f32_e32 0x42cfc8b4, v5
	s_cbranch_execz .LBB19_159
; %bb.140:
                                        ; implicit-def: $vgpr7
	s_mov_b32 s0, exec_lo
	v_cmpx_ngt_f32_e32 0xc005c28f, v5
	s_xor_b32 s2, exec_lo, s0
	s_cbranch_execz .LBB19_148
; %bb.141:
	v_cmp_nle_f32_e64 s7, 0x4005c28f, v5
	v_mov_b32_e32 v7, 0
	s_mov_b32 s8, exec_lo
	s_mov_b32 s0, s7
	v_cmpx_le_f32_e32 0x4005c28f, v5
	s_cbranch_execz .LBB19_143
; %bb.142:
	v_mul_f32_e32 v7, 0x4f800000, v5
	v_cmp_gt_f32_e32 vcc_lo, 0xf800000, v5
	v_cndmask_b32_e32 v7, v5, v7, vcc_lo
	v_sqrt_f32_e32 v9, v7
	v_add_nc_u32_e32 v10, -1, v9
	v_add_nc_u32_e32 v11, 1, v9
	v_fma_f32 v12, -v10, v9, v7
	v_fma_f32 v13, -v11, v9, v7
	v_cmp_ge_f32_e64 s0, 0, v12
	v_cndmask_b32_e64 v9, v9, v10, s0
	v_cmp_lt_f32_e64 s0, 0, v13
	v_cndmask_b32_e64 v9, v9, v11, s0
	v_mul_f32_e32 v10, 0x37800000, v9
	v_cndmask_b32_e32 v9, v9, v10, vcc_lo
	v_cmp_class_f32_e64 vcc_lo, v7, 0x260
	v_add_f32_e32 v10, v5, v5
	v_cndmask_b32_e32 v7, v9, v7, vcc_lo
	v_mul_f32_e32 v9, v10, v7
	v_div_scale_f32 v10, null, 0x40400000, 0x40400000, v9
	v_div_scale_f32 v13, vcc_lo, v9, 0x40400000, v9
	v_rcp_f32_e32 v11, v10
	v_fma_f32 v12, -v10, v11, 1.0
	v_fmac_f32_e32 v11, v12, v11
	v_mul_f32_e32 v12, v13, v11
	v_fma_f32 v14, -v10, v12, v13
	v_fmac_f32_e32 v12, v14, v11
	v_fma_f32 v10, -v10, v12, v13
	v_div_fmas_f32 v10, v10, v11, v12
	v_div_fixup_f32 v9, v10, 0x40400000, v9
	v_div_scale_f32 v10, null, v9, v9, 1.0
	v_div_scale_f32 v13, vcc_lo, 1.0, v9, 1.0
	v_mul_f32_e32 v17, 0x3fb8aa3b, v9
	v_rcp_f32_e32 v11, v10
	v_fma_f32 v20, 0x3fb8aa3b, v9, -v17
	v_rndne_f32_e32 v21, v17
	v_sub_f32_e32 v17, v17, v21
	v_fma_f32 v12, -v10, v11, 1.0
	v_fmac_f32_e32 v11, v12, v11
	v_mul_f32_e32 v12, v13, v11
	v_fma_f32 v14, -v10, v12, v13
	v_fmac_f32_e32 v12, v14, v11
	v_fma_f32 v10, -v10, v12, v13
	v_mul_f32_e32 v13, 0x4f800000, v7
	v_div_fmas_f32 v10, v10, v11, v12
	v_cmp_gt_f32_e32 vcc_lo, 0xf800000, v7
	v_div_fixup_f32 v10, v10, v9, 1.0
	v_cndmask_b32_e32 v7, v7, v13, vcc_lo
	v_fmaak_f32 v11, 0, v10, 0x3f114de0
	v_fmaak_f32 v12, 0, v10, 0x3eb16d71
	v_sqrt_f32_e32 v13, v7
	v_fmaak_f32 v11, v10, v11, 0x416c19a0
	v_fmaak_f32 v12, v10, v12, 0x41401f1c
	;; [unrolled: 1-line block ×4, first 2 shown]
	v_add_nc_u32_e32 v14, -1, v13
	v_add_nc_u32_e32 v15, 1, v13
	v_fmaak_f32 v11, v10, v11, 0x4331516e
	v_fmaak_f32 v12, v10, v12, 0x432816d7
	v_fma_f32 v18, -v14, v13, v7
	v_fma_f32 v19, -v15, v13, v7
	v_fmaak_f32 v11, v10, v11, 0x43243c15
	v_fmaak_f32 v12, v10, v12, 0x431fc1a3
	v_cmp_ge_f32_e64 s0, 0, v18
	v_fmamk_f32 v18, v9, 0x32a5705f, v20
	v_cmp_lt_f32_e64 s1, 0, v19
	v_fmaak_f32 v11, v10, v11, 0x428ef4a7
	v_fmaak_f32 v12, v10, v12, 0x428d127a
	v_cndmask_b32_e64 v13, v13, v14, s0
	v_cvt_i32_f32_e32 v19, v21
	v_fmaak_f32 v11, v10, v11, 0x416188dd
	v_fmaak_f32 v12, v10, v12, 0x41606c6b
	v_cndmask_b32_e64 v13, v13, v15, s1
	v_fma_f32 v11, v10, v11, 1.0
	v_fma_f32 v10, v10, v12, 1.0
	v_div_scale_f32 v12, null, v11, v11, v10
	v_div_scale_f32 v20, s0, v10, v11, v10
	v_rcp_f32_e32 v16, v12
	v_fma_f32 v14, -v12, v16, 1.0
	v_fmac_f32_e32 v16, v14, v16
	v_add_f32_e32 v14, v17, v18
	v_mul_f32_e32 v17, 0x37800000, v13
	v_mul_f32_e32 v15, v20, v16
	v_exp_f32_e32 v14, v14
	v_cndmask_b32_e32 v13, v13, v17, vcc_lo
	v_cmp_class_f32_e64 vcc_lo, v7, 0x260
	v_fma_f32 v18, -v12, v15, v20
	v_cndmask_b32_e32 v7, v13, v7, vcc_lo
	v_cmp_ngt_f32_e32 vcc_lo, 0xc2ce8ed0, v9
	v_fmac_f32_e32 v15, v18, v16
	v_ldexp_f32 v14, v14, v19
	v_add_f32_e32 v7, v7, v7
	v_fma_f32 v12, -v12, v15, v20
	v_cndmask_b32_e32 v13, 0, v14, vcc_lo
	s_mov_b32 vcc_lo, s0
	s_andn2_b32 s0, s7, exec_lo
	v_div_fmas_f32 v12, v12, v16, v15
	v_cmp_nlt_f32_e32 vcc_lo, 0x42b17218, v9
	v_div_fixup_f32 v10, v12, v11, v10
	v_cndmask_b32_e32 v9, 0x7f800000, v13, vcc_lo
	v_mul_f32_e32 v7, v7, v9
	v_mul_f32_e32 v9, 0x3f106ebb, v10
	v_div_scale_f32 v10, null, v7, v7, v9
	v_div_scale_f32 v13, vcc_lo, v9, v7, v9
	v_rcp_f32_e32 v11, v10
	v_fma_f32 v12, -v10, v11, 1.0
	v_fmac_f32_e32 v11, v12, v11
	v_mul_f32_e32 v12, v13, v11
	v_fma_f32 v14, -v10, v12, v13
	v_fmac_f32_e32 v12, v14, v11
	v_fma_f32 v10, -v10, v12, v13
	v_div_fmas_f32 v10, v10, v11, v12
	v_cmp_nlt_f32_e32 vcc_lo, 0x41052018, v5
	v_div_fixup_f32 v7, v10, v7, v9
	s_and_b32 s1, vcc_lo, exec_lo
	s_or_b32 s0, s0, s1
.LBB19_143:
	s_or_b32 exec_lo, exec_lo, s8
	s_and_saveexec_b32 s1, s0
	s_cbranch_execz .LBB19_147
; %bb.144:
	v_mul_f32_e32 v10, v5, v5
	v_mov_b32_e32 v12, 1.0
	v_mov_b32_e32 v13, 1.0
	v_mov_b32_e32 v9, v5
	s_mov_b32 s8, 0
	v_mul_f32_e32 v11, v5, v10
	v_mov_b32_e32 v10, 1.0
.LBB19_145:                             ; =>This Inner Loop Header: Depth=1
	v_mul_f32_e32 v12, v11, v12
	v_add_f32_e32 v13, 1.0, v13
	v_mul_f32_e32 v5, v11, v5
	v_div_scale_f32 v14, null, v13, v13, v12
	v_div_scale_f32 v17, vcc_lo, v12, v13, v12
	v_add_f32_e32 v16, 1.0, v13
	v_rcp_f32_e32 v15, v14
	v_div_scale_f32 v18, null, v16, v16, v5
	v_fma_f32 v19, -v14, v15, 1.0
	v_fmac_f32_e32 v15, v19, v15
	v_mul_f32_e32 v19, v17, v15
	v_fma_f32 v20, -v14, v19, v17
	v_fmac_f32_e32 v19, v20, v15
	v_fma_f32 v14, -v14, v19, v17
	v_div_fmas_f32 v14, v14, v15, v19
	v_div_scale_f32 v17, vcc_lo, v5, v16, v5
	v_div_fixup_f32 v12, v14, v13, v12
	v_rcp_f32_e32 v14, v18
	v_div_scale_f32 v13, null, v16, v16, v12
	v_div_scale_f32 v20, s0, v12, v16, v12
	v_rcp_f32_e32 v15, v13
	v_fma_f32 v19, -v18, v14, 1.0
	v_fmac_f32_e32 v14, v19, v14
	v_fma_f32 v19, -v13, v15, 1.0
	v_fmac_f32_e32 v15, v19, v15
	v_mul_f32_e32 v19, v17, v14
	v_mul_f32_e32 v21, v20, v15
	v_fma_f32 v22, -v18, v19, v17
	v_fma_f32 v23, -v13, v21, v20
	v_fmac_f32_e32 v19, v22, v14
	v_fmac_f32_e32 v21, v23, v15
	v_fma_f32 v17, -v18, v19, v17
	v_fma_f32 v13, -v13, v21, v20
	v_div_fmas_f32 v14, v17, v14, v19
	s_mov_b32 vcc_lo, s0
	v_div_fmas_f32 v15, v13, v15, v21
	v_add_f32_e32 v13, 1.0, v16
	v_div_fixup_f32 v5, v14, v16, v5
	v_div_fixup_f32 v12, v15, v16, v12
	v_div_scale_f32 v14, null, v13, v13, v5
	v_div_scale_f32 v18, vcc_lo, v5, v13, v5
	v_add_f32_e32 v10, v10, v12
	v_rcp_f32_e32 v16, v14
	v_div_scale_f32 v15, null, v10, v10, v12
	v_rcp_f32_e32 v17, v15
	v_fma_f32 v19, -v14, v16, 1.0
	v_fmac_f32_e32 v16, v19, v16
	v_div_scale_f32 v19, s0, v12, v10, v12
	v_fma_f32 v20, -v15, v17, 1.0
	v_fmac_f32_e32 v17, v20, v17
	v_mul_f32_e32 v20, v18, v16
	v_mul_f32_e32 v21, v19, v17
	v_fma_f32 v22, -v14, v20, v18
	v_fma_f32 v23, -v15, v21, v19
	v_fmac_f32_e32 v20, v22, v16
	v_fmac_f32_e32 v21, v23, v17
	v_fma_f32 v14, -v14, v20, v18
	v_fma_f32 v15, -v15, v21, v19
	v_div_fmas_f32 v14, v14, v16, v20
	s_mov_b32 vcc_lo, s0
	v_div_fmas_f32 v15, v15, v17, v21
	v_div_fixup_f32 v5, v14, v13, v5
	v_div_fixup_f32 v15, v15, v10, v12
	v_add_f32_e32 v9, v9, v5
	v_cmp_nlt_f32_e64 s0, 0x34000000, |v15|
	s_or_b32 s8, s0, s8
	s_andn2_b32 exec_lo, exec_lo, s8
	s_cbranch_execnz .LBB19_145
; %bb.146:
	s_or_b32 exec_lo, exec_lo, s8
	v_mul_f32_e32 v5, 0xbe8483fa, v9
	v_fmamk_f32 v5, v10, 0x3eb5c63d, v5
	v_cndmask_b32_e64 v7, v7, v5, s7
.LBB19_147:
	s_or_b32 exec_lo, exec_lo, s1
                                        ; implicit-def: $vgpr5
.LBB19_148:
	s_andn2_saveexec_b32 s7, s2
	s_cbranch_execz .LBB19_158
; %bb.149:
	v_mul_f32_e32 v7, 0xcf800000, v5
	v_cmp_lt_f32_e32 vcc_lo, 0x8f800000, v5
	v_cndmask_b32_e64 v7, -v5, v7, vcc_lo
	v_mul_f32_e32 v5, -2.0, v5
	v_sqrt_f32_e32 v9, v7
	v_add_nc_u32_e32 v10, -1, v9
	v_add_nc_u32_e32 v11, 1, v9
	v_fma_f32 v12, -v10, v9, v7
	v_fma_f32 v13, -v11, v9, v7
	v_cmp_ge_f32_e64 s0, 0, v12
	v_cndmask_b32_e64 v9, v9, v10, s0
	v_cmp_lt_f32_e64 s0, 0, v13
	v_cndmask_b32_e64 v9, v9, v11, s0
	v_mul_f32_e32 v10, 0x37800000, v9
	v_cndmask_b32_e32 v9, v9, v10, vcc_lo
	v_cmp_class_f32_e64 vcc_lo, v7, 0x260
	v_cndmask_b32_e32 v7, v9, v7, vcc_lo
	v_mul_f32_e32 v5, v5, v7
	v_div_scale_f32 v9, null, 0x40400000, 0x40400000, v5
	v_div_scale_f32 v12, vcc_lo, v5, 0x40400000, v5
	v_rcp_f32_e32 v10, v9
	v_fma_f32 v11, -v9, v10, 1.0
	v_fmac_f32_e32 v10, v11, v10
	v_mul_f32_e32 v11, v12, v10
	v_fma_f32 v13, -v9, v11, v12
	v_fmac_f32_e32 v11, v13, v10
                                        ; implicit-def: $vgpr13
	v_fma_f32 v9, -v9, v11, v12
	v_div_fmas_f32 v9, v9, v10, v11
                                        ; implicit-def: $vgpr10
	v_div_fixup_f32 v9, v9, 0x40400000, v5
	v_add_f32_e32 v5, 0x3f490fdb, v9
	v_and_b32_e32 v11, 0x7fffffff, v5
	v_cmp_ngt_f32_e64 s2, 0x48000000, |v5|
	s_and_saveexec_b32 s0, s2
	s_xor_b32 s8, exec_lo, s0
	s_cbranch_execz .LBB19_151
; %bb.150:
	s_mov_b32 s0, 0x7fffff
	v_mov_b32_e32 v14, 0
	v_and_or_b32 v10, v11, s0, 0x800000
	v_lshrrev_b32_e32 v19, 23, v11
	v_mad_u64_u32 v[12:13], null, 0xfe5163ab, v10, 0
	v_add_nc_u32_e32 v20, 0xffffff88, v19
	v_cmp_lt_u32_e32 vcc_lo, 63, v20
	v_mad_u64_u32 v[15:16], null, 0x3c439041, v10, v[13:14]
	v_cndmask_b32_e64 v21, 0, 0xffffffc0, vcc_lo
	v_mov_b32_e32 v13, v16
	v_add_nc_u32_e32 v21, v21, v20
	v_mad_u64_u32 v[16:17], null, 0xdb629599, v10, v[13:14]
	v_cmp_lt_u32_e64 s0, 31, v21
	v_cndmask_b32_e64 v22, 0, 0xffffffe0, s0
	v_mov_b32_e32 v13, v17
	v_cndmask_b32_e32 v12, v16, v12, vcc_lo
	v_mad_u64_u32 v[17:18], null, 0xf534ddc0, v10, v[13:14]
	v_mov_b32_e32 v13, v18
	v_cndmask_b32_e32 v15, v17, v15, vcc_lo
	v_mad_u64_u32 v[18:19], null, 0xfc2757d1, v10, v[13:14]
	v_cndmask_b32_e64 v12, v15, v12, s0
	v_mov_b32_e32 v13, v19
	v_mad_u64_u32 v[19:20], null, 0x4e441529, v10, v[13:14]
	v_mov_b32_e32 v13, v20
	v_add_nc_u32_e32 v20, v22, v21
	v_cndmask_b32_e32 v21, v19, v17, vcc_lo
	v_mad_u64_u32 v[13:14], null, 0xa2f9836e, v10, v[13:14]
	v_cmp_lt_u32_e64 s1, 31, v20
	v_cndmask_b32_e64 v10, 0, 0xffffffe0, s1
	v_cndmask_b32_e32 v13, v13, v18, vcc_lo
	v_cndmask_b32_e32 v14, v14, v19, vcc_lo
	;; [unrolled: 1-line block ×3, first 2 shown]
	v_add_nc_u32_e32 v10, v10, v20
	v_cndmask_b32_e64 v17, v13, v21, s0
	v_cndmask_b32_e64 v13, v14, v13, s0
	;; [unrolled: 1-line block ×4, first 2 shown]
	v_sub_nc_u32_e32 v19, 32, v10
	v_cmp_eq_u32_e32 vcc_lo, 0, v10
	v_cndmask_b32_e64 v13, v13, v17, s1
	v_cndmask_b32_e64 v17, v17, v14, s1
	;; [unrolled: 1-line block ×4, first 2 shown]
	v_alignbit_b32 v20, v13, v17, v19
	v_alignbit_b32 v16, v17, v14, v19
	;; [unrolled: 1-line block ×3, first 2 shown]
	v_cndmask_b32_e32 v10, v20, v13, vcc_lo
	v_cndmask_b32_e32 v13, v16, v17, vcc_lo
	;; [unrolled: 1-line block ×3, first 2 shown]
	v_bfe_u32 v15, v10, 29, 1
	v_alignbit_b32 v16, v10, v13, 30
	v_alignbit_b32 v13, v13, v14, 30
	;; [unrolled: 1-line block ×3, first 2 shown]
	v_sub_nc_u32_e32 v17, 0, v15
	v_xor_b32_e32 v16, v16, v17
	v_xor_b32_e32 v13, v13, v17
	v_xor_b32_e32 v12, v12, v17
	v_lshrrev_b32_e32 v17, 29, v10
	v_ffbh_u32_e32 v18, v16
	v_min_u32_e32 v18, 32, v18
	v_sub_nc_u32_e32 v14, 31, v18
	v_lshlrev_b32_e32 v19, 23, v18
	v_alignbit_b32 v16, v16, v13, v14
	v_alignbit_b32 v12, v13, v12, v14
	v_lshlrev_b32_e32 v13, 31, v17
	v_alignbit_b32 v14, v16, v12, 9
	v_or_b32_e32 v17, 0.5, v13
	v_lshrrev_b32_e32 v16, 9, v16
	v_or_b32_e32 v13, 0x33000000, v13
	v_ffbh_u32_e32 v20, v14
	v_sub_nc_u32_e32 v17, v17, v19
	v_min_u32_e32 v19, 32, v20
	v_or_b32_e32 v16, v16, v17
	v_not_b32_e32 v17, v19
	v_mul_f32_e32 v20, 0x3fc90fda, v16
	v_add_lshl_u32 v18, v19, v18, 23
	v_alignbit_b32 v12, v14, v12, v17
	v_fma_f32 v14, 0x3fc90fda, v16, -v20
	v_sub_nc_u32_e32 v13, v13, v18
	v_lshrrev_b32_e32 v12, 9, v12
	v_fmamk_f32 v14, v16, 0x33a22168, v14
	v_or_b32_e32 v12, v13, v12
	v_fmac_f32_e32 v14, 0x3fc90fda, v12
	v_lshrrev_b32_e32 v12, 30, v10
	v_add_f32_e32 v10, v20, v14
	v_add_nc_u32_e32 v13, v15, v12
	s_andn2_saveexec_b32 s0, s8
	s_branch .LBB19_152
.LBB19_151:
	s_andn2_saveexec_b32 s0, s8
.LBB19_152:
	v_mul_f32_e64 v10, 0x3f22f983, |v5|
	v_rndne_f32_e32 v12, v10
	v_fma_f32 v10, 0xbfc90fda, v12, |v5|
	v_cvt_i32_f32_e32 v13, v12
	v_fmamk_f32 v10, v12, 0xb3a22168, v10
	v_fmamk_f32 v10, v12, 0xa7c234c4, v10
; %bb.153:
	s_or_b32 exec_lo, exec_lo, s0
                                        ; implicit-def: $vgpr14
                                        ; implicit-def: $vgpr12
	s_and_saveexec_b32 s0, s2
	s_xor_b32 s2, exec_lo, s0
	s_cbranch_execz .LBB19_155
; %bb.154:
	s_mov_b32 s0, 0x7fffff
	v_mov_b32_e32 v16, 0
	v_and_or_b32 v12, v11, s0, 0x800000
	v_lshrrev_b32_e32 v21, 23, v11
	v_mad_u64_u32 v[14:15], null, 0xfe5163ab, v12, 0
	v_add_nc_u32_e32 v22, 0xffffff88, v21
	v_cmp_lt_u32_e32 vcc_lo, 63, v22
	v_mad_u64_u32 v[17:18], null, 0x3c439041, v12, v[15:16]
	v_cndmask_b32_e64 v23, 0, 0xffffffc0, vcc_lo
	v_mov_b32_e32 v15, v18
	v_add_nc_u32_e32 v23, v23, v22
	v_mad_u64_u32 v[18:19], null, 0xdb629599, v12, v[15:16]
	v_cmp_lt_u32_e64 s0, 31, v23
	v_cndmask_b32_e64 v24, 0, 0xffffffe0, s0
	v_mov_b32_e32 v15, v19
	v_cndmask_b32_e32 v14, v18, v14, vcc_lo
	v_mad_u64_u32 v[19:20], null, 0xf534ddc0, v12, v[15:16]
	v_mov_b32_e32 v15, v20
	v_cndmask_b32_e32 v17, v19, v17, vcc_lo
	v_mad_u64_u32 v[20:21], null, 0xfc2757d1, v12, v[15:16]
	v_cndmask_b32_e64 v14, v17, v14, s0
	v_mov_b32_e32 v15, v21
	v_mad_u64_u32 v[21:22], null, 0x4e441529, v12, v[15:16]
	v_mov_b32_e32 v15, v22
	v_add_nc_u32_e32 v22, v24, v23
	v_cndmask_b32_e32 v23, v21, v19, vcc_lo
	v_mad_u64_u32 v[15:16], null, 0xa2f9836e, v12, v[15:16]
	v_cmp_lt_u32_e64 s1, 31, v22
	v_cndmask_b32_e64 v12, 0, 0xffffffe0, s1
	v_cndmask_b32_e32 v15, v15, v20, vcc_lo
	v_cndmask_b32_e32 v16, v16, v21, vcc_lo
	;; [unrolled: 1-line block ×3, first 2 shown]
	v_add_nc_u32_e32 v12, v12, v22
	v_cndmask_b32_e64 v19, v15, v23, s0
	v_cndmask_b32_e64 v15, v16, v15, s0
	;; [unrolled: 1-line block ×4, first 2 shown]
	v_sub_nc_u32_e32 v21, 32, v12
	v_cmp_eq_u32_e32 vcc_lo, 0, v12
	v_cndmask_b32_e64 v15, v15, v19, s1
	v_cndmask_b32_e64 v19, v19, v16, s1
	;; [unrolled: 1-line block ×4, first 2 shown]
	v_alignbit_b32 v22, v15, v19, v21
	v_alignbit_b32 v18, v19, v16, v21
	;; [unrolled: 1-line block ×3, first 2 shown]
	v_cndmask_b32_e32 v12, v22, v15, vcc_lo
	v_cndmask_b32_e32 v15, v18, v19, vcc_lo
	;; [unrolled: 1-line block ×3, first 2 shown]
	v_bfe_u32 v17, v12, 29, 1
	v_alignbit_b32 v18, v12, v15, 30
	v_alignbit_b32 v15, v15, v16, 30
	;; [unrolled: 1-line block ×3, first 2 shown]
	v_sub_nc_u32_e32 v19, 0, v17
	v_xor_b32_e32 v18, v18, v19
	v_xor_b32_e32 v15, v15, v19
	;; [unrolled: 1-line block ×3, first 2 shown]
	v_lshrrev_b32_e32 v19, 29, v12
	v_ffbh_u32_e32 v20, v18
	v_min_u32_e32 v20, 32, v20
	v_sub_nc_u32_e32 v16, 31, v20
	v_lshlrev_b32_e32 v21, 23, v20
	v_alignbit_b32 v18, v18, v15, v16
	v_alignbit_b32 v14, v15, v14, v16
	v_lshlrev_b32_e32 v15, 31, v19
	v_alignbit_b32 v16, v18, v14, 9
	v_or_b32_e32 v19, 0.5, v15
	v_lshrrev_b32_e32 v18, 9, v18
	v_or_b32_e32 v15, 0x33000000, v15
	v_ffbh_u32_e32 v22, v16
	v_sub_nc_u32_e32 v19, v19, v21
	v_min_u32_e32 v21, 32, v22
	v_or_b32_e32 v18, v18, v19
	v_not_b32_e32 v19, v21
	v_mul_f32_e32 v22, 0x3fc90fda, v18
	v_add_lshl_u32 v20, v21, v20, 23
	v_alignbit_b32 v14, v16, v14, v19
	v_fma_f32 v16, 0x3fc90fda, v18, -v22
	v_sub_nc_u32_e32 v15, v15, v20
	v_lshrrev_b32_e32 v14, 9, v14
	v_fmamk_f32 v16, v18, 0x33a22168, v16
	v_or_b32_e32 v14, v15, v14
	v_fmac_f32_e32 v16, 0x3fc90fda, v14
	v_lshrrev_b32_e32 v14, 30, v12
	v_add_f32_e32 v12, v22, v16
	v_add_nc_u32_e32 v14, v17, v14
	s_andn2_saveexec_b32 s0, s2
	s_cbranch_execnz .LBB19_156
	s_branch .LBB19_157
.LBB19_155:
	s_andn2_saveexec_b32 s0, s2
.LBB19_156:
	v_mul_f32_e64 v12, 0x3f22f983, |v5|
	v_rndne_f32_e32 v14, v12
	v_fma_f32 v12, 0xbfc90fda, v14, |v5|
	v_fmamk_f32 v12, v14, 0xb3a22168, v12
	v_fmamk_f32 v12, v14, 0xa7c234c4, v12
	v_cvt_i32_f32_e32 v14, v14
.LBB19_157:
	s_or_b32 exec_lo, exec_lo, s0
	v_div_scale_f32 v15, null, v9, v9, 1.0
	v_div_scale_f32 v18, vcc_lo, 1.0, v9, 1.0
	v_mul_f32_e32 v21, 0x4f800000, v7
	v_rcp_f32_e32 v16, v15
	v_mul_f32_e32 v20, v10, v10
	s_mov_b32 s0, 0xb94c1982
	s_mov_b32 s1, 0x37d75334
	v_and_b32_e32 v22, 1, v14
	v_xor_b32_e32 v11, v11, v5
	v_lshlrev_b32_e32 v14, 30, v14
	v_fma_f32 v17, -v15, v16, 1.0
	v_and_b32_e32 v14, 0x80000000, v14
	v_fmac_f32_e32 v16, v17, v16
	v_mul_f32_e32 v17, v18, v16
	v_fma_f32 v19, -v15, v17, v18
	v_fmac_f32_e32 v17, v19, v16
	v_and_b32_e32 v19, 1, v13
	v_lshlrev_b32_e32 v13, 30, v13
	v_fma_f32 v15, -v15, v17, v18
	v_mul_f32_e32 v18, v12, v12
	v_cmp_eq_u32_e64 s2, 0, v19
	v_and_b32_e32 v13, 0x80000000, v13
	v_div_fmas_f32 v15, v15, v16, v17
	v_cmp_gt_f32_e32 vcc_lo, 0xf800000, v7
	v_fmaak_f32 v16, s0, v20, 0x3c0881c4
	v_fmaak_f32 v17, s1, v20, 0xbab64f3b
	v_div_fixup_f32 v9, v15, v9, 1.0
	v_cndmask_b32_e32 v7, v7, v21, vcc_lo
	v_fmaak_f32 v15, s0, v18, 0x3c0881c4
	v_fmaak_f32 v21, s1, v18, 0xbab64f3b
	;; [unrolled: 1-line block ×3, first 2 shown]
	v_mul_f32_e32 v23, v9, v9
	v_sqrt_f32_e32 v24, v7
	v_fmaak_f32 v17, v20, v17, 0x3d2aabf7
	v_fmaak_f32 v15, v18, v15, 0xbe2aaa9d
	v_fmaak_f32 v21, v18, v21, 0x3d2aabf7
	v_fmaak_f32 v25, 0, v23, 0x3ca1a92f
	v_fmaak_f32 v26, 0, v23, 0xbe06db67
	v_fmaak_f32 v27, 0, v23, 0x4155b259
	v_fmaak_f32 v28, 0, v23, 0x4114f160
	v_mul_f32_e32 v16, v20, v16
	v_fmaak_f32 v25, v23, v25, 0x3ec83ea8
	v_fmaak_f32 v26, v23, v26, 0xbf205f75
	;; [unrolled: 1-line block ×4, first 2 shown]
	v_add_nc_u32_e32 v29, -1, v24
	v_fmaak_f32 v25, v23, v25, 0x3f886c1a
	v_fmaak_f32 v26, v23, v26, 0xbf3172ce
	;; [unrolled: 1-line block ×4, first 2 shown]
	v_add_nc_u32_e32 v30, 1, v24
	v_fmaak_f32 v25, v23, v25, 0x3f706d65
	v_fmaak_f32 v26, v23, v26, 0xbe8f3f52
	v_fma_f32 v31, -v29, v24, v7
	v_fmaak_f32 v27, v23, v27, 0x4112fe41
	v_fmaak_f32 v28, v23, v28, 0x40af4271
	;; [unrolled: 1-line block ×4, first 2 shown]
	v_fma_f32 v32, -v30, v24, v7
	v_cmp_ge_f32_e64 s0, 0, v31
	v_fmaak_f32 v27, v23, v27, 0x3fbcd65a
	v_fmaak_f32 v25, v23, v25, 0x3d81d209
	;; [unrolled: 1-line block ×4, first 2 shown]
	v_cndmask_b32_e64 v24, v24, v29, s0
	v_cmp_lt_f32_e64 s0, 0, v32
	v_fmaak_f32 v25, v23, v25, 0x3bbff4d0
	v_fmaak_f32 v27, v23, v27, 0x3deced66
	;; [unrolled: 1-line block ×4, first 2 shown]
	v_cndmask_b32_e64 v24, v24, v30, s0
	v_fmaak_f32 v25, v23, v25, 0x39944bb3
	v_fmaak_f32 v27, v23, v27, 0x3b904657
	;; [unrolled: 1-line block ×4, first 2 shown]
	v_mul_f32_e32 v29, 0x37800000, v24
	v_fmaak_f32 v25, v23, v25, 0x36ea79eb
	v_fmaak_f32 v27, v23, v27, 0x389e46bd
	v_fmaak_f32 v28, v23, v28, 0x38d45b0f
	v_fmaak_f32 v26, v23, v26, 0xb29020e8
	v_cndmask_b32_e32 v24, v24, v29, vcc_lo
	v_fmaak_f32 v25, v23, v25, 0x33ae5496
	v_cmp_class_f32_e64 vcc_lo, v7, 0x260
	v_fmaak_f32 v27, v23, v27, 0x34f295ce
	v_fmaak_f32 v28, v23, v28, 0x359d422f
	v_mul_f32_e32 v26, v23, v26
	v_fmaak_f32 v25, v23, v25, 0x2fbbc524
	v_cndmask_b32_e32 v7, v24, v7, vcc_lo
	v_fmaak_f32 v17, v20, v17, 0xbf000004
	v_fmaak_f32 v23, v23, v28, 0x31a8fe3a
	v_div_scale_f32 v24, null, v27, v27, v26
	v_mul_f32_e32 v9, v9, v25
	v_div_scale_f32 v25, null, v7, v7, 0x3f106ebb
	v_rcp_f32_e32 v28, v24
	v_mul_f32_e32 v15, v18, v15
	v_div_scale_f32 v29, null, v23, v23, v9
	v_rcp_f32_e32 v30, v25
	v_fmaak_f32 v21, v18, v21, 0xbf000004
	v_fmac_f32_e32 v10, v10, v16
	v_fma_f32 v16, v20, v17, 1.0
	v_rcp_f32_e32 v17, v29
	v_fmac_f32_e32 v12, v12, v15
	v_fma_f32 v15, v18, v21, 1.0
	v_fma_f32 v18, -v24, v28, 1.0
	v_div_scale_f32 v31, vcc_lo, v26, v27, v26
	v_fma_f32 v21, -v25, v30, 1.0
	v_div_scale_f32 v20, s0, 0x3f106ebb, v7, 0x3f106ebb
	v_fmac_f32_e32 v28, v18, v28
	v_fma_f32 v18, -v29, v17, 1.0
	v_fmac_f32_e32 v30, v21, v30
	v_div_scale_f32 v21, s1, v9, v23, v9
	v_mul_f32_e32 v32, v31, v28
	v_fmac_f32_e32 v17, v18, v17
	v_mul_f32_e32 v18, v20, v30
	v_cndmask_b32_e64 v10, v16, v10, s2
	v_cmp_eq_u32_e64 s2, 0, v22
	v_fma_f32 v16, -v24, v32, v31
	v_mul_f32_e32 v19, v21, v17
	v_fma_f32 v33, -v25, v18, v20
	v_xor3_b32 v10, v11, v13, v10
	v_cndmask_b32_e64 v12, -v12, v15, s2
	v_fmac_f32_e32 v32, v16, v28
	v_fma_f32 v15, -v29, v19, v21
	v_fmac_f32_e32 v18, v33, v30
	v_cmp_class_f32_e64 s2, v5, 0x1f8
	v_xor_b32_e32 v12, v14, v12
	v_fma_f32 v5, -v24, v32, v31
	v_fmac_f32_e32 v19, v15, v17
	v_fma_f32 v11, -v25, v18, v20
	v_cndmask_b32_e64 v10, 0x7fc00000, v10, s2
	v_cndmask_b32_e64 v12, 0x7fc00000, v12, s2
	v_div_fmas_f32 v5, v5, v28, v32
	v_fma_f32 v13, -v29, v19, v21
	s_mov_b32 vcc_lo, s0
	v_div_fmas_f32 v11, v11, v30, v18
	s_mov_b32 vcc_lo, s1
	v_div_fixup_f32 v5, v5, v27, v26
	v_div_fmas_f32 v13, v13, v17, v19
	v_div_fixup_f32 v7, v11, v7, 0x3f106ebb
	v_add_f32_e32 v5, 1.0, v5
	v_div_fixup_f32 v9, v13, v23, v9
	v_mul_f32_e32 v9, v9, v12
	v_fma_f32 v5, v5, v10, -v9
	v_mul_f32_e32 v7, v7, v5
.LBB19_158:
	s_or_b32 exec_lo, exec_lo, s7
.LBB19_159:
	s_or_b32 exec_lo, exec_lo, s6
.LBB19_160:
	s_or_b32 exec_lo, exec_lo, s3
	global_store_dword v0, v6, s[4:5]
	global_store_dword v1, v4, s[4:5]
	;; [unrolled: 1-line block ×4, first 2 shown]
	s_endpgm
.LBB19_161:
	v_mov_b32_e32 v0, 0
	v_mov_b32_e32 v2, 0
	s_branch .LBB19_167
.LBB19_162:
	v_mov_b32_e32 v0, 0
	v_mov_b32_e32 v2, 0
	s_branch .LBB19_187
.LBB19_163:
	v_mov_b32_e32 v0, 0
	v_mov_b32_e32 v2, 0
	;; [unrolled: 1-line block ×3, first 2 shown]
	s_mov_b32 s31, 0
.LBB19_164:
	s_and_b32 s33, s33, 3
	s_cmp_eq_u32 s33, 0
	s_cbranch_scc1 .LBB19_167
; %bb.165:
	s_lshl_b32 s0, s31, 3
	s_mul_i32 s2, s31, 12
	s_add_u32 s0, s16, s0
	s_addc_u32 s1, s17, 0
	s_add_u32 s0, s0, 0xc4
	s_addc_u32 s1, s1, 0
	;; [unrolled: 2-line block ×3, first 2 shown]
	.p2align	6
.LBB19_166:                             ; =>This Inner Loop Header: Depth=1
	s_clause 0x1
	s_load_dwordx2 s[34:35], s[2:3], 0x4
	s_load_dword s31, s[2:3], 0xc
	s_load_dwordx2 s[36:37], s[0:1], 0x0
	s_add_u32 s2, s2, 12
	s_addc_u32 s3, s3, 0
	s_add_u32 s0, s0, 8
	s_addc_u32 s1, s1, 0
	s_add_i32 s33, s33, -1
	s_cmp_lg_u32 s33, 0
	s_waitcnt lgkmcnt(0)
	v_mul_hi_u32 v3, s35, v1
	v_add_nc_u32_e32 v3, v1, v3
	v_lshrrev_b32_e32 v5, s31, v3
	v_mul_lo_u32 v3, v5, s34
	v_sub_nc_u32_e32 v3, v1, v3
	v_mad_u64_u32 v[0:1], null, v3, s36, v[0:1]
	v_mad_u64_u32 v[2:3], null, v3, s37, v[2:3]
	v_mov_b32_e32 v1, v5
	s_cbranch_scc1 .LBB19_166
.LBB19_167:
	s_cbranch_execnz .LBB19_170
.LBB19_168:
	s_waitcnt lgkmcnt(0)
	v_mul_hi_u32 v0, s13, v4
	s_andn2_b32 vcc_lo, exec_lo, s26
	v_add_nc_u32_e32 v0, v4, v0
	v_lshrrev_b32_e32 v1, s14, v0
	v_mul_lo_u32 v0, v1, s12
	v_sub_nc_u32_e32 v2, v4, v0
	v_mul_lo_u32 v0, v2, s8
	v_mul_lo_u32 v2, v2, s9
	s_cbranch_vccnz .LBB19_170
; %bb.169:
	v_mul_hi_u32 v3, s18, v1
	v_add_nc_u32_e32 v3, v1, v3
	v_lshrrev_b32_e32 v3, s19, v3
	v_mul_lo_u32 v3, v3, s15
	v_sub_nc_u32_e32 v3, v1, v3
	v_mad_u64_u32 v[0:1], null, v3, s10, v[0:1]
	v_mad_u64_u32 v[2:3], null, v3, s11, v[2:3]
.LBB19_170:
	s_waitcnt lgkmcnt(0)
	global_load_dword v1, v2, s[6:7]
	v_mov_b32_e32 v2, 0x7fc00000
	s_mov_b32 s3, exec_lo
	s_waitcnt vmcnt(0)
	v_cmpx_neq_f32_e64 0x7f800000, |v1|
	s_cbranch_execz .LBB19_216
; %bb.171:
	v_mov_b32_e32 v2, 0
	s_mov_b32 s31, exec_lo
	v_cmpx_nlt_f32_e32 0x42cfc8b4, v1
	s_cbranch_execz .LBB19_215
; %bb.172:
                                        ; implicit-def: $vgpr2
	s_mov_b32 s0, exec_lo
	v_cmpx_ngt_f32_e32 0xc005c28f, v1
	s_xor_b32 s2, exec_lo, s0
	s_cbranch_execz .LBB19_180
; %bb.173:
	v_cmp_nle_f32_e64 s33, 0x4005c28f, v1
	v_mov_b32_e32 v2, 0
	s_mov_b32 s34, exec_lo
	s_mov_b32 s0, s33
	v_cmpx_le_f32_e32 0x4005c28f, v1
	s_cbranch_execz .LBB19_175
; %bb.174:
	v_mul_f32_e32 v2, 0x4f800000, v1
	v_cmp_gt_f32_e32 vcc_lo, 0xf800000, v1
	v_cndmask_b32_e32 v2, v1, v2, vcc_lo
	v_sqrt_f32_e32 v3, v2
	v_add_nc_u32_e32 v5, -1, v3
	v_add_nc_u32_e32 v6, 1, v3
	v_fma_f32 v7, -v5, v3, v2
	v_fma_f32 v8, -v6, v3, v2
	v_cmp_ge_f32_e64 s0, 0, v7
	v_cndmask_b32_e64 v3, v3, v5, s0
	v_cmp_lt_f32_e64 s0, 0, v8
	v_cndmask_b32_e64 v3, v3, v6, s0
	v_mul_f32_e32 v5, 0x37800000, v3
	v_cndmask_b32_e32 v3, v3, v5, vcc_lo
	v_cmp_class_f32_e64 vcc_lo, v2, 0x260
	v_add_f32_e32 v5, v1, v1
	v_cndmask_b32_e32 v2, v3, v2, vcc_lo
	v_mul_f32_e32 v3, v5, v2
	v_div_scale_f32 v5, null, 0x40400000, 0x40400000, v3
	v_div_scale_f32 v8, vcc_lo, v3, 0x40400000, v3
	v_rcp_f32_e32 v6, v5
	v_fma_f32 v7, -v5, v6, 1.0
	v_fmac_f32_e32 v6, v7, v6
	v_mul_f32_e32 v7, v8, v6
	v_fma_f32 v9, -v5, v7, v8
	v_fmac_f32_e32 v7, v9, v6
	v_fma_f32 v5, -v5, v7, v8
	v_div_fmas_f32 v5, v5, v6, v7
	v_div_fixup_f32 v3, v5, 0x40400000, v3
	v_div_scale_f32 v5, null, v3, v3, 1.0
	v_div_scale_f32 v8, vcc_lo, 1.0, v3, 1.0
	v_mul_f32_e32 v12, 0x3fb8aa3b, v3
	v_rcp_f32_e32 v6, v5
	v_fma_f32 v15, 0x3fb8aa3b, v3, -v12
	v_rndne_f32_e32 v16, v12
	v_sub_f32_e32 v12, v12, v16
	v_fma_f32 v7, -v5, v6, 1.0
	v_fmac_f32_e32 v6, v7, v6
	v_mul_f32_e32 v7, v8, v6
	v_fma_f32 v9, -v5, v7, v8
	v_fmac_f32_e32 v7, v9, v6
	v_fma_f32 v5, -v5, v7, v8
	v_mul_f32_e32 v8, 0x4f800000, v2
	v_div_fmas_f32 v5, v5, v6, v7
	v_cmp_gt_f32_e32 vcc_lo, 0xf800000, v2
	v_div_fixup_f32 v5, v5, v3, 1.0
	v_cndmask_b32_e32 v2, v2, v8, vcc_lo
	v_fmaak_f32 v6, 0, v5, 0x3f114de0
	v_fmaak_f32 v7, 0, v5, 0x3eb16d71
	v_sqrt_f32_e32 v8, v2
	v_fmaak_f32 v6, v5, v6, 0x416c19a0
	v_fmaak_f32 v7, v5, v7, 0x41401f1c
	;; [unrolled: 1-line block ×4, first 2 shown]
	v_add_nc_u32_e32 v9, -1, v8
	v_add_nc_u32_e32 v10, 1, v8
	v_fmaak_f32 v6, v5, v6, 0x4331516e
	v_fmaak_f32 v7, v5, v7, 0x432816d7
	v_fma_f32 v13, -v9, v8, v2
	v_fma_f32 v14, -v10, v8, v2
	v_fmaak_f32 v6, v5, v6, 0x43243c15
	v_fmaak_f32 v7, v5, v7, 0x431fc1a3
	v_cmp_ge_f32_e64 s0, 0, v13
	v_fmamk_f32 v13, v3, 0x32a5705f, v15
	v_cmp_lt_f32_e64 s1, 0, v14
	v_fmaak_f32 v6, v5, v6, 0x428ef4a7
	v_fmaak_f32 v7, v5, v7, 0x428d127a
	v_cndmask_b32_e64 v8, v8, v9, s0
	v_cvt_i32_f32_e32 v14, v16
	v_fmaak_f32 v6, v5, v6, 0x416188dd
	v_fmaak_f32 v7, v5, v7, 0x41606c6b
	v_cndmask_b32_e64 v8, v8, v10, s1
	v_fma_f32 v6, v5, v6, 1.0
	v_fma_f32 v5, v5, v7, 1.0
	v_div_scale_f32 v7, null, v6, v6, v5
	v_div_scale_f32 v15, s0, v5, v6, v5
	v_rcp_f32_e32 v11, v7
	v_fma_f32 v9, -v7, v11, 1.0
	v_fmac_f32_e32 v11, v9, v11
	v_add_f32_e32 v9, v12, v13
	v_mul_f32_e32 v12, 0x37800000, v8
	v_mul_f32_e32 v10, v15, v11
	v_exp_f32_e32 v9, v9
	v_cndmask_b32_e32 v8, v8, v12, vcc_lo
	v_cmp_class_f32_e64 vcc_lo, v2, 0x260
	v_fma_f32 v13, -v7, v10, v15
	v_cndmask_b32_e32 v2, v8, v2, vcc_lo
	v_cmp_ngt_f32_e32 vcc_lo, 0xc2ce8ed0, v3
	v_fmac_f32_e32 v10, v13, v11
	v_ldexp_f32 v9, v9, v14
	v_add_f32_e32 v2, v2, v2
	v_fma_f32 v7, -v7, v10, v15
	v_cndmask_b32_e32 v8, 0, v9, vcc_lo
	s_mov_b32 vcc_lo, s0
	s_andn2_b32 s0, s33, exec_lo
	v_div_fmas_f32 v7, v7, v11, v10
	v_cmp_nlt_f32_e32 vcc_lo, 0x42b17218, v3
	v_div_fixup_f32 v5, v7, v6, v5
	v_cndmask_b32_e32 v3, 0x7f800000, v8, vcc_lo
	v_mul_f32_e32 v2, v2, v3
	v_mul_f32_e32 v3, 0x3f106ebb, v5
	v_div_scale_f32 v5, null, v2, v2, v3
	v_div_scale_f32 v8, vcc_lo, v3, v2, v3
	v_rcp_f32_e32 v6, v5
	v_fma_f32 v7, -v5, v6, 1.0
	v_fmac_f32_e32 v6, v7, v6
	v_mul_f32_e32 v7, v8, v6
	v_fma_f32 v9, -v5, v7, v8
	v_fmac_f32_e32 v7, v9, v6
	v_fma_f32 v5, -v5, v7, v8
	v_div_fmas_f32 v5, v5, v6, v7
	v_cmp_nlt_f32_e32 vcc_lo, 0x41052018, v1
	v_div_fixup_f32 v2, v5, v2, v3
	s_and_b32 s1, vcc_lo, exec_lo
	s_or_b32 s0, s0, s1
.LBB19_175:
	s_or_b32 exec_lo, exec_lo, s34
	s_and_saveexec_b32 s1, s0
	s_cbranch_execz .LBB19_179
; %bb.176:
	v_mul_f32_e32 v5, v1, v1
	v_mov_b32_e32 v7, 1.0
	v_mov_b32_e32 v8, 1.0
	v_mov_b32_e32 v3, v1
	s_mov_b32 s34, 0
	v_mul_f32_e32 v6, v1, v5
	v_mov_b32_e32 v5, 1.0
.LBB19_177:                             ; =>This Inner Loop Header: Depth=1
	v_mul_f32_e32 v7, v6, v7
	v_add_f32_e32 v8, 1.0, v8
	v_mul_f32_e32 v1, v6, v1
	v_div_scale_f32 v9, null, v8, v8, v7
	v_div_scale_f32 v12, vcc_lo, v7, v8, v7
	v_add_f32_e32 v11, 1.0, v8
	v_rcp_f32_e32 v10, v9
	v_div_scale_f32 v13, null, v11, v11, v1
	v_fma_f32 v14, -v9, v10, 1.0
	v_fmac_f32_e32 v10, v14, v10
	v_mul_f32_e32 v14, v12, v10
	v_fma_f32 v15, -v9, v14, v12
	v_fmac_f32_e32 v14, v15, v10
	v_fma_f32 v9, -v9, v14, v12
	v_div_fmas_f32 v9, v9, v10, v14
	v_div_scale_f32 v12, vcc_lo, v1, v11, v1
	v_div_fixup_f32 v7, v9, v8, v7
	v_rcp_f32_e32 v9, v13
	v_div_scale_f32 v8, null, v11, v11, v7
	v_div_scale_f32 v15, s0, v7, v11, v7
	v_rcp_f32_e32 v10, v8
	v_fma_f32 v14, -v13, v9, 1.0
	v_fmac_f32_e32 v9, v14, v9
	v_fma_f32 v14, -v8, v10, 1.0
	v_fmac_f32_e32 v10, v14, v10
	v_mul_f32_e32 v14, v12, v9
	v_mul_f32_e32 v16, v15, v10
	v_fma_f32 v17, -v13, v14, v12
	v_fma_f32 v18, -v8, v16, v15
	v_fmac_f32_e32 v14, v17, v9
	v_fmac_f32_e32 v16, v18, v10
	v_fma_f32 v12, -v13, v14, v12
	v_fma_f32 v8, -v8, v16, v15
	v_div_fmas_f32 v9, v12, v9, v14
	s_mov_b32 vcc_lo, s0
	v_div_fmas_f32 v10, v8, v10, v16
	v_add_f32_e32 v8, 1.0, v11
	v_div_fixup_f32 v1, v9, v11, v1
	v_div_fixup_f32 v7, v10, v11, v7
	v_div_scale_f32 v9, null, v8, v8, v1
	v_div_scale_f32 v13, vcc_lo, v1, v8, v1
	v_add_f32_e32 v5, v5, v7
	v_rcp_f32_e32 v11, v9
	v_div_scale_f32 v10, null, v5, v5, v7
	v_rcp_f32_e32 v12, v10
	v_fma_f32 v14, -v9, v11, 1.0
	v_fmac_f32_e32 v11, v14, v11
	v_div_scale_f32 v14, s0, v7, v5, v7
	v_fma_f32 v15, -v10, v12, 1.0
	v_fmac_f32_e32 v12, v15, v12
	v_mul_f32_e32 v15, v13, v11
	v_mul_f32_e32 v16, v14, v12
	v_fma_f32 v17, -v9, v15, v13
	v_fma_f32 v18, -v10, v16, v14
	v_fmac_f32_e32 v15, v17, v11
	v_fmac_f32_e32 v16, v18, v12
	v_fma_f32 v9, -v9, v15, v13
	v_fma_f32 v10, -v10, v16, v14
	v_div_fmas_f32 v9, v9, v11, v15
	s_mov_b32 vcc_lo, s0
	v_div_fmas_f32 v10, v10, v12, v16
	v_div_fixup_f32 v1, v9, v8, v1
	v_div_fixup_f32 v10, v10, v5, v7
	v_add_f32_e32 v3, v3, v1
	v_cmp_nlt_f32_e64 s0, 0x34000000, |v10|
	s_or_b32 s34, s0, s34
	s_andn2_b32 exec_lo, exec_lo, s34
	s_cbranch_execnz .LBB19_177
; %bb.178:
	s_or_b32 exec_lo, exec_lo, s34
	v_mul_f32_e32 v1, 0xbe8483fa, v3
	v_fmamk_f32 v1, v5, 0x3eb5c63d, v1
	v_cndmask_b32_e64 v2, v2, v1, s33
.LBB19_179:
	s_or_b32 exec_lo, exec_lo, s1
                                        ; implicit-def: $vgpr1
.LBB19_180:
	s_andn2_saveexec_b32 s33, s2
	s_cbranch_execz .LBB19_214
; %bb.181:
	v_mul_f32_e32 v2, 0xcf800000, v1
	v_cmp_lt_f32_e32 vcc_lo, 0x8f800000, v1
	v_cndmask_b32_e64 v2, -v1, v2, vcc_lo
	v_mul_f32_e32 v1, -2.0, v1
	v_sqrt_f32_e32 v3, v2
	v_add_nc_u32_e32 v5, -1, v3
	v_add_nc_u32_e32 v6, 1, v3
	v_fma_f32 v7, -v5, v3, v2
	v_fma_f32 v8, -v6, v3, v2
	v_cmp_ge_f32_e64 s0, 0, v7
	v_cndmask_b32_e64 v3, v3, v5, s0
	v_cmp_lt_f32_e64 s0, 0, v8
	v_cndmask_b32_e64 v3, v3, v6, s0
	v_mul_f32_e32 v5, 0x37800000, v3
	v_cndmask_b32_e32 v3, v3, v5, vcc_lo
	v_cmp_class_f32_e64 vcc_lo, v2, 0x260
	v_cndmask_b32_e32 v2, v3, v2, vcc_lo
	v_mul_f32_e32 v1, v1, v2
	v_div_scale_f32 v3, null, 0x40400000, 0x40400000, v1
	v_div_scale_f32 v7, vcc_lo, v1, 0x40400000, v1
	v_rcp_f32_e32 v5, v3
	v_fma_f32 v6, -v3, v5, 1.0
	v_fmac_f32_e32 v5, v6, v5
	v_mul_f32_e32 v6, v7, v5
	v_fma_f32 v8, -v3, v6, v7
	v_fmac_f32_e32 v6, v8, v5
                                        ; implicit-def: $vgpr8
	v_fma_f32 v3, -v3, v6, v7
	v_div_fmas_f32 v3, v3, v5, v6
                                        ; implicit-def: $vgpr5
	v_div_fixup_f32 v3, v3, 0x40400000, v1
	v_add_f32_e32 v1, 0x3f490fdb, v3
	v_and_b32_e32 v6, 0x7fffffff, v1
	v_cmp_ngt_f32_e64 s2, 0x48000000, |v1|
	s_and_saveexec_b32 s0, s2
	s_xor_b32 s34, exec_lo, s0
	s_cbranch_execz .LBB19_203
; %bb.182:
	s_mov_b32 s0, 0x7fffff
	v_mov_b32_e32 v9, 0
	v_and_or_b32 v5, v6, s0, 0x800000
	v_lshrrev_b32_e32 v14, 23, v6
	v_mad_u64_u32 v[7:8], null, 0xfe5163ab, v5, 0
	v_add_nc_u32_e32 v15, 0xffffff88, v14
	v_cmp_lt_u32_e32 vcc_lo, 63, v15
	v_mad_u64_u32 v[10:11], null, 0x3c439041, v5, v[8:9]
	v_cndmask_b32_e64 v16, 0, 0xffffffc0, vcc_lo
	v_mov_b32_e32 v8, v11
	v_add_nc_u32_e32 v16, v16, v15
	v_mad_u64_u32 v[11:12], null, 0xdb629599, v5, v[8:9]
	v_cmp_lt_u32_e64 s0, 31, v16
	v_cndmask_b32_e64 v17, 0, 0xffffffe0, s0
	v_mov_b32_e32 v8, v12
	v_cndmask_b32_e32 v7, v11, v7, vcc_lo
	v_mad_u64_u32 v[12:13], null, 0xf534ddc0, v5, v[8:9]
	v_mov_b32_e32 v8, v13
	v_cndmask_b32_e32 v10, v12, v10, vcc_lo
	v_mad_u64_u32 v[13:14], null, 0xfc2757d1, v5, v[8:9]
	v_cndmask_b32_e64 v7, v10, v7, s0
	v_mov_b32_e32 v8, v14
	v_mad_u64_u32 v[14:15], null, 0x4e441529, v5, v[8:9]
	v_mov_b32_e32 v8, v15
	v_add_nc_u32_e32 v15, v17, v16
	v_cndmask_b32_e32 v16, v14, v12, vcc_lo
	v_mad_u64_u32 v[8:9], null, 0xa2f9836e, v5, v[8:9]
	v_cmp_lt_u32_e64 s1, 31, v15
	v_cndmask_b32_e64 v5, 0, 0xffffffe0, s1
	v_cndmask_b32_e32 v8, v8, v13, vcc_lo
	v_cndmask_b32_e32 v9, v9, v14, vcc_lo
	v_cndmask_b32_e32 v13, v13, v11, vcc_lo
	v_add_nc_u32_e32 v5, v5, v15
	v_cndmask_b32_e64 v12, v8, v16, s0
	v_cndmask_b32_e64 v8, v9, v8, s0
	;; [unrolled: 1-line block ×4, first 2 shown]
	v_sub_nc_u32_e32 v14, 32, v5
	v_cmp_eq_u32_e32 vcc_lo, 0, v5
	v_cndmask_b32_e64 v8, v8, v12, s1
	v_cndmask_b32_e64 v12, v12, v9, s1
	;; [unrolled: 1-line block ×4, first 2 shown]
	v_alignbit_b32 v15, v8, v12, v14
	v_alignbit_b32 v11, v12, v9, v14
	;; [unrolled: 1-line block ×3, first 2 shown]
	v_cndmask_b32_e32 v5, v15, v8, vcc_lo
	v_cndmask_b32_e32 v8, v11, v12, vcc_lo
	;; [unrolled: 1-line block ×3, first 2 shown]
	v_bfe_u32 v10, v5, 29, 1
	v_alignbit_b32 v11, v5, v8, 30
	v_alignbit_b32 v8, v8, v9, 30
	;; [unrolled: 1-line block ×3, first 2 shown]
	v_sub_nc_u32_e32 v12, 0, v10
	v_xor_b32_e32 v11, v11, v12
	v_xor_b32_e32 v8, v8, v12
	;; [unrolled: 1-line block ×3, first 2 shown]
	v_lshrrev_b32_e32 v12, 29, v5
	v_ffbh_u32_e32 v13, v11
	v_min_u32_e32 v13, 32, v13
	v_sub_nc_u32_e32 v9, 31, v13
	v_lshlrev_b32_e32 v14, 23, v13
	v_alignbit_b32 v11, v11, v8, v9
	v_alignbit_b32 v7, v8, v7, v9
	v_lshlrev_b32_e32 v8, 31, v12
	v_alignbit_b32 v9, v11, v7, 9
	v_or_b32_e32 v12, 0.5, v8
	v_lshrrev_b32_e32 v11, 9, v11
	v_or_b32_e32 v8, 0x33000000, v8
	v_ffbh_u32_e32 v15, v9
	v_sub_nc_u32_e32 v12, v12, v14
	v_min_u32_e32 v14, 32, v15
	v_or_b32_e32 v11, v11, v12
	v_not_b32_e32 v12, v14
	v_mul_f32_e32 v15, 0x3fc90fda, v11
	v_add_lshl_u32 v13, v14, v13, 23
	v_alignbit_b32 v7, v9, v7, v12
	v_fma_f32 v9, 0x3fc90fda, v11, -v15
	v_sub_nc_u32_e32 v8, v8, v13
	v_lshrrev_b32_e32 v7, 9, v7
	v_fmamk_f32 v9, v11, 0x33a22168, v9
	v_or_b32_e32 v7, v8, v7
	v_fmac_f32_e32 v9, 0x3fc90fda, v7
	v_lshrrev_b32_e32 v7, 30, v5
	v_add_f32_e32 v5, v15, v9
	v_add_nc_u32_e32 v8, v10, v7
	s_andn2_saveexec_b32 s0, s34
	s_branch .LBB19_204
.LBB19_183:
	v_mov_b32_e32 v0, 0
	v_mov_b32_e32 v2, 0
	;; [unrolled: 1-line block ×3, first 2 shown]
	s_mov_b32 s31, 0
.LBB19_184:
	s_and_b32 s33, s33, 3
	s_cmp_eq_u32 s33, 0
	s_cbranch_scc1 .LBB19_187
; %bb.185:
	s_lshl_b32 s0, s31, 3
	s_mul_i32 s2, s31, 12
	s_add_u32 s0, s16, s0
	s_addc_u32 s1, s17, 0
	s_add_u32 s0, s0, 0xc4
	s_addc_u32 s1, s1, 0
	;; [unrolled: 2-line block ×3, first 2 shown]
	.p2align	6
.LBB19_186:                             ; =>This Inner Loop Header: Depth=1
	s_clause 0x1
	s_load_dwordx2 s[34:35], s[2:3], 0x4
	s_load_dword s31, s[2:3], 0xc
	s_load_dwordx2 s[36:37], s[0:1], 0x0
	s_add_u32 s2, s2, 12
	s_addc_u32 s3, s3, 0
	s_add_u32 s0, s0, 8
	s_addc_u32 s1, s1, 0
	s_add_i32 s33, s33, -1
	s_cmp_lg_u32 s33, 0
	s_waitcnt lgkmcnt(0)
	v_mul_hi_u32 v3, s35, v1
	v_add_nc_u32_e32 v3, v1, v3
	v_lshrrev_b32_e32 v5, s31, v3
	v_mul_lo_u32 v3, v5, s34
	v_sub_nc_u32_e32 v3, v1, v3
	v_mad_u64_u32 v[0:1], null, v3, s36, v[0:1]
	v_mad_u64_u32 v[2:3], null, v3, s37, v[2:3]
	v_mov_b32_e32 v1, v5
	s_cbranch_scc1 .LBB19_186
.LBB19_187:
	s_cbranch_execnz .LBB19_190
.LBB19_188:
	s_waitcnt lgkmcnt(0)
	v_mul_hi_u32 v0, s13, v4
	s_andn2_b32 vcc_lo, exec_lo, s26
	v_add_nc_u32_e32 v0, v4, v0
	v_lshrrev_b32_e32 v1, s14, v0
	v_mul_lo_u32 v0, v1, s12
	v_sub_nc_u32_e32 v2, v4, v0
	v_mul_lo_u32 v0, v2, s8
	v_mul_lo_u32 v2, v2, s9
	s_cbranch_vccnz .LBB19_190
; %bb.189:
	v_mul_hi_u32 v3, s18, v1
	v_add_nc_u32_e32 v3, v1, v3
	v_lshrrev_b32_e32 v3, s19, v3
	v_mul_lo_u32 v3, v3, s15
	v_sub_nc_u32_e32 v3, v1, v3
	v_mad_u64_u32 v[0:1], null, v3, s10, v[0:1]
	v_mad_u64_u32 v[2:3], null, v3, s11, v[2:3]
.LBB19_190:
	s_waitcnt lgkmcnt(0)
	global_load_dword v1, v2, s[6:7]
	v_mov_b32_e32 v2, 0x7fc00000
	s_mov_b32 s3, exec_lo
	s_waitcnt vmcnt(0)
	v_cmpx_neq_f32_e64 0x7f800000, |v1|
	s_cbranch_execz .LBB19_250
; %bb.191:
	v_mov_b32_e32 v2, 0
	s_mov_b32 s31, exec_lo
	v_cmpx_nlt_f32_e32 0x42cfc8b4, v1
	s_cbranch_execz .LBB19_249
; %bb.192:
                                        ; implicit-def: $vgpr2
	s_mov_b32 s0, exec_lo
	v_cmpx_ngt_f32_e32 0xc005c28f, v1
	s_xor_b32 s2, exec_lo, s0
	s_cbranch_execz .LBB19_200
; %bb.193:
	v_cmp_nle_f32_e64 s33, 0x4005c28f, v1
	v_mov_b32_e32 v2, 0
	s_mov_b32 s34, exec_lo
	s_mov_b32 s0, s33
	v_cmpx_le_f32_e32 0x4005c28f, v1
	s_cbranch_execz .LBB19_195
; %bb.194:
	v_mul_f32_e32 v2, 0x4f800000, v1
	v_cmp_gt_f32_e32 vcc_lo, 0xf800000, v1
	v_cndmask_b32_e32 v2, v1, v2, vcc_lo
	v_sqrt_f32_e32 v3, v2
	v_add_nc_u32_e32 v5, -1, v3
	v_add_nc_u32_e32 v6, 1, v3
	v_fma_f32 v7, -v5, v3, v2
	v_fma_f32 v8, -v6, v3, v2
	v_cmp_ge_f32_e64 s0, 0, v7
	v_cndmask_b32_e64 v3, v3, v5, s0
	v_cmp_lt_f32_e64 s0, 0, v8
	v_cndmask_b32_e64 v3, v3, v6, s0
	v_mul_f32_e32 v5, 0x37800000, v3
	v_cndmask_b32_e32 v3, v3, v5, vcc_lo
	v_cmp_class_f32_e64 vcc_lo, v2, 0x260
	v_add_f32_e32 v5, v1, v1
	v_cndmask_b32_e32 v2, v3, v2, vcc_lo
	v_mul_f32_e32 v3, v5, v2
	v_div_scale_f32 v5, null, 0x40400000, 0x40400000, v3
	v_div_scale_f32 v8, vcc_lo, v3, 0x40400000, v3
	v_rcp_f32_e32 v6, v5
	v_fma_f32 v7, -v5, v6, 1.0
	v_fmac_f32_e32 v6, v7, v6
	v_mul_f32_e32 v7, v8, v6
	v_fma_f32 v9, -v5, v7, v8
	v_fmac_f32_e32 v7, v9, v6
	v_fma_f32 v5, -v5, v7, v8
	v_div_fmas_f32 v5, v5, v6, v7
	v_div_fixup_f32 v3, v5, 0x40400000, v3
	v_div_scale_f32 v5, null, v3, v3, 1.0
	v_div_scale_f32 v8, vcc_lo, 1.0, v3, 1.0
	v_mul_f32_e32 v12, 0x3fb8aa3b, v3
	v_rcp_f32_e32 v6, v5
	v_fma_f32 v15, 0x3fb8aa3b, v3, -v12
	v_rndne_f32_e32 v16, v12
	v_sub_f32_e32 v12, v12, v16
	v_fma_f32 v7, -v5, v6, 1.0
	v_fmac_f32_e32 v6, v7, v6
	v_mul_f32_e32 v7, v8, v6
	v_fma_f32 v9, -v5, v7, v8
	v_fmac_f32_e32 v7, v9, v6
	v_fma_f32 v5, -v5, v7, v8
	v_mul_f32_e32 v8, 0x4f800000, v2
	v_div_fmas_f32 v5, v5, v6, v7
	v_cmp_gt_f32_e32 vcc_lo, 0xf800000, v2
	v_div_fixup_f32 v5, v5, v3, 1.0
	v_cndmask_b32_e32 v2, v2, v8, vcc_lo
	v_fmaak_f32 v6, 0, v5, 0x3f114de0
	v_fmaak_f32 v7, 0, v5, 0x3eb16d71
	v_sqrt_f32_e32 v8, v2
	v_fmaak_f32 v6, v5, v6, 0x416c19a0
	v_fmaak_f32 v7, v5, v7, 0x41401f1c
	;; [unrolled: 1-line block ×4, first 2 shown]
	v_add_nc_u32_e32 v9, -1, v8
	v_add_nc_u32_e32 v10, 1, v8
	v_fmaak_f32 v6, v5, v6, 0x4331516e
	v_fmaak_f32 v7, v5, v7, 0x432816d7
	v_fma_f32 v13, -v9, v8, v2
	v_fma_f32 v14, -v10, v8, v2
	v_fmaak_f32 v6, v5, v6, 0x43243c15
	v_fmaak_f32 v7, v5, v7, 0x431fc1a3
	v_cmp_ge_f32_e64 s0, 0, v13
	v_fmamk_f32 v13, v3, 0x32a5705f, v15
	v_cmp_lt_f32_e64 s1, 0, v14
	v_fmaak_f32 v6, v5, v6, 0x428ef4a7
	v_fmaak_f32 v7, v5, v7, 0x428d127a
	v_cndmask_b32_e64 v8, v8, v9, s0
	v_cvt_i32_f32_e32 v14, v16
	v_fmaak_f32 v6, v5, v6, 0x416188dd
	v_fmaak_f32 v7, v5, v7, 0x41606c6b
	v_cndmask_b32_e64 v8, v8, v10, s1
	v_fma_f32 v6, v5, v6, 1.0
	v_fma_f32 v5, v5, v7, 1.0
	v_div_scale_f32 v7, null, v6, v6, v5
	v_div_scale_f32 v15, s0, v5, v6, v5
	v_rcp_f32_e32 v11, v7
	v_fma_f32 v9, -v7, v11, 1.0
	v_fmac_f32_e32 v11, v9, v11
	v_add_f32_e32 v9, v12, v13
	v_mul_f32_e32 v12, 0x37800000, v8
	v_mul_f32_e32 v10, v15, v11
	v_exp_f32_e32 v9, v9
	v_cndmask_b32_e32 v8, v8, v12, vcc_lo
	v_cmp_class_f32_e64 vcc_lo, v2, 0x260
	v_fma_f32 v13, -v7, v10, v15
	v_cndmask_b32_e32 v2, v8, v2, vcc_lo
	v_cmp_ngt_f32_e32 vcc_lo, 0xc2ce8ed0, v3
	v_fmac_f32_e32 v10, v13, v11
	v_ldexp_f32 v9, v9, v14
	v_add_f32_e32 v2, v2, v2
	v_fma_f32 v7, -v7, v10, v15
	v_cndmask_b32_e32 v8, 0, v9, vcc_lo
	s_mov_b32 vcc_lo, s0
	s_andn2_b32 s0, s33, exec_lo
	v_div_fmas_f32 v7, v7, v11, v10
	v_cmp_nlt_f32_e32 vcc_lo, 0x42b17218, v3
	v_div_fixup_f32 v5, v7, v6, v5
	v_cndmask_b32_e32 v3, 0x7f800000, v8, vcc_lo
	v_mul_f32_e32 v2, v2, v3
	v_mul_f32_e32 v3, 0x3f106ebb, v5
	v_div_scale_f32 v5, null, v2, v2, v3
	v_div_scale_f32 v8, vcc_lo, v3, v2, v3
	v_rcp_f32_e32 v6, v5
	v_fma_f32 v7, -v5, v6, 1.0
	v_fmac_f32_e32 v6, v7, v6
	v_mul_f32_e32 v7, v8, v6
	v_fma_f32 v9, -v5, v7, v8
	v_fmac_f32_e32 v7, v9, v6
	v_fma_f32 v5, -v5, v7, v8
	v_div_fmas_f32 v5, v5, v6, v7
	v_cmp_nlt_f32_e32 vcc_lo, 0x41052018, v1
	v_div_fixup_f32 v2, v5, v2, v3
	s_and_b32 s1, vcc_lo, exec_lo
	s_or_b32 s0, s0, s1
.LBB19_195:
	s_or_b32 exec_lo, exec_lo, s34
	s_and_saveexec_b32 s1, s0
	s_cbranch_execz .LBB19_199
; %bb.196:
	v_mul_f32_e32 v5, v1, v1
	v_mov_b32_e32 v7, 1.0
	v_mov_b32_e32 v8, 1.0
	v_mov_b32_e32 v3, v1
	s_mov_b32 s34, 0
	v_mul_f32_e32 v6, v1, v5
	v_mov_b32_e32 v5, 1.0
.LBB19_197:                             ; =>This Inner Loop Header: Depth=1
	v_mul_f32_e32 v7, v6, v7
	v_add_f32_e32 v8, 1.0, v8
	v_mul_f32_e32 v1, v6, v1
	v_div_scale_f32 v9, null, v8, v8, v7
	v_div_scale_f32 v12, vcc_lo, v7, v8, v7
	v_add_f32_e32 v11, 1.0, v8
	v_rcp_f32_e32 v10, v9
	v_div_scale_f32 v13, null, v11, v11, v1
	v_fma_f32 v14, -v9, v10, 1.0
	v_fmac_f32_e32 v10, v14, v10
	v_mul_f32_e32 v14, v12, v10
	v_fma_f32 v15, -v9, v14, v12
	v_fmac_f32_e32 v14, v15, v10
	v_fma_f32 v9, -v9, v14, v12
	v_div_fmas_f32 v9, v9, v10, v14
	v_div_scale_f32 v12, vcc_lo, v1, v11, v1
	v_div_fixup_f32 v7, v9, v8, v7
	v_rcp_f32_e32 v9, v13
	v_div_scale_f32 v8, null, v11, v11, v7
	v_div_scale_f32 v15, s0, v7, v11, v7
	v_rcp_f32_e32 v10, v8
	v_fma_f32 v14, -v13, v9, 1.0
	v_fmac_f32_e32 v9, v14, v9
	v_fma_f32 v14, -v8, v10, 1.0
	v_fmac_f32_e32 v10, v14, v10
	v_mul_f32_e32 v14, v12, v9
	v_mul_f32_e32 v16, v15, v10
	v_fma_f32 v17, -v13, v14, v12
	v_fma_f32 v18, -v8, v16, v15
	v_fmac_f32_e32 v14, v17, v9
	v_fmac_f32_e32 v16, v18, v10
	v_fma_f32 v12, -v13, v14, v12
	v_fma_f32 v8, -v8, v16, v15
	v_div_fmas_f32 v9, v12, v9, v14
	s_mov_b32 vcc_lo, s0
	v_div_fmas_f32 v10, v8, v10, v16
	v_add_f32_e32 v8, 1.0, v11
	v_div_fixup_f32 v1, v9, v11, v1
	v_div_fixup_f32 v7, v10, v11, v7
	v_div_scale_f32 v9, null, v8, v8, v1
	v_div_scale_f32 v13, vcc_lo, v1, v8, v1
	v_add_f32_e32 v5, v5, v7
	v_rcp_f32_e32 v11, v9
	v_div_scale_f32 v10, null, v5, v5, v7
	v_rcp_f32_e32 v12, v10
	v_fma_f32 v14, -v9, v11, 1.0
	v_fmac_f32_e32 v11, v14, v11
	v_div_scale_f32 v14, s0, v7, v5, v7
	v_fma_f32 v15, -v10, v12, 1.0
	v_fmac_f32_e32 v12, v15, v12
	v_mul_f32_e32 v15, v13, v11
	v_mul_f32_e32 v16, v14, v12
	v_fma_f32 v17, -v9, v15, v13
	v_fma_f32 v18, -v10, v16, v14
	v_fmac_f32_e32 v15, v17, v11
	v_fmac_f32_e32 v16, v18, v12
	v_fma_f32 v9, -v9, v15, v13
	v_fma_f32 v10, -v10, v16, v14
	v_div_fmas_f32 v9, v9, v11, v15
	s_mov_b32 vcc_lo, s0
	v_div_fmas_f32 v10, v10, v12, v16
	v_div_fixup_f32 v1, v9, v8, v1
	v_div_fixup_f32 v10, v10, v5, v7
	v_add_f32_e32 v3, v3, v1
	v_cmp_nlt_f32_e64 s0, 0x34000000, |v10|
	s_or_b32 s34, s0, s34
	s_andn2_b32 exec_lo, exec_lo, s34
	s_cbranch_execnz .LBB19_197
; %bb.198:
	s_or_b32 exec_lo, exec_lo, s34
	v_mul_f32_e32 v1, 0xbe8483fa, v3
	v_fmamk_f32 v1, v5, 0x3eb5c63d, v1
	v_cndmask_b32_e64 v2, v2, v1, s33
.LBB19_199:
	s_or_b32 exec_lo, exec_lo, s1
                                        ; implicit-def: $vgpr1
.LBB19_200:
	s_andn2_saveexec_b32 s33, s2
	s_cbranch_execz .LBB19_248
; %bb.201:
	v_mul_f32_e32 v2, 0xcf800000, v1
	v_cmp_lt_f32_e32 vcc_lo, 0x8f800000, v1
	v_cndmask_b32_e64 v2, -v1, v2, vcc_lo
	v_mul_f32_e32 v1, -2.0, v1
	v_sqrt_f32_e32 v3, v2
	v_add_nc_u32_e32 v5, -1, v3
	v_add_nc_u32_e32 v6, 1, v3
	v_fma_f32 v7, -v5, v3, v2
	v_fma_f32 v8, -v6, v3, v2
	v_cmp_ge_f32_e64 s0, 0, v7
	v_cndmask_b32_e64 v3, v3, v5, s0
	v_cmp_lt_f32_e64 s0, 0, v8
	v_cndmask_b32_e64 v3, v3, v6, s0
	v_mul_f32_e32 v5, 0x37800000, v3
	v_cndmask_b32_e32 v3, v3, v5, vcc_lo
	v_cmp_class_f32_e64 vcc_lo, v2, 0x260
	v_cndmask_b32_e32 v2, v3, v2, vcc_lo
	v_mul_f32_e32 v1, v1, v2
	v_div_scale_f32 v3, null, 0x40400000, 0x40400000, v1
	v_div_scale_f32 v7, vcc_lo, v1, 0x40400000, v1
	v_rcp_f32_e32 v5, v3
	v_fma_f32 v6, -v3, v5, 1.0
	v_fmac_f32_e32 v5, v6, v5
	v_mul_f32_e32 v6, v7, v5
	v_fma_f32 v8, -v3, v6, v7
	v_fmac_f32_e32 v6, v8, v5
                                        ; implicit-def: $vgpr8
	v_fma_f32 v3, -v3, v6, v7
	v_div_fmas_f32 v3, v3, v5, v6
                                        ; implicit-def: $vgpr5
	v_div_fixup_f32 v3, v3, 0x40400000, v1
	v_add_f32_e32 v1, 0x3f490fdb, v3
	v_and_b32_e32 v6, 0x7fffffff, v1
	v_cmp_ngt_f32_e64 s2, 0x48000000, |v1|
	s_and_saveexec_b32 s0, s2
	s_xor_b32 s34, exec_lo, s0
	s_cbranch_execz .LBB19_207
; %bb.202:
	s_mov_b32 s0, 0x7fffff
	v_mov_b32_e32 v9, 0
	v_and_or_b32 v5, v6, s0, 0x800000
	v_lshrrev_b32_e32 v14, 23, v6
	v_mad_u64_u32 v[7:8], null, 0xfe5163ab, v5, 0
	v_add_nc_u32_e32 v15, 0xffffff88, v14
	v_cmp_lt_u32_e32 vcc_lo, 63, v15
	v_mad_u64_u32 v[10:11], null, 0x3c439041, v5, v[8:9]
	v_cndmask_b32_e64 v16, 0, 0xffffffc0, vcc_lo
	v_mov_b32_e32 v8, v11
	v_add_nc_u32_e32 v16, v16, v15
	v_mad_u64_u32 v[11:12], null, 0xdb629599, v5, v[8:9]
	v_cmp_lt_u32_e64 s0, 31, v16
	v_cndmask_b32_e64 v17, 0, 0xffffffe0, s0
	v_mov_b32_e32 v8, v12
	v_cndmask_b32_e32 v7, v11, v7, vcc_lo
	v_mad_u64_u32 v[12:13], null, 0xf534ddc0, v5, v[8:9]
	v_mov_b32_e32 v8, v13
	v_cndmask_b32_e32 v10, v12, v10, vcc_lo
	v_mad_u64_u32 v[13:14], null, 0xfc2757d1, v5, v[8:9]
	v_cndmask_b32_e64 v7, v10, v7, s0
	v_mov_b32_e32 v8, v14
	v_mad_u64_u32 v[14:15], null, 0x4e441529, v5, v[8:9]
	v_mov_b32_e32 v8, v15
	v_add_nc_u32_e32 v15, v17, v16
	v_cndmask_b32_e32 v16, v14, v12, vcc_lo
	v_mad_u64_u32 v[8:9], null, 0xa2f9836e, v5, v[8:9]
	v_cmp_lt_u32_e64 s1, 31, v15
	v_cndmask_b32_e64 v5, 0, 0xffffffe0, s1
	v_cndmask_b32_e32 v8, v8, v13, vcc_lo
	v_cndmask_b32_e32 v9, v9, v14, vcc_lo
	;; [unrolled: 1-line block ×3, first 2 shown]
	v_add_nc_u32_e32 v5, v5, v15
	v_cndmask_b32_e64 v12, v8, v16, s0
	v_cndmask_b32_e64 v8, v9, v8, s0
	v_cndmask_b32_e64 v9, v16, v13, s0
	v_cndmask_b32_e64 v13, v13, v10, s0
	v_sub_nc_u32_e32 v14, 32, v5
	v_cmp_eq_u32_e32 vcc_lo, 0, v5
	v_cndmask_b32_e64 v8, v8, v12, s1
	v_cndmask_b32_e64 v12, v12, v9, s1
	;; [unrolled: 1-line block ×4, first 2 shown]
	v_alignbit_b32 v15, v8, v12, v14
	v_alignbit_b32 v11, v12, v9, v14
	;; [unrolled: 1-line block ×3, first 2 shown]
	v_cndmask_b32_e32 v5, v15, v8, vcc_lo
	v_cndmask_b32_e32 v8, v11, v12, vcc_lo
	v_cndmask_b32_e32 v9, v13, v9, vcc_lo
	v_bfe_u32 v10, v5, 29, 1
	v_alignbit_b32 v11, v5, v8, 30
	v_alignbit_b32 v8, v8, v9, 30
	;; [unrolled: 1-line block ×3, first 2 shown]
	v_sub_nc_u32_e32 v12, 0, v10
	v_xor_b32_e32 v11, v11, v12
	v_xor_b32_e32 v8, v8, v12
	;; [unrolled: 1-line block ×3, first 2 shown]
	v_lshrrev_b32_e32 v12, 29, v5
	v_ffbh_u32_e32 v13, v11
	v_min_u32_e32 v13, 32, v13
	v_sub_nc_u32_e32 v9, 31, v13
	v_lshlrev_b32_e32 v14, 23, v13
	v_alignbit_b32 v11, v11, v8, v9
	v_alignbit_b32 v7, v8, v7, v9
	v_lshlrev_b32_e32 v8, 31, v12
	v_alignbit_b32 v9, v11, v7, 9
	v_or_b32_e32 v12, 0.5, v8
	v_lshrrev_b32_e32 v11, 9, v11
	v_or_b32_e32 v8, 0x33000000, v8
	v_ffbh_u32_e32 v15, v9
	v_sub_nc_u32_e32 v12, v12, v14
	v_min_u32_e32 v14, 32, v15
	v_or_b32_e32 v11, v11, v12
	v_not_b32_e32 v12, v14
	v_mul_f32_e32 v15, 0x3fc90fda, v11
	v_add_lshl_u32 v13, v14, v13, 23
	v_alignbit_b32 v7, v9, v7, v12
	v_fma_f32 v9, 0x3fc90fda, v11, -v15
	v_sub_nc_u32_e32 v8, v8, v13
	v_lshrrev_b32_e32 v7, 9, v7
	v_fmamk_f32 v9, v11, 0x33a22168, v9
	v_or_b32_e32 v7, v8, v7
	v_fmac_f32_e32 v9, 0x3fc90fda, v7
	v_lshrrev_b32_e32 v7, 30, v5
	v_add_f32_e32 v5, v15, v9
	v_add_nc_u32_e32 v8, v10, v7
	s_andn2_saveexec_b32 s0, s34
	s_branch .LBB19_208
.LBB19_203:
	s_andn2_saveexec_b32 s0, s34
.LBB19_204:
	v_mul_f32_e64 v5, 0x3f22f983, |v1|
	v_rndne_f32_e32 v7, v5
	v_fma_f32 v5, 0xbfc90fda, v7, |v1|
	v_cvt_i32_f32_e32 v8, v7
	v_fmamk_f32 v5, v7, 0xb3a22168, v5
	v_fmamk_f32 v5, v7, 0xa7c234c4, v5
; %bb.205:
	s_or_b32 exec_lo, exec_lo, s0
                                        ; implicit-def: $vgpr9
                                        ; implicit-def: $vgpr7
	s_and_saveexec_b32 s0, s2
	s_xor_b32 s2, exec_lo, s0
	s_cbranch_execz .LBB19_211
; %bb.206:
	s_mov_b32 s0, 0x7fffff
	v_mov_b32_e32 v11, 0
	v_and_or_b32 v7, v6, s0, 0x800000
	v_lshrrev_b32_e32 v16, 23, v6
	v_mad_u64_u32 v[9:10], null, 0xfe5163ab, v7, 0
	v_add_nc_u32_e32 v17, 0xffffff88, v16
	v_cmp_lt_u32_e32 vcc_lo, 63, v17
	v_mad_u64_u32 v[12:13], null, 0x3c439041, v7, v[10:11]
	v_cndmask_b32_e64 v18, 0, 0xffffffc0, vcc_lo
	v_mov_b32_e32 v10, v13
	v_add_nc_u32_e32 v18, v18, v17
	v_mad_u64_u32 v[13:14], null, 0xdb629599, v7, v[10:11]
	v_cmp_lt_u32_e64 s0, 31, v18
	v_cndmask_b32_e64 v19, 0, 0xffffffe0, s0
	v_mov_b32_e32 v10, v14
	v_cndmask_b32_e32 v9, v13, v9, vcc_lo
	v_mad_u64_u32 v[14:15], null, 0xf534ddc0, v7, v[10:11]
	v_mov_b32_e32 v10, v15
	v_cndmask_b32_e32 v12, v14, v12, vcc_lo
	v_mad_u64_u32 v[15:16], null, 0xfc2757d1, v7, v[10:11]
	v_cndmask_b32_e64 v9, v12, v9, s0
	v_mov_b32_e32 v10, v16
	v_mad_u64_u32 v[16:17], null, 0x4e441529, v7, v[10:11]
	v_mov_b32_e32 v10, v17
	v_add_nc_u32_e32 v17, v19, v18
	v_cndmask_b32_e32 v18, v16, v14, vcc_lo
	v_mad_u64_u32 v[10:11], null, 0xa2f9836e, v7, v[10:11]
	v_cmp_lt_u32_e64 s1, 31, v17
	v_cndmask_b32_e64 v7, 0, 0xffffffe0, s1
	v_cndmask_b32_e32 v10, v10, v15, vcc_lo
	v_cndmask_b32_e32 v11, v11, v16, vcc_lo
	;; [unrolled: 1-line block ×3, first 2 shown]
	v_add_nc_u32_e32 v7, v7, v17
	v_cndmask_b32_e64 v14, v10, v18, s0
	v_cndmask_b32_e64 v10, v11, v10, s0
	;; [unrolled: 1-line block ×4, first 2 shown]
	v_sub_nc_u32_e32 v16, 32, v7
	v_cmp_eq_u32_e32 vcc_lo, 0, v7
	v_cndmask_b32_e64 v10, v10, v14, s1
	v_cndmask_b32_e64 v14, v14, v11, s1
	;; [unrolled: 1-line block ×4, first 2 shown]
	v_alignbit_b32 v17, v10, v14, v16
	v_alignbit_b32 v13, v14, v11, v16
	;; [unrolled: 1-line block ×3, first 2 shown]
	v_cndmask_b32_e32 v7, v17, v10, vcc_lo
	v_cndmask_b32_e32 v10, v13, v14, vcc_lo
	;; [unrolled: 1-line block ×3, first 2 shown]
	v_bfe_u32 v12, v7, 29, 1
	v_alignbit_b32 v13, v7, v10, 30
	v_alignbit_b32 v10, v10, v11, 30
	;; [unrolled: 1-line block ×3, first 2 shown]
	v_sub_nc_u32_e32 v14, 0, v12
	v_xor_b32_e32 v13, v13, v14
	v_xor_b32_e32 v10, v10, v14
	;; [unrolled: 1-line block ×3, first 2 shown]
	v_lshrrev_b32_e32 v14, 29, v7
	v_ffbh_u32_e32 v15, v13
	v_min_u32_e32 v15, 32, v15
	v_sub_nc_u32_e32 v11, 31, v15
	v_lshlrev_b32_e32 v16, 23, v15
	v_alignbit_b32 v13, v13, v10, v11
	v_alignbit_b32 v9, v10, v9, v11
	v_lshlrev_b32_e32 v10, 31, v14
	v_alignbit_b32 v11, v13, v9, 9
	v_or_b32_e32 v14, 0.5, v10
	v_lshrrev_b32_e32 v13, 9, v13
	v_or_b32_e32 v10, 0x33000000, v10
	v_ffbh_u32_e32 v17, v11
	v_sub_nc_u32_e32 v14, v14, v16
	v_min_u32_e32 v16, 32, v17
	v_or_b32_e32 v13, v13, v14
	v_not_b32_e32 v14, v16
	v_mul_f32_e32 v17, 0x3fc90fda, v13
	v_add_lshl_u32 v15, v16, v15, 23
	v_alignbit_b32 v9, v11, v9, v14
	v_fma_f32 v11, 0x3fc90fda, v13, -v17
	v_sub_nc_u32_e32 v10, v10, v15
	v_lshrrev_b32_e32 v9, 9, v9
	v_fmamk_f32 v11, v13, 0x33a22168, v11
	v_or_b32_e32 v9, v10, v9
	v_fmac_f32_e32 v11, 0x3fc90fda, v9
	v_lshrrev_b32_e32 v9, 30, v7
	v_add_f32_e32 v7, v17, v11
	v_add_nc_u32_e32 v9, v12, v9
	s_andn2_saveexec_b32 s0, s2
	s_cbranch_execnz .LBB19_212
	s_branch .LBB19_213
.LBB19_207:
	s_andn2_saveexec_b32 s0, s34
.LBB19_208:
	v_mul_f32_e64 v5, 0x3f22f983, |v1|
	v_rndne_f32_e32 v7, v5
	v_fma_f32 v5, 0xbfc90fda, v7, |v1|
	v_cvt_i32_f32_e32 v8, v7
	v_fmamk_f32 v5, v7, 0xb3a22168, v5
	v_fmamk_f32 v5, v7, 0xa7c234c4, v5
; %bb.209:
	s_or_b32 exec_lo, exec_lo, s0
                                        ; implicit-def: $vgpr9
                                        ; implicit-def: $vgpr7
	s_and_saveexec_b32 s0, s2
	s_xor_b32 s2, exec_lo, s0
	s_cbranch_execz .LBB19_245
; %bb.210:
	s_mov_b32 s0, 0x7fffff
	v_mov_b32_e32 v11, 0
	v_and_or_b32 v7, v6, s0, 0x800000
	v_lshrrev_b32_e32 v16, 23, v6
	v_mad_u64_u32 v[9:10], null, 0xfe5163ab, v7, 0
	v_add_nc_u32_e32 v17, 0xffffff88, v16
	v_cmp_lt_u32_e32 vcc_lo, 63, v17
	v_mad_u64_u32 v[12:13], null, 0x3c439041, v7, v[10:11]
	v_cndmask_b32_e64 v18, 0, 0xffffffc0, vcc_lo
	v_mov_b32_e32 v10, v13
	v_add_nc_u32_e32 v18, v18, v17
	v_mad_u64_u32 v[13:14], null, 0xdb629599, v7, v[10:11]
	v_cmp_lt_u32_e64 s0, 31, v18
	v_cndmask_b32_e64 v19, 0, 0xffffffe0, s0
	v_mov_b32_e32 v10, v14
	v_cndmask_b32_e32 v9, v13, v9, vcc_lo
	v_mad_u64_u32 v[14:15], null, 0xf534ddc0, v7, v[10:11]
	v_mov_b32_e32 v10, v15
	v_cndmask_b32_e32 v12, v14, v12, vcc_lo
	v_mad_u64_u32 v[15:16], null, 0xfc2757d1, v7, v[10:11]
	v_cndmask_b32_e64 v9, v12, v9, s0
	v_mov_b32_e32 v10, v16
	v_mad_u64_u32 v[16:17], null, 0x4e441529, v7, v[10:11]
	v_mov_b32_e32 v10, v17
	v_add_nc_u32_e32 v17, v19, v18
	v_cndmask_b32_e32 v18, v16, v14, vcc_lo
	v_mad_u64_u32 v[10:11], null, 0xa2f9836e, v7, v[10:11]
	v_cmp_lt_u32_e64 s1, 31, v17
	v_cndmask_b32_e64 v7, 0, 0xffffffe0, s1
	v_cndmask_b32_e32 v10, v10, v15, vcc_lo
	v_cndmask_b32_e32 v11, v11, v16, vcc_lo
	v_cndmask_b32_e32 v15, v15, v13, vcc_lo
	v_add_nc_u32_e32 v7, v7, v17
	v_cndmask_b32_e64 v14, v10, v18, s0
	v_cndmask_b32_e64 v10, v11, v10, s0
	;; [unrolled: 1-line block ×4, first 2 shown]
	v_sub_nc_u32_e32 v16, 32, v7
	v_cmp_eq_u32_e32 vcc_lo, 0, v7
	v_cndmask_b32_e64 v10, v10, v14, s1
	v_cndmask_b32_e64 v14, v14, v11, s1
	;; [unrolled: 1-line block ×4, first 2 shown]
	v_alignbit_b32 v17, v10, v14, v16
	v_alignbit_b32 v13, v14, v11, v16
	;; [unrolled: 1-line block ×3, first 2 shown]
	v_cndmask_b32_e32 v7, v17, v10, vcc_lo
	v_cndmask_b32_e32 v10, v13, v14, vcc_lo
	v_cndmask_b32_e32 v11, v15, v11, vcc_lo
	v_bfe_u32 v12, v7, 29, 1
	v_alignbit_b32 v13, v7, v10, 30
	v_alignbit_b32 v10, v10, v11, 30
	v_alignbit_b32 v9, v11, v9, 30
	v_sub_nc_u32_e32 v14, 0, v12
	v_xor_b32_e32 v13, v13, v14
	v_xor_b32_e32 v10, v10, v14
	;; [unrolled: 1-line block ×3, first 2 shown]
	v_lshrrev_b32_e32 v14, 29, v7
	v_ffbh_u32_e32 v15, v13
	v_min_u32_e32 v15, 32, v15
	v_sub_nc_u32_e32 v11, 31, v15
	v_lshlrev_b32_e32 v16, 23, v15
	v_alignbit_b32 v13, v13, v10, v11
	v_alignbit_b32 v9, v10, v9, v11
	v_lshlrev_b32_e32 v10, 31, v14
	v_alignbit_b32 v11, v13, v9, 9
	v_or_b32_e32 v14, 0.5, v10
	v_lshrrev_b32_e32 v13, 9, v13
	v_or_b32_e32 v10, 0x33000000, v10
	v_ffbh_u32_e32 v17, v11
	v_sub_nc_u32_e32 v14, v14, v16
	v_min_u32_e32 v16, 32, v17
	v_or_b32_e32 v13, v13, v14
	v_not_b32_e32 v14, v16
	v_mul_f32_e32 v17, 0x3fc90fda, v13
	v_add_lshl_u32 v15, v16, v15, 23
	v_alignbit_b32 v9, v11, v9, v14
	v_fma_f32 v11, 0x3fc90fda, v13, -v17
	v_sub_nc_u32_e32 v10, v10, v15
	v_lshrrev_b32_e32 v9, 9, v9
	v_fmamk_f32 v11, v13, 0x33a22168, v11
	v_or_b32_e32 v9, v10, v9
	v_fmac_f32_e32 v11, 0x3fc90fda, v9
	v_lshrrev_b32_e32 v9, 30, v7
	v_add_f32_e32 v7, v17, v11
	v_add_nc_u32_e32 v9, v12, v9
	s_andn2_saveexec_b32 s0, s2
	s_cbranch_execnz .LBB19_246
	s_branch .LBB19_247
.LBB19_211:
	s_andn2_saveexec_b32 s0, s2
.LBB19_212:
	v_mul_f32_e64 v7, 0x3f22f983, |v1|
	v_rndne_f32_e32 v9, v7
	v_fma_f32 v7, 0xbfc90fda, v9, |v1|
	v_fmamk_f32 v7, v9, 0xb3a22168, v7
	v_fmamk_f32 v7, v9, 0xa7c234c4, v7
	v_cvt_i32_f32_e32 v9, v9
.LBB19_213:
	s_or_b32 exec_lo, exec_lo, s0
	v_div_scale_f32 v10, null, v3, v3, 1.0
	v_div_scale_f32 v13, vcc_lo, 1.0, v3, 1.0
	v_mul_f32_e32 v16, 0x4f800000, v2
	v_rcp_f32_e32 v11, v10
	v_mul_f32_e32 v15, v5, v5
	s_mov_b32 s0, 0xb94c1982
	s_mov_b32 s1, 0x37d75334
	v_and_b32_e32 v17, 1, v9
	v_xor_b32_e32 v6, v6, v1
	v_lshlrev_b32_e32 v9, 30, v9
	v_fma_f32 v12, -v10, v11, 1.0
	v_and_b32_e32 v9, 0x80000000, v9
	v_fmac_f32_e32 v11, v12, v11
	v_mul_f32_e32 v12, v13, v11
	v_fma_f32 v14, -v10, v12, v13
	v_fmac_f32_e32 v12, v14, v11
	v_and_b32_e32 v14, 1, v8
	v_lshlrev_b32_e32 v8, 30, v8
	v_fma_f32 v10, -v10, v12, v13
	v_mul_f32_e32 v13, v7, v7
	v_cmp_eq_u32_e64 s2, 0, v14
	v_and_b32_e32 v8, 0x80000000, v8
	v_div_fmas_f32 v10, v10, v11, v12
	v_cmp_gt_f32_e32 vcc_lo, 0xf800000, v2
	v_fmaak_f32 v11, s0, v15, 0x3c0881c4
	v_fmaak_f32 v12, s1, v15, 0xbab64f3b
	v_div_fixup_f32 v3, v10, v3, 1.0
	v_cndmask_b32_e32 v2, v2, v16, vcc_lo
	v_fmaak_f32 v10, s0, v13, 0x3c0881c4
	v_fmaak_f32 v16, s1, v13, 0xbab64f3b
	;; [unrolled: 1-line block ×3, first 2 shown]
	v_mul_f32_e32 v18, v3, v3
	v_sqrt_f32_e32 v19, v2
	v_fmaak_f32 v12, v15, v12, 0x3d2aabf7
	v_fmaak_f32 v10, v13, v10, 0xbe2aaa9d
	;; [unrolled: 1-line block ×7, first 2 shown]
	v_mul_f32_e32 v11, v15, v11
	v_fmaak_f32 v20, v18, v20, 0x3ec83ea8
	v_fmaak_f32 v21, v18, v21, 0xbf205f75
	;; [unrolled: 1-line block ×4, first 2 shown]
	v_add_nc_u32_e32 v24, -1, v19
	v_fmaak_f32 v20, v18, v20, 0x3f886c1a
	v_fmaak_f32 v21, v18, v21, 0xbf3172ce
	;; [unrolled: 1-line block ×4, first 2 shown]
	v_add_nc_u32_e32 v25, 1, v19
	v_fmaak_f32 v20, v18, v20, 0x3f706d65
	v_fmaak_f32 v21, v18, v21, 0xbe8f3f52
	v_fma_f32 v26, -v24, v19, v2
	v_fmaak_f32 v22, v18, v22, 0x4112fe41
	v_fmaak_f32 v23, v18, v23, 0x40af4271
	;; [unrolled: 1-line block ×4, first 2 shown]
	v_fma_f32 v27, -v25, v19, v2
	v_cmp_ge_f32_e64 s0, 0, v26
	v_fmaak_f32 v22, v18, v22, 0x3fbcd65a
	v_fmaak_f32 v20, v18, v20, 0x3d81d209
	;; [unrolled: 1-line block ×4, first 2 shown]
	v_cndmask_b32_e64 v19, v19, v24, s0
	v_cmp_lt_f32_e64 s0, 0, v27
	v_fmaak_f32 v20, v18, v20, 0x3bbff4d0
	v_fmaak_f32 v22, v18, v22, 0x3deced66
	;; [unrolled: 1-line block ×4, first 2 shown]
	v_cndmask_b32_e64 v19, v19, v25, s0
	v_fmaak_f32 v20, v18, v20, 0x39944bb3
	v_fmaak_f32 v22, v18, v22, 0x3b904657
	;; [unrolled: 1-line block ×4, first 2 shown]
	v_mul_f32_e32 v24, 0x37800000, v19
	v_fmaak_f32 v20, v18, v20, 0x36ea79eb
	v_fmaak_f32 v22, v18, v22, 0x389e46bd
	;; [unrolled: 1-line block ×4, first 2 shown]
	v_cndmask_b32_e32 v19, v19, v24, vcc_lo
	v_fmaak_f32 v20, v18, v20, 0x33ae5496
	v_cmp_class_f32_e64 vcc_lo, v2, 0x260
	v_fmaak_f32 v22, v18, v22, 0x34f295ce
	v_fmaak_f32 v23, v18, v23, 0x359d422f
	v_mul_f32_e32 v21, v18, v21
	v_fmaak_f32 v20, v18, v20, 0x2fbbc524
	v_cndmask_b32_e32 v2, v19, v2, vcc_lo
	v_fmaak_f32 v12, v15, v12, 0xbf000004
	v_fmaak_f32 v18, v18, v23, 0x31a8fe3a
	v_div_scale_f32 v19, null, v22, v22, v21
	v_mul_f32_e32 v3, v3, v20
	v_div_scale_f32 v20, null, v2, v2, 0x3f106ebb
	v_rcp_f32_e32 v23, v19
	v_mul_f32_e32 v10, v13, v10
	v_div_scale_f32 v24, null, v18, v18, v3
	v_rcp_f32_e32 v25, v20
	v_fmaak_f32 v16, v13, v16, 0xbf000004
	v_fmac_f32_e32 v5, v5, v11
	v_fma_f32 v11, v15, v12, 1.0
	v_rcp_f32_e32 v12, v24
	v_fmac_f32_e32 v7, v7, v10
	v_fma_f32 v10, v13, v16, 1.0
	v_fma_f32 v13, -v19, v23, 1.0
	v_div_scale_f32 v26, vcc_lo, v21, v22, v21
	v_fma_f32 v16, -v20, v25, 1.0
	v_div_scale_f32 v15, s0, 0x3f106ebb, v2, 0x3f106ebb
	v_fmac_f32_e32 v23, v13, v23
	v_fma_f32 v13, -v24, v12, 1.0
	v_fmac_f32_e32 v25, v16, v25
	v_div_scale_f32 v16, s1, v3, v18, v3
	v_mul_f32_e32 v27, v26, v23
	v_fmac_f32_e32 v12, v13, v12
	v_mul_f32_e32 v13, v15, v25
	v_cndmask_b32_e64 v5, v11, v5, s2
	v_cmp_eq_u32_e64 s2, 0, v17
	v_fma_f32 v11, -v19, v27, v26
	v_mul_f32_e32 v14, v16, v12
	v_fma_f32 v28, -v20, v13, v15
	v_xor3_b32 v5, v6, v8, v5
	v_cndmask_b32_e64 v7, -v7, v10, s2
	v_fmac_f32_e32 v27, v11, v23
	v_fma_f32 v10, -v24, v14, v16
	v_fmac_f32_e32 v13, v28, v25
	v_cmp_class_f32_e64 s2, v1, 0x1f8
	v_xor_b32_e32 v7, v9, v7
	v_fma_f32 v1, -v19, v27, v26
	v_fmac_f32_e32 v14, v10, v12
	v_fma_f32 v6, -v20, v13, v15
	v_cndmask_b32_e64 v5, 0x7fc00000, v5, s2
	v_cndmask_b32_e64 v7, 0x7fc00000, v7, s2
	v_div_fmas_f32 v1, v1, v23, v27
	v_fma_f32 v8, -v24, v14, v16
	s_mov_b32 vcc_lo, s0
	v_div_fmas_f32 v6, v6, v25, v13
	s_mov_b32 vcc_lo, s1
	v_div_fixup_f32 v1, v1, v22, v21
	v_div_fmas_f32 v8, v8, v12, v14
	v_div_fixup_f32 v2, v6, v2, 0x3f106ebb
	v_add_f32_e32 v1, 1.0, v1
	v_div_fixup_f32 v3, v8, v18, v3
	v_mul_f32_e32 v3, v3, v7
	v_fma_f32 v1, v1, v5, -v3
	v_mul_f32_e32 v2, v2, v1
.LBB19_214:
	s_or_b32 exec_lo, exec_lo, s33
.LBB19_215:
	s_or_b32 exec_lo, exec_lo, s31
.LBB19_216:
	s_or_b32 exec_lo, exec_lo, s3
	v_add_nc_u32_e32 v4, 0x80, v4
	global_store_dword v0, v2, s[4:5]
	s_or_b32 exec_lo, exec_lo, s30
	s_mov_b32 s30, exec_lo
	v_cmpx_gt_i32_e64 s27, v4
	s_cbranch_execnz .LBB19_15
.LBB19_217:
	s_or_b32 exec_lo, exec_lo, s30
	s_mov_b32 s30, exec_lo
	v_cmpx_gt_i32_e64 s27, v4
	s_cbranch_execz .LBB19_251
.LBB19_218:
	s_andn2_b32 vcc_lo, exec_lo, s24
	s_cbranch_vccnz .LBB19_223
; %bb.219:
	s_andn2_b32 vcc_lo, exec_lo, s29
	s_cbranch_vccnz .LBB19_224
; %bb.220:
	s_add_i32 s33, s28, 1
	s_cmp_eq_u32 s23, 2
	s_cbranch_scc1 .LBB19_225
; %bb.221:
	v_mov_b32_e32 v2, 0
	v_mov_b32_e32 v0, 0
	;; [unrolled: 1-line block ×3, first 2 shown]
	s_and_b32 s31, s33, 28
	s_mov_b32 s34, 0
	s_mov_b64 s[0:1], s[16:17]
	s_mov_b64 s[2:3], s[20:21]
.LBB19_222:                             ; =>This Inner Loop Header: Depth=1
	s_clause 0x1
	s_load_dwordx8 s[36:43], s[0:1], 0x4
	s_load_dwordx4 s[52:55], s[0:1], 0x24
	s_load_dwordx8 s[44:51], s[2:3], 0x0
	s_add_u32 s0, s0, 48
	s_addc_u32 s1, s1, 0
	s_add_i32 s34, s34, 4
	s_add_u32 s2, s2, 32
	s_addc_u32 s3, s3, 0
	s_cmp_eq_u32 s31, s34
	s_waitcnt lgkmcnt(0)
	v_mul_hi_u32 v3, s37, v1
	v_add_nc_u32_e32 v3, v1, v3
	v_lshrrev_b32_e32 v3, s38, v3
	v_mul_hi_u32 v5, s40, v3
	v_mul_lo_u32 v7, v3, s36
	v_add_nc_u32_e32 v5, v3, v5
	v_sub_nc_u32_e32 v1, v1, v7
	v_lshrrev_b32_e32 v5, s41, v5
	v_mul_lo_u32 v7, v1, s44
	v_mul_lo_u32 v9, v1, s45
	v_mul_hi_u32 v6, s43, v5
	v_add_nc_u32_e32 v6, v5, v6
	v_lshrrev_b32_e32 v6, s52, v6
	v_mul_hi_u32 v8, s54, v6
	v_mul_lo_u32 v10, v6, s42
	v_add_nc_u32_e32 v1, v6, v8
	v_mul_lo_u32 v8, v5, s39
	v_sub_nc_u32_e32 v5, v5, v10
	v_lshrrev_b32_e32 v1, s55, v1
	v_mul_lo_u32 v10, v5, s48
	v_mul_lo_u32 v5, v5, s49
	v_sub_nc_u32_e32 v3, v3, v8
	v_mul_lo_u32 v11, v1, s53
	v_mul_lo_u32 v8, v3, s46
	v_mul_lo_u32 v3, v3, s47
	v_sub_nc_u32_e32 v6, v6, v11
	v_add3_u32 v0, v7, v0, v8
	v_mul_lo_u32 v11, v6, s50
	v_mul_lo_u32 v6, v6, s51
	v_add3_u32 v2, v9, v2, v3
	v_add3_u32 v0, v10, v0, v11
	;; [unrolled: 1-line block ×3, first 2 shown]
	s_cbranch_scc0 .LBB19_222
	s_branch .LBB19_226
.LBB19_223:
                                        ; implicit-def: $vgpr0
                                        ; implicit-def: $vgpr2
	s_branch .LBB19_230
.LBB19_224:
	v_mov_b32_e32 v0, 0
	v_mov_b32_e32 v2, 0
	s_branch .LBB19_229
.LBB19_225:
	v_mov_b32_e32 v0, 0
	v_mov_b32_e32 v2, 0
	;; [unrolled: 1-line block ×3, first 2 shown]
	s_mov_b32 s31, 0
.LBB19_226:
	s_and_b32 s33, s33, 3
	s_cmp_eq_u32 s33, 0
	s_cbranch_scc1 .LBB19_229
; %bb.227:
	s_lshl_b32 s0, s31, 3
	s_mul_i32 s2, s31, 12
	s_add_u32 s0, s16, s0
	s_addc_u32 s1, s17, 0
	s_add_u32 s0, s0, 0xc4
	s_addc_u32 s1, s1, 0
	s_add_u32 s2, s16, s2
	s_addc_u32 s3, s17, 0
	.p2align	6
.LBB19_228:                             ; =>This Inner Loop Header: Depth=1
	s_clause 0x1
	s_load_dwordx2 s[34:35], s[2:3], 0x4
	s_load_dword s31, s[2:3], 0xc
	s_load_dwordx2 s[36:37], s[0:1], 0x0
	s_add_u32 s2, s2, 12
	s_addc_u32 s3, s3, 0
	s_add_u32 s0, s0, 8
	s_addc_u32 s1, s1, 0
	s_add_i32 s33, s33, -1
	s_cmp_lg_u32 s33, 0
	s_waitcnt lgkmcnt(0)
	v_mul_hi_u32 v3, s35, v1
	v_add_nc_u32_e32 v3, v1, v3
	v_lshrrev_b32_e32 v5, s31, v3
	v_mul_lo_u32 v3, v5, s34
	v_sub_nc_u32_e32 v3, v1, v3
	v_mad_u64_u32 v[0:1], null, v3, s36, v[0:1]
	v_mad_u64_u32 v[2:3], null, v3, s37, v[2:3]
	v_mov_b32_e32 v1, v5
	s_cbranch_scc1 .LBB19_228
.LBB19_229:
	s_cbranch_execnz .LBB19_232
.LBB19_230:
	s_waitcnt lgkmcnt(0)
	v_mul_hi_u32 v0, s13, v4
	s_andn2_b32 vcc_lo, exec_lo, s26
	v_add_nc_u32_e32 v0, v4, v0
	v_lshrrev_b32_e32 v1, s14, v0
	v_mul_lo_u32 v0, v1, s12
	v_sub_nc_u32_e32 v2, v4, v0
	v_mul_lo_u32 v0, v2, s8
	v_mul_lo_u32 v2, v2, s9
	s_cbranch_vccnz .LBB19_232
; %bb.231:
	v_mul_hi_u32 v3, s18, v1
	v_add_nc_u32_e32 v3, v1, v3
	v_lshrrev_b32_e32 v3, s19, v3
	v_mul_lo_u32 v3, v3, s15
	v_sub_nc_u32_e32 v3, v1, v3
	v_mad_u64_u32 v[0:1], null, v3, s10, v[0:1]
	v_mad_u64_u32 v[2:3], null, v3, s11, v[2:3]
.LBB19_232:
	s_waitcnt lgkmcnt(0)
	global_load_dword v1, v2, s[6:7]
	v_mov_b32_e32 v2, 0x7fc00000
	s_mov_b32 s3, exec_lo
	s_waitcnt vmcnt(0)
	v_cmpx_neq_f32_e64 0x7f800000, |v1|
	s_cbranch_execz .LBB19_263
; %bb.233:
	v_mov_b32_e32 v2, 0
	s_mov_b32 s31, exec_lo
	v_cmpx_nlt_f32_e32 0x42cfc8b4, v1
	s_cbranch_execz .LBB19_262
; %bb.234:
                                        ; implicit-def: $vgpr2
	s_mov_b32 s0, exec_lo
	v_cmpx_ngt_f32_e32 0xc005c28f, v1
	s_xor_b32 s2, exec_lo, s0
	s_cbranch_execz .LBB19_242
; %bb.235:
	v_cmp_nle_f32_e64 s33, 0x4005c28f, v1
	v_mov_b32_e32 v2, 0
	s_mov_b32 s34, exec_lo
	s_mov_b32 s0, s33
	v_cmpx_le_f32_e32 0x4005c28f, v1
	s_cbranch_execz .LBB19_237
; %bb.236:
	v_mul_f32_e32 v2, 0x4f800000, v1
	v_cmp_gt_f32_e32 vcc_lo, 0xf800000, v1
	v_cndmask_b32_e32 v2, v1, v2, vcc_lo
	v_sqrt_f32_e32 v3, v2
	v_add_nc_u32_e32 v5, -1, v3
	v_add_nc_u32_e32 v6, 1, v3
	v_fma_f32 v7, -v5, v3, v2
	v_fma_f32 v8, -v6, v3, v2
	v_cmp_ge_f32_e64 s0, 0, v7
	v_cndmask_b32_e64 v3, v3, v5, s0
	v_cmp_lt_f32_e64 s0, 0, v8
	v_cndmask_b32_e64 v3, v3, v6, s0
	v_mul_f32_e32 v5, 0x37800000, v3
	v_cndmask_b32_e32 v3, v3, v5, vcc_lo
	v_cmp_class_f32_e64 vcc_lo, v2, 0x260
	v_add_f32_e32 v5, v1, v1
	v_cndmask_b32_e32 v2, v3, v2, vcc_lo
	v_mul_f32_e32 v3, v5, v2
	v_div_scale_f32 v5, null, 0x40400000, 0x40400000, v3
	v_div_scale_f32 v8, vcc_lo, v3, 0x40400000, v3
	v_rcp_f32_e32 v6, v5
	v_fma_f32 v7, -v5, v6, 1.0
	v_fmac_f32_e32 v6, v7, v6
	v_mul_f32_e32 v7, v8, v6
	v_fma_f32 v9, -v5, v7, v8
	v_fmac_f32_e32 v7, v9, v6
	v_fma_f32 v5, -v5, v7, v8
	v_div_fmas_f32 v5, v5, v6, v7
	v_div_fixup_f32 v3, v5, 0x40400000, v3
	v_div_scale_f32 v5, null, v3, v3, 1.0
	v_div_scale_f32 v8, vcc_lo, 1.0, v3, 1.0
	v_mul_f32_e32 v12, 0x3fb8aa3b, v3
	v_rcp_f32_e32 v6, v5
	v_fma_f32 v15, 0x3fb8aa3b, v3, -v12
	v_rndne_f32_e32 v16, v12
	v_sub_f32_e32 v12, v12, v16
	v_fma_f32 v7, -v5, v6, 1.0
	v_fmac_f32_e32 v6, v7, v6
	v_mul_f32_e32 v7, v8, v6
	v_fma_f32 v9, -v5, v7, v8
	v_fmac_f32_e32 v7, v9, v6
	v_fma_f32 v5, -v5, v7, v8
	v_mul_f32_e32 v8, 0x4f800000, v2
	v_div_fmas_f32 v5, v5, v6, v7
	v_cmp_gt_f32_e32 vcc_lo, 0xf800000, v2
	v_div_fixup_f32 v5, v5, v3, 1.0
	v_cndmask_b32_e32 v2, v2, v8, vcc_lo
	v_fmaak_f32 v6, 0, v5, 0x3f114de0
	v_fmaak_f32 v7, 0, v5, 0x3eb16d71
	v_sqrt_f32_e32 v8, v2
	v_fmaak_f32 v6, v5, v6, 0x416c19a0
	v_fmaak_f32 v7, v5, v7, 0x41401f1c
	;; [unrolled: 1-line block ×4, first 2 shown]
	v_add_nc_u32_e32 v9, -1, v8
	v_add_nc_u32_e32 v10, 1, v8
	v_fmaak_f32 v6, v5, v6, 0x4331516e
	v_fmaak_f32 v7, v5, v7, 0x432816d7
	v_fma_f32 v13, -v9, v8, v2
	v_fma_f32 v14, -v10, v8, v2
	v_fmaak_f32 v6, v5, v6, 0x43243c15
	v_fmaak_f32 v7, v5, v7, 0x431fc1a3
	v_cmp_ge_f32_e64 s0, 0, v13
	v_fmamk_f32 v13, v3, 0x32a5705f, v15
	v_cmp_lt_f32_e64 s1, 0, v14
	v_fmaak_f32 v6, v5, v6, 0x428ef4a7
	v_fmaak_f32 v7, v5, v7, 0x428d127a
	v_cndmask_b32_e64 v8, v8, v9, s0
	v_cvt_i32_f32_e32 v14, v16
	v_fmaak_f32 v6, v5, v6, 0x416188dd
	v_fmaak_f32 v7, v5, v7, 0x41606c6b
	v_cndmask_b32_e64 v8, v8, v10, s1
	v_fma_f32 v6, v5, v6, 1.0
	v_fma_f32 v5, v5, v7, 1.0
	v_div_scale_f32 v7, null, v6, v6, v5
	v_div_scale_f32 v15, s0, v5, v6, v5
	v_rcp_f32_e32 v11, v7
	v_fma_f32 v9, -v7, v11, 1.0
	v_fmac_f32_e32 v11, v9, v11
	v_add_f32_e32 v9, v12, v13
	v_mul_f32_e32 v12, 0x37800000, v8
	v_mul_f32_e32 v10, v15, v11
	v_exp_f32_e32 v9, v9
	v_cndmask_b32_e32 v8, v8, v12, vcc_lo
	v_cmp_class_f32_e64 vcc_lo, v2, 0x260
	v_fma_f32 v13, -v7, v10, v15
	v_cndmask_b32_e32 v2, v8, v2, vcc_lo
	v_cmp_ngt_f32_e32 vcc_lo, 0xc2ce8ed0, v3
	v_fmac_f32_e32 v10, v13, v11
	v_ldexp_f32 v9, v9, v14
	v_add_f32_e32 v2, v2, v2
	v_fma_f32 v7, -v7, v10, v15
	v_cndmask_b32_e32 v8, 0, v9, vcc_lo
	s_mov_b32 vcc_lo, s0
	s_andn2_b32 s0, s33, exec_lo
	v_div_fmas_f32 v7, v7, v11, v10
	v_cmp_nlt_f32_e32 vcc_lo, 0x42b17218, v3
	v_div_fixup_f32 v5, v7, v6, v5
	v_cndmask_b32_e32 v3, 0x7f800000, v8, vcc_lo
	v_mul_f32_e32 v2, v2, v3
	v_mul_f32_e32 v3, 0x3f106ebb, v5
	v_div_scale_f32 v5, null, v2, v2, v3
	v_div_scale_f32 v8, vcc_lo, v3, v2, v3
	v_rcp_f32_e32 v6, v5
	v_fma_f32 v7, -v5, v6, 1.0
	v_fmac_f32_e32 v6, v7, v6
	v_mul_f32_e32 v7, v8, v6
	v_fma_f32 v9, -v5, v7, v8
	v_fmac_f32_e32 v7, v9, v6
	v_fma_f32 v5, -v5, v7, v8
	v_div_fmas_f32 v5, v5, v6, v7
	v_cmp_nlt_f32_e32 vcc_lo, 0x41052018, v1
	v_div_fixup_f32 v2, v5, v2, v3
	s_and_b32 s1, vcc_lo, exec_lo
	s_or_b32 s0, s0, s1
.LBB19_237:
	s_or_b32 exec_lo, exec_lo, s34
	s_and_saveexec_b32 s1, s0
	s_cbranch_execz .LBB19_241
; %bb.238:
	v_mul_f32_e32 v5, v1, v1
	v_mov_b32_e32 v7, 1.0
	v_mov_b32_e32 v8, 1.0
	v_mov_b32_e32 v3, v1
	s_mov_b32 s34, 0
	v_mul_f32_e32 v6, v1, v5
	v_mov_b32_e32 v5, 1.0
.LBB19_239:                             ; =>This Inner Loop Header: Depth=1
	v_mul_f32_e32 v7, v6, v7
	v_add_f32_e32 v8, 1.0, v8
	v_mul_f32_e32 v1, v6, v1
	v_div_scale_f32 v9, null, v8, v8, v7
	v_div_scale_f32 v12, vcc_lo, v7, v8, v7
	v_add_f32_e32 v11, 1.0, v8
	v_rcp_f32_e32 v10, v9
	v_div_scale_f32 v13, null, v11, v11, v1
	v_fma_f32 v14, -v9, v10, 1.0
	v_fmac_f32_e32 v10, v14, v10
	v_mul_f32_e32 v14, v12, v10
	v_fma_f32 v15, -v9, v14, v12
	v_fmac_f32_e32 v14, v15, v10
	v_fma_f32 v9, -v9, v14, v12
	v_div_fmas_f32 v9, v9, v10, v14
	v_div_scale_f32 v12, vcc_lo, v1, v11, v1
	v_div_fixup_f32 v7, v9, v8, v7
	v_rcp_f32_e32 v9, v13
	v_div_scale_f32 v8, null, v11, v11, v7
	v_div_scale_f32 v15, s0, v7, v11, v7
	v_rcp_f32_e32 v10, v8
	v_fma_f32 v14, -v13, v9, 1.0
	v_fmac_f32_e32 v9, v14, v9
	v_fma_f32 v14, -v8, v10, 1.0
	v_fmac_f32_e32 v10, v14, v10
	v_mul_f32_e32 v14, v12, v9
	v_mul_f32_e32 v16, v15, v10
	v_fma_f32 v17, -v13, v14, v12
	v_fma_f32 v18, -v8, v16, v15
	v_fmac_f32_e32 v14, v17, v9
	v_fmac_f32_e32 v16, v18, v10
	v_fma_f32 v12, -v13, v14, v12
	v_fma_f32 v8, -v8, v16, v15
	v_div_fmas_f32 v9, v12, v9, v14
	s_mov_b32 vcc_lo, s0
	v_div_fmas_f32 v10, v8, v10, v16
	v_add_f32_e32 v8, 1.0, v11
	v_div_fixup_f32 v1, v9, v11, v1
	v_div_fixup_f32 v7, v10, v11, v7
	v_div_scale_f32 v9, null, v8, v8, v1
	v_div_scale_f32 v13, vcc_lo, v1, v8, v1
	v_add_f32_e32 v5, v5, v7
	v_rcp_f32_e32 v11, v9
	v_div_scale_f32 v10, null, v5, v5, v7
	v_rcp_f32_e32 v12, v10
	v_fma_f32 v14, -v9, v11, 1.0
	v_fmac_f32_e32 v11, v14, v11
	v_div_scale_f32 v14, s0, v7, v5, v7
	v_fma_f32 v15, -v10, v12, 1.0
	v_fmac_f32_e32 v12, v15, v12
	v_mul_f32_e32 v15, v13, v11
	v_mul_f32_e32 v16, v14, v12
	v_fma_f32 v17, -v9, v15, v13
	v_fma_f32 v18, -v10, v16, v14
	v_fmac_f32_e32 v15, v17, v11
	v_fmac_f32_e32 v16, v18, v12
	v_fma_f32 v9, -v9, v15, v13
	v_fma_f32 v10, -v10, v16, v14
	v_div_fmas_f32 v9, v9, v11, v15
	s_mov_b32 vcc_lo, s0
	v_div_fmas_f32 v10, v10, v12, v16
	v_div_fixup_f32 v1, v9, v8, v1
	v_div_fixup_f32 v10, v10, v5, v7
	v_add_f32_e32 v3, v3, v1
	v_cmp_nlt_f32_e64 s0, 0x34000000, |v10|
	s_or_b32 s34, s0, s34
	s_andn2_b32 exec_lo, exec_lo, s34
	s_cbranch_execnz .LBB19_239
; %bb.240:
	s_or_b32 exec_lo, exec_lo, s34
	v_mul_f32_e32 v1, 0xbe8483fa, v3
	v_fmamk_f32 v1, v5, 0x3eb5c63d, v1
	v_cndmask_b32_e64 v2, v2, v1, s33
.LBB19_241:
	s_or_b32 exec_lo, exec_lo, s1
                                        ; implicit-def: $vgpr1
.LBB19_242:
	s_andn2_saveexec_b32 s33, s2
	s_cbranch_execz .LBB19_261
; %bb.243:
	v_mul_f32_e32 v2, 0xcf800000, v1
	v_cmp_lt_f32_e32 vcc_lo, 0x8f800000, v1
	v_cndmask_b32_e64 v2, -v1, v2, vcc_lo
	v_mul_f32_e32 v1, -2.0, v1
	v_sqrt_f32_e32 v3, v2
	v_add_nc_u32_e32 v5, -1, v3
	v_add_nc_u32_e32 v6, 1, v3
	v_fma_f32 v7, -v5, v3, v2
	v_fma_f32 v8, -v6, v3, v2
	v_cmp_ge_f32_e64 s0, 0, v7
	v_cndmask_b32_e64 v3, v3, v5, s0
	v_cmp_lt_f32_e64 s0, 0, v8
	v_cndmask_b32_e64 v3, v3, v6, s0
	v_mul_f32_e32 v5, 0x37800000, v3
	v_cndmask_b32_e32 v3, v3, v5, vcc_lo
	v_cmp_class_f32_e64 vcc_lo, v2, 0x260
	v_cndmask_b32_e32 v2, v3, v2, vcc_lo
	v_mul_f32_e32 v1, v1, v2
	v_div_scale_f32 v3, null, 0x40400000, 0x40400000, v1
	v_div_scale_f32 v7, vcc_lo, v1, 0x40400000, v1
	v_rcp_f32_e32 v5, v3
	v_fma_f32 v6, -v3, v5, 1.0
	v_fmac_f32_e32 v5, v6, v5
	v_mul_f32_e32 v6, v7, v5
	v_fma_f32 v8, -v3, v6, v7
	v_fmac_f32_e32 v6, v8, v5
                                        ; implicit-def: $vgpr8
	v_fma_f32 v3, -v3, v6, v7
	v_div_fmas_f32 v3, v3, v5, v6
                                        ; implicit-def: $vgpr5
	v_div_fixup_f32 v3, v3, 0x40400000, v1
	v_add_f32_e32 v1, 0x3f490fdb, v3
	v_and_b32_e32 v6, 0x7fffffff, v1
	v_cmp_ngt_f32_e64 s2, 0x48000000, |v1|
	s_and_saveexec_b32 s0, s2
	s_xor_b32 s34, exec_lo, s0
	s_cbranch_execz .LBB19_254
; %bb.244:
	s_mov_b32 s0, 0x7fffff
	v_mov_b32_e32 v9, 0
	v_and_or_b32 v5, v6, s0, 0x800000
	v_lshrrev_b32_e32 v14, 23, v6
	v_mad_u64_u32 v[7:8], null, 0xfe5163ab, v5, 0
	v_add_nc_u32_e32 v15, 0xffffff88, v14
	v_cmp_lt_u32_e32 vcc_lo, 63, v15
	v_mad_u64_u32 v[10:11], null, 0x3c439041, v5, v[8:9]
	v_cndmask_b32_e64 v16, 0, 0xffffffc0, vcc_lo
	v_mov_b32_e32 v8, v11
	v_add_nc_u32_e32 v16, v16, v15
	v_mad_u64_u32 v[11:12], null, 0xdb629599, v5, v[8:9]
	v_cmp_lt_u32_e64 s0, 31, v16
	v_cndmask_b32_e64 v17, 0, 0xffffffe0, s0
	v_mov_b32_e32 v8, v12
	v_cndmask_b32_e32 v7, v11, v7, vcc_lo
	v_mad_u64_u32 v[12:13], null, 0xf534ddc0, v5, v[8:9]
	v_mov_b32_e32 v8, v13
	v_cndmask_b32_e32 v10, v12, v10, vcc_lo
	v_mad_u64_u32 v[13:14], null, 0xfc2757d1, v5, v[8:9]
	v_cndmask_b32_e64 v7, v10, v7, s0
	v_mov_b32_e32 v8, v14
	v_mad_u64_u32 v[14:15], null, 0x4e441529, v5, v[8:9]
	v_mov_b32_e32 v8, v15
	v_add_nc_u32_e32 v15, v17, v16
	v_cndmask_b32_e32 v16, v14, v12, vcc_lo
	v_mad_u64_u32 v[8:9], null, 0xa2f9836e, v5, v[8:9]
	v_cmp_lt_u32_e64 s1, 31, v15
	v_cndmask_b32_e64 v5, 0, 0xffffffe0, s1
	v_cndmask_b32_e32 v8, v8, v13, vcc_lo
	v_cndmask_b32_e32 v9, v9, v14, vcc_lo
	;; [unrolled: 1-line block ×3, first 2 shown]
	v_add_nc_u32_e32 v5, v5, v15
	v_cndmask_b32_e64 v12, v8, v16, s0
	v_cndmask_b32_e64 v8, v9, v8, s0
	v_cndmask_b32_e64 v9, v16, v13, s0
	v_cndmask_b32_e64 v13, v13, v10, s0
	v_sub_nc_u32_e32 v14, 32, v5
	v_cmp_eq_u32_e32 vcc_lo, 0, v5
	v_cndmask_b32_e64 v8, v8, v12, s1
	v_cndmask_b32_e64 v12, v12, v9, s1
	;; [unrolled: 1-line block ×4, first 2 shown]
	v_alignbit_b32 v15, v8, v12, v14
	v_alignbit_b32 v11, v12, v9, v14
	;; [unrolled: 1-line block ×3, first 2 shown]
	v_cndmask_b32_e32 v5, v15, v8, vcc_lo
	v_cndmask_b32_e32 v8, v11, v12, vcc_lo
	;; [unrolled: 1-line block ×3, first 2 shown]
	v_bfe_u32 v10, v5, 29, 1
	v_alignbit_b32 v11, v5, v8, 30
	v_alignbit_b32 v8, v8, v9, 30
	;; [unrolled: 1-line block ×3, first 2 shown]
	v_sub_nc_u32_e32 v12, 0, v10
	v_xor_b32_e32 v11, v11, v12
	v_xor_b32_e32 v8, v8, v12
	;; [unrolled: 1-line block ×3, first 2 shown]
	v_lshrrev_b32_e32 v12, 29, v5
	v_ffbh_u32_e32 v13, v11
	v_min_u32_e32 v13, 32, v13
	v_sub_nc_u32_e32 v9, 31, v13
	v_lshlrev_b32_e32 v14, 23, v13
	v_alignbit_b32 v11, v11, v8, v9
	v_alignbit_b32 v7, v8, v7, v9
	v_lshlrev_b32_e32 v8, 31, v12
	v_alignbit_b32 v9, v11, v7, 9
	v_or_b32_e32 v12, 0.5, v8
	v_lshrrev_b32_e32 v11, 9, v11
	v_or_b32_e32 v8, 0x33000000, v8
	v_ffbh_u32_e32 v15, v9
	v_sub_nc_u32_e32 v12, v12, v14
	v_min_u32_e32 v14, 32, v15
	v_or_b32_e32 v11, v11, v12
	v_not_b32_e32 v12, v14
	v_mul_f32_e32 v15, 0x3fc90fda, v11
	v_add_lshl_u32 v13, v14, v13, 23
	v_alignbit_b32 v7, v9, v7, v12
	v_fma_f32 v9, 0x3fc90fda, v11, -v15
	v_sub_nc_u32_e32 v8, v8, v13
	v_lshrrev_b32_e32 v7, 9, v7
	v_fmamk_f32 v9, v11, 0x33a22168, v9
	v_or_b32_e32 v7, v8, v7
	v_fmac_f32_e32 v9, 0x3fc90fda, v7
	v_lshrrev_b32_e32 v7, 30, v5
	v_add_f32_e32 v5, v15, v9
	v_add_nc_u32_e32 v8, v10, v7
	s_andn2_saveexec_b32 s0, s34
	s_branch .LBB19_255
.LBB19_245:
	s_andn2_saveexec_b32 s0, s2
.LBB19_246:
	v_mul_f32_e64 v7, 0x3f22f983, |v1|
	v_rndne_f32_e32 v9, v7
	v_fma_f32 v7, 0xbfc90fda, v9, |v1|
	v_fmamk_f32 v7, v9, 0xb3a22168, v7
	v_fmamk_f32 v7, v9, 0xa7c234c4, v7
	v_cvt_i32_f32_e32 v9, v9
.LBB19_247:
	s_or_b32 exec_lo, exec_lo, s0
	v_div_scale_f32 v10, null, v3, v3, 1.0
	v_div_scale_f32 v13, vcc_lo, 1.0, v3, 1.0
	v_mul_f32_e32 v16, 0x4f800000, v2
	v_rcp_f32_e32 v11, v10
	v_mul_f32_e32 v15, v5, v5
	s_mov_b32 s0, 0xb94c1982
	s_mov_b32 s1, 0x37d75334
	v_and_b32_e32 v17, 1, v9
	v_xor_b32_e32 v6, v6, v1
	v_lshlrev_b32_e32 v9, 30, v9
	v_fma_f32 v12, -v10, v11, 1.0
	v_and_b32_e32 v9, 0x80000000, v9
	v_fmac_f32_e32 v11, v12, v11
	v_mul_f32_e32 v12, v13, v11
	v_fma_f32 v14, -v10, v12, v13
	v_fmac_f32_e32 v12, v14, v11
	v_and_b32_e32 v14, 1, v8
	v_lshlrev_b32_e32 v8, 30, v8
	v_fma_f32 v10, -v10, v12, v13
	v_mul_f32_e32 v13, v7, v7
	v_cmp_eq_u32_e64 s2, 0, v14
	v_and_b32_e32 v8, 0x80000000, v8
	v_div_fmas_f32 v10, v10, v11, v12
	v_cmp_gt_f32_e32 vcc_lo, 0xf800000, v2
	v_fmaak_f32 v11, s0, v15, 0x3c0881c4
	v_fmaak_f32 v12, s1, v15, 0xbab64f3b
	v_div_fixup_f32 v3, v10, v3, 1.0
	v_cndmask_b32_e32 v2, v2, v16, vcc_lo
	v_fmaak_f32 v10, s0, v13, 0x3c0881c4
	v_fmaak_f32 v16, s1, v13, 0xbab64f3b
	;; [unrolled: 1-line block ×3, first 2 shown]
	v_mul_f32_e32 v18, v3, v3
	v_sqrt_f32_e32 v19, v2
	v_fmaak_f32 v12, v15, v12, 0x3d2aabf7
	v_fmaak_f32 v10, v13, v10, 0xbe2aaa9d
	;; [unrolled: 1-line block ×7, first 2 shown]
	v_mul_f32_e32 v11, v15, v11
	v_fmaak_f32 v20, v18, v20, 0x3ec83ea8
	v_fmaak_f32 v21, v18, v21, 0xbf205f75
	;; [unrolled: 1-line block ×4, first 2 shown]
	v_add_nc_u32_e32 v24, -1, v19
	v_fmaak_f32 v20, v18, v20, 0x3f886c1a
	v_fmaak_f32 v21, v18, v21, 0xbf3172ce
	;; [unrolled: 1-line block ×4, first 2 shown]
	v_add_nc_u32_e32 v25, 1, v19
	v_fmaak_f32 v20, v18, v20, 0x3f706d65
	v_fmaak_f32 v21, v18, v21, 0xbe8f3f52
	v_fma_f32 v26, -v24, v19, v2
	v_fmaak_f32 v22, v18, v22, 0x4112fe41
	v_fmaak_f32 v23, v18, v23, 0x40af4271
	;; [unrolled: 1-line block ×4, first 2 shown]
	v_fma_f32 v27, -v25, v19, v2
	v_cmp_ge_f32_e64 s0, 0, v26
	v_fmaak_f32 v22, v18, v22, 0x3fbcd65a
	v_fmaak_f32 v20, v18, v20, 0x3d81d209
	;; [unrolled: 1-line block ×4, first 2 shown]
	v_cndmask_b32_e64 v19, v19, v24, s0
	v_cmp_lt_f32_e64 s0, 0, v27
	v_fmaak_f32 v20, v18, v20, 0x3bbff4d0
	v_fmaak_f32 v22, v18, v22, 0x3deced66
	v_fmaak_f32 v23, v18, v23, 0x3db110ef
	v_fmaak_f32 v21, v18, v21, 0xb9270375
	v_cndmask_b32_e64 v19, v19, v25, s0
	v_fmaak_f32 v20, v18, v20, 0x39944bb3
	v_fmaak_f32 v22, v18, v22, 0x3b904657
	;; [unrolled: 1-line block ×4, first 2 shown]
	v_mul_f32_e32 v24, 0x37800000, v19
	v_fmaak_f32 v20, v18, v20, 0x36ea79eb
	v_fmaak_f32 v22, v18, v22, 0x389e46bd
	;; [unrolled: 1-line block ×4, first 2 shown]
	v_cndmask_b32_e32 v19, v19, v24, vcc_lo
	v_fmaak_f32 v20, v18, v20, 0x33ae5496
	v_cmp_class_f32_e64 vcc_lo, v2, 0x260
	v_fmaak_f32 v22, v18, v22, 0x34f295ce
	v_fmaak_f32 v23, v18, v23, 0x359d422f
	v_mul_f32_e32 v21, v18, v21
	v_fmaak_f32 v20, v18, v20, 0x2fbbc524
	v_cndmask_b32_e32 v2, v19, v2, vcc_lo
	v_fmaak_f32 v12, v15, v12, 0xbf000004
	v_fmaak_f32 v18, v18, v23, 0x31a8fe3a
	v_div_scale_f32 v19, null, v22, v22, v21
	v_mul_f32_e32 v3, v3, v20
	v_div_scale_f32 v20, null, v2, v2, 0x3f106ebb
	v_rcp_f32_e32 v23, v19
	v_mul_f32_e32 v10, v13, v10
	v_div_scale_f32 v24, null, v18, v18, v3
	v_rcp_f32_e32 v25, v20
	v_fmaak_f32 v16, v13, v16, 0xbf000004
	v_fmac_f32_e32 v5, v5, v11
	v_fma_f32 v11, v15, v12, 1.0
	v_rcp_f32_e32 v12, v24
	v_fmac_f32_e32 v7, v7, v10
	v_fma_f32 v10, v13, v16, 1.0
	v_fma_f32 v13, -v19, v23, 1.0
	v_div_scale_f32 v26, vcc_lo, v21, v22, v21
	v_fma_f32 v16, -v20, v25, 1.0
	v_div_scale_f32 v15, s0, 0x3f106ebb, v2, 0x3f106ebb
	v_fmac_f32_e32 v23, v13, v23
	v_fma_f32 v13, -v24, v12, 1.0
	v_fmac_f32_e32 v25, v16, v25
	v_div_scale_f32 v16, s1, v3, v18, v3
	v_mul_f32_e32 v27, v26, v23
	v_fmac_f32_e32 v12, v13, v12
	v_mul_f32_e32 v13, v15, v25
	v_cndmask_b32_e64 v5, v11, v5, s2
	v_cmp_eq_u32_e64 s2, 0, v17
	v_fma_f32 v11, -v19, v27, v26
	v_mul_f32_e32 v14, v16, v12
	v_fma_f32 v28, -v20, v13, v15
	v_xor3_b32 v5, v6, v8, v5
	v_cndmask_b32_e64 v7, -v7, v10, s2
	v_fmac_f32_e32 v27, v11, v23
	v_fma_f32 v10, -v24, v14, v16
	v_fmac_f32_e32 v13, v28, v25
	v_cmp_class_f32_e64 s2, v1, 0x1f8
	v_xor_b32_e32 v7, v9, v7
	v_fma_f32 v1, -v19, v27, v26
	v_fmac_f32_e32 v14, v10, v12
	v_fma_f32 v6, -v20, v13, v15
	v_cndmask_b32_e64 v5, 0x7fc00000, v5, s2
	v_cndmask_b32_e64 v7, 0x7fc00000, v7, s2
	v_div_fmas_f32 v1, v1, v23, v27
	v_fma_f32 v8, -v24, v14, v16
	s_mov_b32 vcc_lo, s0
	v_div_fmas_f32 v6, v6, v25, v13
	s_mov_b32 vcc_lo, s1
	v_div_fixup_f32 v1, v1, v22, v21
	v_div_fmas_f32 v8, v8, v12, v14
	v_div_fixup_f32 v2, v6, v2, 0x3f106ebb
	v_add_f32_e32 v1, 1.0, v1
	v_div_fixup_f32 v3, v8, v18, v3
	v_mul_f32_e32 v3, v3, v7
	v_fma_f32 v1, v1, v5, -v3
	v_mul_f32_e32 v2, v2, v1
.LBB19_248:
	s_or_b32 exec_lo, exec_lo, s33
.LBB19_249:
	s_or_b32 exec_lo, exec_lo, s31
.LBB19_250:
	s_or_b32 exec_lo, exec_lo, s3
	v_add_nc_u32_e32 v4, 0x80, v4
	global_store_dword v0, v2, s[4:5]
	s_or_b32 exec_lo, exec_lo, s30
	s_mov_b32 s30, exec_lo
	v_cmpx_gt_i32_e64 s27, v4
	s_cbranch_execnz .LBB19_218
.LBB19_251:
	s_or_b32 exec_lo, exec_lo, s30
	v_cmp_gt_i32_e32 vcc_lo, s27, v4
	s_and_saveexec_b32 s27, vcc_lo
	s_cbranch_execnz .LBB19_264
.LBB19_252:
	s_or_b32 exec_lo, exec_lo, s27
                                        ; implicit-def: $vgpr13
                                        ; implicit-def: $vgpr4
	s_andn2_saveexec_b32 s0, s25
	s_cbranch_execnz .LBB19_8
.LBB19_253:
	s_endpgm
.LBB19_254:
	s_andn2_saveexec_b32 s0, s34
.LBB19_255:
	v_mul_f32_e64 v5, 0x3f22f983, |v1|
	v_rndne_f32_e32 v7, v5
	v_fma_f32 v5, 0xbfc90fda, v7, |v1|
	v_cvt_i32_f32_e32 v8, v7
	v_fmamk_f32 v5, v7, 0xb3a22168, v5
	v_fmamk_f32 v5, v7, 0xa7c234c4, v5
; %bb.256:
	s_or_b32 exec_lo, exec_lo, s0
                                        ; implicit-def: $vgpr9
                                        ; implicit-def: $vgpr7
	s_and_saveexec_b32 s0, s2
	s_xor_b32 s2, exec_lo, s0
	s_cbranch_execz .LBB19_258
; %bb.257:
	s_mov_b32 s0, 0x7fffff
	v_mov_b32_e32 v11, 0
	v_and_or_b32 v7, v6, s0, 0x800000
	v_lshrrev_b32_e32 v16, 23, v6
	v_mad_u64_u32 v[9:10], null, 0xfe5163ab, v7, 0
	v_add_nc_u32_e32 v17, 0xffffff88, v16
	v_cmp_lt_u32_e32 vcc_lo, 63, v17
	v_mad_u64_u32 v[12:13], null, 0x3c439041, v7, v[10:11]
	v_cndmask_b32_e64 v18, 0, 0xffffffc0, vcc_lo
	v_mov_b32_e32 v10, v13
	v_add_nc_u32_e32 v18, v18, v17
	v_mad_u64_u32 v[13:14], null, 0xdb629599, v7, v[10:11]
	v_cmp_lt_u32_e64 s0, 31, v18
	v_cndmask_b32_e64 v19, 0, 0xffffffe0, s0
	v_mov_b32_e32 v10, v14
	v_cndmask_b32_e32 v9, v13, v9, vcc_lo
	v_mad_u64_u32 v[14:15], null, 0xf534ddc0, v7, v[10:11]
	v_mov_b32_e32 v10, v15
	v_cndmask_b32_e32 v12, v14, v12, vcc_lo
	v_mad_u64_u32 v[15:16], null, 0xfc2757d1, v7, v[10:11]
	v_cndmask_b32_e64 v9, v12, v9, s0
	v_mov_b32_e32 v10, v16
	v_mad_u64_u32 v[16:17], null, 0x4e441529, v7, v[10:11]
	v_mov_b32_e32 v10, v17
	v_add_nc_u32_e32 v17, v19, v18
	v_cndmask_b32_e32 v18, v16, v14, vcc_lo
	v_mad_u64_u32 v[10:11], null, 0xa2f9836e, v7, v[10:11]
	v_cmp_lt_u32_e64 s1, 31, v17
	v_cndmask_b32_e64 v7, 0, 0xffffffe0, s1
	v_cndmask_b32_e32 v10, v10, v15, vcc_lo
	v_cndmask_b32_e32 v11, v11, v16, vcc_lo
	;; [unrolled: 1-line block ×3, first 2 shown]
	v_add_nc_u32_e32 v7, v7, v17
	v_cndmask_b32_e64 v14, v10, v18, s0
	v_cndmask_b32_e64 v10, v11, v10, s0
	;; [unrolled: 1-line block ×4, first 2 shown]
	v_sub_nc_u32_e32 v16, 32, v7
	v_cmp_eq_u32_e32 vcc_lo, 0, v7
	v_cndmask_b32_e64 v10, v10, v14, s1
	v_cndmask_b32_e64 v14, v14, v11, s1
	;; [unrolled: 1-line block ×4, first 2 shown]
	v_alignbit_b32 v17, v10, v14, v16
	v_alignbit_b32 v13, v14, v11, v16
	;; [unrolled: 1-line block ×3, first 2 shown]
	v_cndmask_b32_e32 v7, v17, v10, vcc_lo
	v_cndmask_b32_e32 v10, v13, v14, vcc_lo
	;; [unrolled: 1-line block ×3, first 2 shown]
	v_bfe_u32 v12, v7, 29, 1
	v_alignbit_b32 v13, v7, v10, 30
	v_alignbit_b32 v10, v10, v11, 30
	;; [unrolled: 1-line block ×3, first 2 shown]
	v_sub_nc_u32_e32 v14, 0, v12
	v_xor_b32_e32 v13, v13, v14
	v_xor_b32_e32 v10, v10, v14
	;; [unrolled: 1-line block ×3, first 2 shown]
	v_lshrrev_b32_e32 v14, 29, v7
	v_ffbh_u32_e32 v15, v13
	v_min_u32_e32 v15, 32, v15
	v_sub_nc_u32_e32 v11, 31, v15
	v_lshlrev_b32_e32 v16, 23, v15
	v_alignbit_b32 v13, v13, v10, v11
	v_alignbit_b32 v9, v10, v9, v11
	v_lshlrev_b32_e32 v10, 31, v14
	v_alignbit_b32 v11, v13, v9, 9
	v_or_b32_e32 v14, 0.5, v10
	v_lshrrev_b32_e32 v13, 9, v13
	v_or_b32_e32 v10, 0x33000000, v10
	v_ffbh_u32_e32 v17, v11
	v_sub_nc_u32_e32 v14, v14, v16
	v_min_u32_e32 v16, 32, v17
	v_or_b32_e32 v13, v13, v14
	v_not_b32_e32 v14, v16
	v_mul_f32_e32 v17, 0x3fc90fda, v13
	v_add_lshl_u32 v15, v16, v15, 23
	v_alignbit_b32 v9, v11, v9, v14
	v_fma_f32 v11, 0x3fc90fda, v13, -v17
	v_sub_nc_u32_e32 v10, v10, v15
	v_lshrrev_b32_e32 v9, 9, v9
	v_fmamk_f32 v11, v13, 0x33a22168, v11
	v_or_b32_e32 v9, v10, v9
	v_fmac_f32_e32 v11, 0x3fc90fda, v9
	v_lshrrev_b32_e32 v9, 30, v7
	v_add_f32_e32 v7, v17, v11
	v_add_nc_u32_e32 v9, v12, v9
	s_andn2_saveexec_b32 s0, s2
	s_cbranch_execnz .LBB19_259
	s_branch .LBB19_260
.LBB19_258:
	s_andn2_saveexec_b32 s0, s2
.LBB19_259:
	v_mul_f32_e64 v7, 0x3f22f983, |v1|
	v_rndne_f32_e32 v9, v7
	v_fma_f32 v7, 0xbfc90fda, v9, |v1|
	v_fmamk_f32 v7, v9, 0xb3a22168, v7
	v_fmamk_f32 v7, v9, 0xa7c234c4, v7
	v_cvt_i32_f32_e32 v9, v9
.LBB19_260:
	s_or_b32 exec_lo, exec_lo, s0
	v_div_scale_f32 v10, null, v3, v3, 1.0
	v_div_scale_f32 v13, vcc_lo, 1.0, v3, 1.0
	v_mul_f32_e32 v16, 0x4f800000, v2
	v_rcp_f32_e32 v11, v10
	v_mul_f32_e32 v15, v5, v5
	s_mov_b32 s0, 0xb94c1982
	s_mov_b32 s1, 0x37d75334
	v_and_b32_e32 v17, 1, v9
	v_xor_b32_e32 v6, v6, v1
	v_lshlrev_b32_e32 v9, 30, v9
	v_fma_f32 v12, -v10, v11, 1.0
	v_and_b32_e32 v9, 0x80000000, v9
	v_fmac_f32_e32 v11, v12, v11
	v_mul_f32_e32 v12, v13, v11
	v_fma_f32 v14, -v10, v12, v13
	v_fmac_f32_e32 v12, v14, v11
	v_and_b32_e32 v14, 1, v8
	v_lshlrev_b32_e32 v8, 30, v8
	v_fma_f32 v10, -v10, v12, v13
	v_mul_f32_e32 v13, v7, v7
	v_cmp_eq_u32_e64 s2, 0, v14
	v_and_b32_e32 v8, 0x80000000, v8
	v_div_fmas_f32 v10, v10, v11, v12
	v_cmp_gt_f32_e32 vcc_lo, 0xf800000, v2
	v_fmaak_f32 v11, s0, v15, 0x3c0881c4
	v_fmaak_f32 v12, s1, v15, 0xbab64f3b
	v_div_fixup_f32 v3, v10, v3, 1.0
	v_cndmask_b32_e32 v2, v2, v16, vcc_lo
	v_fmaak_f32 v10, s0, v13, 0x3c0881c4
	v_fmaak_f32 v16, s1, v13, 0xbab64f3b
	v_fmaak_f32 v11, v15, v11, 0xbe2aaa9d
	v_mul_f32_e32 v18, v3, v3
	v_sqrt_f32_e32 v19, v2
	v_fmaak_f32 v12, v15, v12, 0x3d2aabf7
	v_fmaak_f32 v10, v13, v10, 0xbe2aaa9d
	;; [unrolled: 1-line block ×7, first 2 shown]
	v_mul_f32_e32 v11, v15, v11
	v_fmaak_f32 v20, v18, v20, 0x3ec83ea8
	v_fmaak_f32 v21, v18, v21, 0xbf205f75
	;; [unrolled: 1-line block ×4, first 2 shown]
	v_add_nc_u32_e32 v24, -1, v19
	v_fmaak_f32 v20, v18, v20, 0x3f886c1a
	v_fmaak_f32 v21, v18, v21, 0xbf3172ce
	;; [unrolled: 1-line block ×4, first 2 shown]
	v_add_nc_u32_e32 v25, 1, v19
	v_fmaak_f32 v20, v18, v20, 0x3f706d65
	v_fmaak_f32 v21, v18, v21, 0xbe8f3f52
	v_fma_f32 v26, -v24, v19, v2
	v_fmaak_f32 v22, v18, v22, 0x4112fe41
	v_fmaak_f32 v23, v18, v23, 0x40af4271
	;; [unrolled: 1-line block ×4, first 2 shown]
	v_fma_f32 v27, -v25, v19, v2
	v_cmp_ge_f32_e64 s0, 0, v26
	v_fmaak_f32 v22, v18, v22, 0x3fbcd65a
	v_fmaak_f32 v20, v18, v20, 0x3d81d209
	;; [unrolled: 1-line block ×4, first 2 shown]
	v_cndmask_b32_e64 v19, v19, v24, s0
	v_cmp_lt_f32_e64 s0, 0, v27
	v_fmaak_f32 v20, v18, v20, 0x3bbff4d0
	v_fmaak_f32 v22, v18, v22, 0x3deced66
	;; [unrolled: 1-line block ×4, first 2 shown]
	v_cndmask_b32_e64 v19, v19, v25, s0
	v_fmaak_f32 v20, v18, v20, 0x39944bb3
	v_fmaak_f32 v22, v18, v22, 0x3b904657
	;; [unrolled: 1-line block ×4, first 2 shown]
	v_mul_f32_e32 v24, 0x37800000, v19
	v_fmaak_f32 v20, v18, v20, 0x36ea79eb
	v_fmaak_f32 v22, v18, v22, 0x389e46bd
	;; [unrolled: 1-line block ×4, first 2 shown]
	v_cndmask_b32_e32 v19, v19, v24, vcc_lo
	v_fmaak_f32 v20, v18, v20, 0x33ae5496
	v_cmp_class_f32_e64 vcc_lo, v2, 0x260
	v_fmaak_f32 v22, v18, v22, 0x34f295ce
	v_fmaak_f32 v23, v18, v23, 0x359d422f
	v_mul_f32_e32 v21, v18, v21
	v_fmaak_f32 v20, v18, v20, 0x2fbbc524
	v_cndmask_b32_e32 v2, v19, v2, vcc_lo
	v_fmaak_f32 v12, v15, v12, 0xbf000004
	v_fmaak_f32 v18, v18, v23, 0x31a8fe3a
	v_div_scale_f32 v19, null, v22, v22, v21
	v_mul_f32_e32 v3, v3, v20
	v_div_scale_f32 v20, null, v2, v2, 0x3f106ebb
	v_rcp_f32_e32 v23, v19
	v_mul_f32_e32 v10, v13, v10
	v_div_scale_f32 v24, null, v18, v18, v3
	v_rcp_f32_e32 v25, v20
	v_fmaak_f32 v16, v13, v16, 0xbf000004
	v_fmac_f32_e32 v5, v5, v11
	v_fma_f32 v11, v15, v12, 1.0
	v_rcp_f32_e32 v12, v24
	v_fmac_f32_e32 v7, v7, v10
	v_fma_f32 v10, v13, v16, 1.0
	v_fma_f32 v13, -v19, v23, 1.0
	v_div_scale_f32 v26, vcc_lo, v21, v22, v21
	v_fma_f32 v16, -v20, v25, 1.0
	v_div_scale_f32 v15, s0, 0x3f106ebb, v2, 0x3f106ebb
	v_fmac_f32_e32 v23, v13, v23
	v_fma_f32 v13, -v24, v12, 1.0
	v_fmac_f32_e32 v25, v16, v25
	v_div_scale_f32 v16, s1, v3, v18, v3
	v_mul_f32_e32 v27, v26, v23
	v_fmac_f32_e32 v12, v13, v12
	v_mul_f32_e32 v13, v15, v25
	v_cndmask_b32_e64 v5, v11, v5, s2
	v_cmp_eq_u32_e64 s2, 0, v17
	v_fma_f32 v11, -v19, v27, v26
	v_mul_f32_e32 v14, v16, v12
	v_fma_f32 v28, -v20, v13, v15
	v_xor3_b32 v5, v6, v8, v5
	v_cndmask_b32_e64 v7, -v7, v10, s2
	v_fmac_f32_e32 v27, v11, v23
	v_fma_f32 v10, -v24, v14, v16
	v_fmac_f32_e32 v13, v28, v25
	v_cmp_class_f32_e64 s2, v1, 0x1f8
	v_xor_b32_e32 v7, v9, v7
	v_fma_f32 v1, -v19, v27, v26
	v_fmac_f32_e32 v14, v10, v12
	v_fma_f32 v6, -v20, v13, v15
	v_cndmask_b32_e64 v5, 0x7fc00000, v5, s2
	v_cndmask_b32_e64 v7, 0x7fc00000, v7, s2
	v_div_fmas_f32 v1, v1, v23, v27
	v_fma_f32 v8, -v24, v14, v16
	s_mov_b32 vcc_lo, s0
	v_div_fmas_f32 v6, v6, v25, v13
	s_mov_b32 vcc_lo, s1
	v_div_fixup_f32 v1, v1, v22, v21
	v_div_fmas_f32 v8, v8, v12, v14
	v_div_fixup_f32 v2, v6, v2, 0x3f106ebb
	v_add_f32_e32 v1, 1.0, v1
	v_div_fixup_f32 v3, v8, v18, v3
	v_mul_f32_e32 v3, v3, v7
	v_fma_f32 v1, v1, v5, -v3
	v_mul_f32_e32 v2, v2, v1
.LBB19_261:
	s_or_b32 exec_lo, exec_lo, s33
.LBB19_262:
	s_or_b32 exec_lo, exec_lo, s31
.LBB19_263:
	s_or_b32 exec_lo, exec_lo, s3
	v_add_nc_u32_e32 v4, 0x80, v4
	global_store_dword v0, v2, s[4:5]
	s_or_b32 exec_lo, exec_lo, s30
	v_cmp_gt_i32_e32 vcc_lo, s27, v4
	s_and_saveexec_b32 s27, vcc_lo
	s_cbranch_execz .LBB19_252
.LBB19_264:
	s_andn2_b32 vcc_lo, exec_lo, s24
	s_cbranch_vccnz .LBB19_269
; %bb.265:
	s_andn2_b32 vcc_lo, exec_lo, s29
	s_cbranch_vccnz .LBB19_270
; %bb.266:
	s_add_i32 s28, s28, 1
	s_cmp_eq_u32 s23, 2
	s_cbranch_scc1 .LBB19_271
; %bb.267:
	v_mov_b32_e32 v2, 0
	v_mov_b32_e32 v0, 0
	;; [unrolled: 1-line block ×3, first 2 shown]
	s_and_b32 s2, s28, 28
	s_mov_b32 s3, 0
	s_mov_b64 s[0:1], s[16:17]
.LBB19_268:                             ; =>This Inner Loop Header: Depth=1
	s_clause 0x1
	s_load_dwordx8 s[36:43], s[0:1], 0x4
	s_load_dwordx4 s[52:55], s[0:1], 0x24
	s_load_dwordx8 s[44:51], s[20:21], 0x0
	s_add_u32 s0, s0, 48
	s_addc_u32 s1, s1, 0
	s_add_i32 s3, s3, 4
	s_add_u32 s20, s20, 32
	s_addc_u32 s21, s21, 0
	s_cmp_eq_u32 s2, s3
	s_waitcnt lgkmcnt(0)
	v_mul_hi_u32 v3, s37, v1
	v_add_nc_u32_e32 v3, v1, v3
	v_lshrrev_b32_e32 v3, s38, v3
	v_mul_hi_u32 v5, s40, v3
	v_mul_lo_u32 v7, v3, s36
	v_add_nc_u32_e32 v5, v3, v5
	v_sub_nc_u32_e32 v1, v1, v7
	v_lshrrev_b32_e32 v5, s41, v5
	v_mul_lo_u32 v7, v1, s44
	v_mul_lo_u32 v9, v1, s45
	v_mul_hi_u32 v6, s43, v5
	v_add_nc_u32_e32 v6, v5, v6
	v_lshrrev_b32_e32 v6, s52, v6
	v_mul_hi_u32 v8, s54, v6
	v_mul_lo_u32 v10, v6, s42
	v_add_nc_u32_e32 v1, v6, v8
	v_mul_lo_u32 v8, v5, s39
	v_sub_nc_u32_e32 v5, v5, v10
	v_lshrrev_b32_e32 v1, s55, v1
	v_mul_lo_u32 v10, v5, s48
	v_mul_lo_u32 v5, v5, s49
	v_sub_nc_u32_e32 v3, v3, v8
	v_mul_lo_u32 v11, v1, s53
	v_mul_lo_u32 v8, v3, s46
	;; [unrolled: 1-line block ×3, first 2 shown]
	v_sub_nc_u32_e32 v6, v6, v11
	v_add3_u32 v0, v7, v0, v8
	v_mul_lo_u32 v11, v6, s50
	v_mul_lo_u32 v6, v6, s51
	v_add3_u32 v2, v9, v2, v3
	v_add3_u32 v0, v10, v0, v11
	v_add3_u32 v2, v5, v2, v6
	s_cbranch_scc0 .LBB19_268
	s_branch .LBB19_272
.LBB19_269:
                                        ; implicit-def: $vgpr0
                                        ; implicit-def: $vgpr2
	s_branch .LBB19_276
.LBB19_270:
	v_mov_b32_e32 v0, 0
	v_mov_b32_e32 v2, 0
	s_branch .LBB19_275
.LBB19_271:
	v_mov_b32_e32 v0, 0
	v_mov_b32_e32 v2, 0
	;; [unrolled: 1-line block ×3, first 2 shown]
	s_mov_b32 s2, 0
.LBB19_272:
	s_and_b32 s20, s28, 3
	s_cmp_eq_u32 s20, 0
	s_cbranch_scc1 .LBB19_275
; %bb.273:
	s_lshl_b32 s0, s2, 3
	s_mul_i32 s2, s2, 12
	s_add_u32 s0, s16, s0
	s_addc_u32 s1, s17, 0
	s_add_u32 s0, s0, 0xc4
	s_addc_u32 s1, s1, 0
	;; [unrolled: 2-line block ×3, first 2 shown]
	.p2align	6
.LBB19_274:                             ; =>This Inner Loop Header: Depth=1
	s_clause 0x1
	s_load_dwordx2 s[28:29], s[2:3], 0x4
	s_load_dword s21, s[2:3], 0xc
	s_load_dwordx2 s[30:31], s[0:1], 0x0
	s_add_u32 s2, s2, 12
	s_addc_u32 s3, s3, 0
	s_add_u32 s0, s0, 8
	s_addc_u32 s1, s1, 0
	s_add_i32 s20, s20, -1
	s_cmp_lg_u32 s20, 0
	s_waitcnt lgkmcnt(0)
	v_mul_hi_u32 v3, s29, v1
	v_add_nc_u32_e32 v3, v1, v3
	v_lshrrev_b32_e32 v5, s21, v3
	v_mul_lo_u32 v3, v5, s28
	v_sub_nc_u32_e32 v3, v1, v3
	v_mad_u64_u32 v[0:1], null, v3, s30, v[0:1]
	v_mad_u64_u32 v[2:3], null, v3, s31, v[2:3]
	v_mov_b32_e32 v1, v5
	s_cbranch_scc1 .LBB19_274
.LBB19_275:
	s_cbranch_execnz .LBB19_278
.LBB19_276:
	s_waitcnt lgkmcnt(0)
	v_mul_hi_u32 v0, s13, v4
	s_andn2_b32 vcc_lo, exec_lo, s26
	v_add_nc_u32_e32 v0, v4, v0
	v_lshrrev_b32_e32 v1, s14, v0
	v_mul_lo_u32 v0, v1, s12
	v_sub_nc_u32_e32 v2, v4, v0
	v_mul_lo_u32 v0, v2, s8
	v_mul_lo_u32 v2, v2, s9
	s_cbranch_vccnz .LBB19_278
; %bb.277:
	v_mul_hi_u32 v3, s18, v1
	v_add_nc_u32_e32 v3, v1, v3
	v_lshrrev_b32_e32 v3, s19, v3
	v_mul_lo_u32 v3, v3, s15
	v_sub_nc_u32_e32 v3, v1, v3
	v_mad_u64_u32 v[0:1], null, v3, s10, v[0:1]
	v_mad_u64_u32 v[2:3], null, v3, s11, v[2:3]
.LBB19_278:
	s_waitcnt lgkmcnt(0)
	global_load_dword v1, v2, s[6:7]
	v_mov_b32_e32 v2, 0x7fc00000
	s_mov_b32 s3, exec_lo
	s_waitcnt vmcnt(0)
	v_cmpx_neq_f32_e64 0x7f800000, |v1|
	s_cbranch_execz .LBB19_300
; %bb.279:
	v_mov_b32_e32 v2, 0
	s_mov_b32 s6, exec_lo
	v_cmpx_nlt_f32_e32 0x42cfc8b4, v1
	s_cbranch_execz .LBB19_299
; %bb.280:
                                        ; implicit-def: $vgpr2
	s_mov_b32 s0, exec_lo
	v_cmpx_ngt_f32_e32 0xc005c28f, v1
	s_xor_b32 s2, exec_lo, s0
	s_cbranch_execz .LBB19_288
; %bb.281:
	v_cmp_nle_f32_e64 s7, 0x4005c28f, v1
	v_mov_b32_e32 v2, 0
	s_mov_b32 s8, exec_lo
	s_mov_b32 s0, s7
	v_cmpx_le_f32_e32 0x4005c28f, v1
	s_cbranch_execz .LBB19_283
; %bb.282:
	v_mul_f32_e32 v2, 0x4f800000, v1
	v_cmp_gt_f32_e32 vcc_lo, 0xf800000, v1
	v_cndmask_b32_e32 v2, v1, v2, vcc_lo
	v_sqrt_f32_e32 v3, v2
	v_add_nc_u32_e32 v4, -1, v3
	v_add_nc_u32_e32 v5, 1, v3
	v_fma_f32 v6, -v4, v3, v2
	v_fma_f32 v7, -v5, v3, v2
	v_cmp_ge_f32_e64 s0, 0, v6
	v_cndmask_b32_e64 v3, v3, v4, s0
	v_cmp_lt_f32_e64 s0, 0, v7
	v_cndmask_b32_e64 v3, v3, v5, s0
	v_mul_f32_e32 v4, 0x37800000, v3
	v_cndmask_b32_e32 v3, v3, v4, vcc_lo
	v_cmp_class_f32_e64 vcc_lo, v2, 0x260
	v_add_f32_e32 v4, v1, v1
	v_cndmask_b32_e32 v2, v3, v2, vcc_lo
	v_mul_f32_e32 v3, v4, v2
	v_div_scale_f32 v4, null, 0x40400000, 0x40400000, v3
	v_div_scale_f32 v7, vcc_lo, v3, 0x40400000, v3
	v_rcp_f32_e32 v5, v4
	v_fma_f32 v6, -v4, v5, 1.0
	v_fmac_f32_e32 v5, v6, v5
	v_mul_f32_e32 v6, v7, v5
	v_fma_f32 v8, -v4, v6, v7
	v_fmac_f32_e32 v6, v8, v5
	v_fma_f32 v4, -v4, v6, v7
	v_div_fmas_f32 v4, v4, v5, v6
	v_div_fixup_f32 v3, v4, 0x40400000, v3
	v_div_scale_f32 v4, null, v3, v3, 1.0
	v_div_scale_f32 v7, vcc_lo, 1.0, v3, 1.0
	v_mul_f32_e32 v11, 0x3fb8aa3b, v3
	v_rcp_f32_e32 v5, v4
	v_fma_f32 v14, 0x3fb8aa3b, v3, -v11
	v_rndne_f32_e32 v15, v11
	v_sub_f32_e32 v11, v11, v15
	v_fma_f32 v6, -v4, v5, 1.0
	v_fmac_f32_e32 v5, v6, v5
	v_mul_f32_e32 v6, v7, v5
	v_fma_f32 v8, -v4, v6, v7
	v_fmac_f32_e32 v6, v8, v5
	v_fma_f32 v4, -v4, v6, v7
	v_mul_f32_e32 v7, 0x4f800000, v2
	v_div_fmas_f32 v4, v4, v5, v6
	v_cmp_gt_f32_e32 vcc_lo, 0xf800000, v2
	v_div_fixup_f32 v4, v4, v3, 1.0
	v_cndmask_b32_e32 v2, v2, v7, vcc_lo
	v_fmaak_f32 v5, 0, v4, 0x3f114de0
	v_fmaak_f32 v6, 0, v4, 0x3eb16d71
	v_sqrt_f32_e32 v7, v2
	v_fmaak_f32 v5, v4, v5, 0x416c19a0
	v_fmaak_f32 v6, v4, v6, 0x41401f1c
	;; [unrolled: 1-line block ×4, first 2 shown]
	v_add_nc_u32_e32 v8, -1, v7
	v_add_nc_u32_e32 v9, 1, v7
	v_fmaak_f32 v5, v4, v5, 0x4331516e
	v_fmaak_f32 v6, v4, v6, 0x432816d7
	v_fma_f32 v12, -v8, v7, v2
	v_fma_f32 v13, -v9, v7, v2
	v_fmaak_f32 v5, v4, v5, 0x43243c15
	v_fmaak_f32 v6, v4, v6, 0x431fc1a3
	v_cmp_ge_f32_e64 s0, 0, v12
	v_fmamk_f32 v12, v3, 0x32a5705f, v14
	v_cmp_lt_f32_e64 s1, 0, v13
	v_fmaak_f32 v5, v4, v5, 0x428ef4a7
	v_fmaak_f32 v6, v4, v6, 0x428d127a
	v_cndmask_b32_e64 v7, v7, v8, s0
	v_cvt_i32_f32_e32 v13, v15
	v_fmaak_f32 v5, v4, v5, 0x416188dd
	v_fmaak_f32 v6, v4, v6, 0x41606c6b
	v_cndmask_b32_e64 v7, v7, v9, s1
	v_fma_f32 v5, v4, v5, 1.0
	v_fma_f32 v4, v4, v6, 1.0
	v_div_scale_f32 v6, null, v5, v5, v4
	v_div_scale_f32 v14, s0, v4, v5, v4
	v_rcp_f32_e32 v10, v6
	v_fma_f32 v8, -v6, v10, 1.0
	v_fmac_f32_e32 v10, v8, v10
	v_add_f32_e32 v8, v11, v12
	v_mul_f32_e32 v11, 0x37800000, v7
	v_mul_f32_e32 v9, v14, v10
	v_exp_f32_e32 v8, v8
	v_cndmask_b32_e32 v7, v7, v11, vcc_lo
	v_cmp_class_f32_e64 vcc_lo, v2, 0x260
	v_fma_f32 v12, -v6, v9, v14
	v_cndmask_b32_e32 v2, v7, v2, vcc_lo
	v_cmp_ngt_f32_e32 vcc_lo, 0xc2ce8ed0, v3
	v_fmac_f32_e32 v9, v12, v10
	v_ldexp_f32 v8, v8, v13
	v_add_f32_e32 v2, v2, v2
	v_fma_f32 v6, -v6, v9, v14
	v_cndmask_b32_e32 v7, 0, v8, vcc_lo
	s_mov_b32 vcc_lo, s0
	s_andn2_b32 s0, s7, exec_lo
	v_div_fmas_f32 v6, v6, v10, v9
	v_cmp_nlt_f32_e32 vcc_lo, 0x42b17218, v3
	v_div_fixup_f32 v4, v6, v5, v4
	v_cndmask_b32_e32 v3, 0x7f800000, v7, vcc_lo
	v_mul_f32_e32 v2, v2, v3
	v_mul_f32_e32 v3, 0x3f106ebb, v4
	v_div_scale_f32 v4, null, v2, v2, v3
	v_div_scale_f32 v7, vcc_lo, v3, v2, v3
	v_rcp_f32_e32 v5, v4
	v_fma_f32 v6, -v4, v5, 1.0
	v_fmac_f32_e32 v5, v6, v5
	v_mul_f32_e32 v6, v7, v5
	v_fma_f32 v8, -v4, v6, v7
	v_fmac_f32_e32 v6, v8, v5
	v_fma_f32 v4, -v4, v6, v7
	v_div_fmas_f32 v4, v4, v5, v6
	v_cmp_nlt_f32_e32 vcc_lo, 0x41052018, v1
	v_div_fixup_f32 v2, v4, v2, v3
	s_and_b32 s1, vcc_lo, exec_lo
	s_or_b32 s0, s0, s1
.LBB19_283:
	s_or_b32 exec_lo, exec_lo, s8
	s_and_saveexec_b32 s1, s0
	s_cbranch_execz .LBB19_287
; %bb.284:
	v_mul_f32_e32 v4, v1, v1
	v_mov_b32_e32 v6, 1.0
	v_mov_b32_e32 v7, 1.0
	v_mov_b32_e32 v3, v1
	s_mov_b32 s8, 0
	v_mul_f32_e32 v5, v1, v4
	v_mov_b32_e32 v4, 1.0
.LBB19_285:                             ; =>This Inner Loop Header: Depth=1
	v_mul_f32_e32 v6, v5, v6
	v_add_f32_e32 v7, 1.0, v7
	v_mul_f32_e32 v1, v5, v1
	v_div_scale_f32 v8, null, v7, v7, v6
	v_div_scale_f32 v11, vcc_lo, v6, v7, v6
	v_add_f32_e32 v10, 1.0, v7
	v_rcp_f32_e32 v9, v8
	v_div_scale_f32 v12, null, v10, v10, v1
	v_fma_f32 v13, -v8, v9, 1.0
	v_fmac_f32_e32 v9, v13, v9
	v_mul_f32_e32 v13, v11, v9
	v_fma_f32 v14, -v8, v13, v11
	v_fmac_f32_e32 v13, v14, v9
	v_fma_f32 v8, -v8, v13, v11
	v_div_fmas_f32 v8, v8, v9, v13
	v_div_scale_f32 v11, vcc_lo, v1, v10, v1
	v_div_fixup_f32 v6, v8, v7, v6
	v_rcp_f32_e32 v8, v12
	v_div_scale_f32 v7, null, v10, v10, v6
	v_div_scale_f32 v14, s0, v6, v10, v6
	v_rcp_f32_e32 v9, v7
	v_fma_f32 v13, -v12, v8, 1.0
	v_fmac_f32_e32 v8, v13, v8
	v_fma_f32 v13, -v7, v9, 1.0
	v_fmac_f32_e32 v9, v13, v9
	v_mul_f32_e32 v13, v11, v8
	v_mul_f32_e32 v15, v14, v9
	v_fma_f32 v16, -v12, v13, v11
	v_fma_f32 v17, -v7, v15, v14
	v_fmac_f32_e32 v13, v16, v8
	v_fmac_f32_e32 v15, v17, v9
	v_fma_f32 v11, -v12, v13, v11
	v_fma_f32 v7, -v7, v15, v14
	v_div_fmas_f32 v8, v11, v8, v13
	s_mov_b32 vcc_lo, s0
	v_div_fmas_f32 v9, v7, v9, v15
	v_add_f32_e32 v7, 1.0, v10
	v_div_fixup_f32 v1, v8, v10, v1
	v_div_fixup_f32 v6, v9, v10, v6
	v_div_scale_f32 v8, null, v7, v7, v1
	v_div_scale_f32 v12, vcc_lo, v1, v7, v1
	v_add_f32_e32 v4, v4, v6
	v_rcp_f32_e32 v10, v8
	v_div_scale_f32 v9, null, v4, v4, v6
	v_rcp_f32_e32 v11, v9
	v_fma_f32 v13, -v8, v10, 1.0
	v_fmac_f32_e32 v10, v13, v10
	v_div_scale_f32 v13, s0, v6, v4, v6
	v_fma_f32 v14, -v9, v11, 1.0
	v_fmac_f32_e32 v11, v14, v11
	v_mul_f32_e32 v14, v12, v10
	v_mul_f32_e32 v15, v13, v11
	v_fma_f32 v16, -v8, v14, v12
	v_fma_f32 v17, -v9, v15, v13
	v_fmac_f32_e32 v14, v16, v10
	v_fmac_f32_e32 v15, v17, v11
	v_fma_f32 v8, -v8, v14, v12
	v_fma_f32 v9, -v9, v15, v13
	v_div_fmas_f32 v8, v8, v10, v14
	s_mov_b32 vcc_lo, s0
	v_div_fmas_f32 v9, v9, v11, v15
	v_div_fixup_f32 v1, v8, v7, v1
	v_div_fixup_f32 v9, v9, v4, v6
	v_add_f32_e32 v3, v3, v1
	v_cmp_nlt_f32_e64 s0, 0x34000000, |v9|
	s_or_b32 s8, s0, s8
	s_andn2_b32 exec_lo, exec_lo, s8
	s_cbranch_execnz .LBB19_285
; %bb.286:
	s_or_b32 exec_lo, exec_lo, s8
	v_mul_f32_e32 v1, 0xbe8483fa, v3
	v_fmamk_f32 v1, v4, 0x3eb5c63d, v1
	v_cndmask_b32_e64 v2, v2, v1, s7
.LBB19_287:
	s_or_b32 exec_lo, exec_lo, s1
                                        ; implicit-def: $vgpr1
.LBB19_288:
	s_andn2_saveexec_b32 s7, s2
	s_cbranch_execz .LBB19_298
; %bb.289:
	v_mul_f32_e32 v2, 0xcf800000, v1
	v_cmp_lt_f32_e32 vcc_lo, 0x8f800000, v1
	v_cndmask_b32_e64 v2, -v1, v2, vcc_lo
	v_mul_f32_e32 v1, -2.0, v1
	v_sqrt_f32_e32 v3, v2
	v_add_nc_u32_e32 v4, -1, v3
	v_add_nc_u32_e32 v5, 1, v3
	v_fma_f32 v6, -v4, v3, v2
	v_fma_f32 v7, -v5, v3, v2
	v_cmp_ge_f32_e64 s0, 0, v6
	v_cndmask_b32_e64 v3, v3, v4, s0
	v_cmp_lt_f32_e64 s0, 0, v7
	v_cndmask_b32_e64 v3, v3, v5, s0
	v_mul_f32_e32 v4, 0x37800000, v3
	v_cndmask_b32_e32 v3, v3, v4, vcc_lo
	v_cmp_class_f32_e64 vcc_lo, v2, 0x260
	v_cndmask_b32_e32 v2, v3, v2, vcc_lo
	v_mul_f32_e32 v1, v1, v2
	v_div_scale_f32 v3, null, 0x40400000, 0x40400000, v1
	v_div_scale_f32 v6, vcc_lo, v1, 0x40400000, v1
	v_rcp_f32_e32 v4, v3
	v_fma_f32 v5, -v3, v4, 1.0
	v_fmac_f32_e32 v4, v5, v4
	v_mul_f32_e32 v5, v6, v4
	v_fma_f32 v7, -v3, v5, v6
	v_fmac_f32_e32 v5, v7, v4
                                        ; implicit-def: $vgpr7
	v_fma_f32 v3, -v3, v5, v6
	v_div_fmas_f32 v3, v3, v4, v5
                                        ; implicit-def: $vgpr4
	v_div_fixup_f32 v3, v3, 0x40400000, v1
	v_add_f32_e32 v1, 0x3f490fdb, v3
	v_and_b32_e32 v5, 0x7fffffff, v1
	v_cmp_ngt_f32_e64 s2, 0x48000000, |v1|
	s_and_saveexec_b32 s0, s2
	s_xor_b32 s8, exec_lo, s0
	s_cbranch_execz .LBB19_291
; %bb.290:
	s_mov_b32 s0, 0x7fffff
	v_mov_b32_e32 v8, 0
	v_and_or_b32 v4, v5, s0, 0x800000
	v_lshrrev_b32_e32 v13, 23, v5
	v_mad_u64_u32 v[6:7], null, 0xfe5163ab, v4, 0
	v_add_nc_u32_e32 v14, 0xffffff88, v13
	v_cmp_lt_u32_e32 vcc_lo, 63, v14
	v_mad_u64_u32 v[9:10], null, 0x3c439041, v4, v[7:8]
	v_cndmask_b32_e64 v15, 0, 0xffffffc0, vcc_lo
	v_mov_b32_e32 v7, v10
	v_add_nc_u32_e32 v15, v15, v14
	v_mad_u64_u32 v[10:11], null, 0xdb629599, v4, v[7:8]
	v_cmp_lt_u32_e64 s0, 31, v15
	v_cndmask_b32_e64 v16, 0, 0xffffffe0, s0
	v_mov_b32_e32 v7, v11
	v_cndmask_b32_e32 v6, v10, v6, vcc_lo
	v_mad_u64_u32 v[11:12], null, 0xf534ddc0, v4, v[7:8]
	v_mov_b32_e32 v7, v12
	v_cndmask_b32_e32 v9, v11, v9, vcc_lo
	v_mad_u64_u32 v[12:13], null, 0xfc2757d1, v4, v[7:8]
	v_cndmask_b32_e64 v6, v9, v6, s0
	v_mov_b32_e32 v7, v13
	v_mad_u64_u32 v[13:14], null, 0x4e441529, v4, v[7:8]
	v_mov_b32_e32 v7, v14
	v_add_nc_u32_e32 v14, v16, v15
	v_cndmask_b32_e32 v15, v13, v11, vcc_lo
	v_mad_u64_u32 v[7:8], null, 0xa2f9836e, v4, v[7:8]
	v_cmp_lt_u32_e64 s1, 31, v14
	v_cndmask_b32_e64 v4, 0, 0xffffffe0, s1
	v_cndmask_b32_e32 v7, v7, v12, vcc_lo
	v_cndmask_b32_e32 v8, v8, v13, vcc_lo
	;; [unrolled: 1-line block ×3, first 2 shown]
	v_add_nc_u32_e32 v4, v4, v14
	v_cndmask_b32_e64 v11, v7, v15, s0
	v_cndmask_b32_e64 v7, v8, v7, s0
	;; [unrolled: 1-line block ×4, first 2 shown]
	v_sub_nc_u32_e32 v13, 32, v4
	v_cmp_eq_u32_e32 vcc_lo, 0, v4
	v_cndmask_b32_e64 v7, v7, v11, s1
	v_cndmask_b32_e64 v11, v11, v8, s1
	;; [unrolled: 1-line block ×4, first 2 shown]
	v_alignbit_b32 v14, v7, v11, v13
	v_alignbit_b32 v10, v11, v8, v13
	;; [unrolled: 1-line block ×3, first 2 shown]
	v_cndmask_b32_e32 v4, v14, v7, vcc_lo
	v_cndmask_b32_e32 v7, v10, v11, vcc_lo
	;; [unrolled: 1-line block ×3, first 2 shown]
	v_bfe_u32 v9, v4, 29, 1
	v_alignbit_b32 v10, v4, v7, 30
	v_alignbit_b32 v7, v7, v8, 30
	;; [unrolled: 1-line block ×3, first 2 shown]
	v_sub_nc_u32_e32 v11, 0, v9
	v_xor_b32_e32 v10, v10, v11
	v_xor_b32_e32 v7, v7, v11
	;; [unrolled: 1-line block ×3, first 2 shown]
	v_lshrrev_b32_e32 v11, 29, v4
	v_ffbh_u32_e32 v12, v10
	v_min_u32_e32 v12, 32, v12
	v_sub_nc_u32_e32 v8, 31, v12
	v_lshlrev_b32_e32 v13, 23, v12
	v_alignbit_b32 v10, v10, v7, v8
	v_alignbit_b32 v6, v7, v6, v8
	v_lshlrev_b32_e32 v7, 31, v11
	v_alignbit_b32 v8, v10, v6, 9
	v_or_b32_e32 v11, 0.5, v7
	v_lshrrev_b32_e32 v10, 9, v10
	v_or_b32_e32 v7, 0x33000000, v7
	v_ffbh_u32_e32 v14, v8
	v_sub_nc_u32_e32 v11, v11, v13
	v_min_u32_e32 v13, 32, v14
	v_or_b32_e32 v10, v10, v11
	v_not_b32_e32 v11, v13
	v_mul_f32_e32 v14, 0x3fc90fda, v10
	v_add_lshl_u32 v12, v13, v12, 23
	v_alignbit_b32 v6, v8, v6, v11
	v_fma_f32 v8, 0x3fc90fda, v10, -v14
	v_sub_nc_u32_e32 v7, v7, v12
	v_lshrrev_b32_e32 v6, 9, v6
	v_fmamk_f32 v8, v10, 0x33a22168, v8
	v_or_b32_e32 v6, v7, v6
	v_fmac_f32_e32 v8, 0x3fc90fda, v6
	v_lshrrev_b32_e32 v6, 30, v4
	v_add_f32_e32 v4, v14, v8
	v_add_nc_u32_e32 v7, v9, v6
	s_andn2_saveexec_b32 s0, s8
	s_branch .LBB19_292
.LBB19_291:
	s_andn2_saveexec_b32 s0, s8
.LBB19_292:
	v_mul_f32_e64 v4, 0x3f22f983, |v1|
	v_rndne_f32_e32 v6, v4
	v_fma_f32 v4, 0xbfc90fda, v6, |v1|
	v_cvt_i32_f32_e32 v7, v6
	v_fmamk_f32 v4, v6, 0xb3a22168, v4
	v_fmamk_f32 v4, v6, 0xa7c234c4, v4
; %bb.293:
	s_or_b32 exec_lo, exec_lo, s0
                                        ; implicit-def: $vgpr8
                                        ; implicit-def: $vgpr6
	s_and_saveexec_b32 s0, s2
	s_xor_b32 s2, exec_lo, s0
	s_cbranch_execz .LBB19_295
; %bb.294:
	s_mov_b32 s0, 0x7fffff
	v_mov_b32_e32 v10, 0
	v_and_or_b32 v6, v5, s0, 0x800000
	v_lshrrev_b32_e32 v15, 23, v5
	v_mad_u64_u32 v[8:9], null, 0xfe5163ab, v6, 0
	v_add_nc_u32_e32 v16, 0xffffff88, v15
	v_cmp_lt_u32_e32 vcc_lo, 63, v16
	v_mad_u64_u32 v[11:12], null, 0x3c439041, v6, v[9:10]
	v_cndmask_b32_e64 v17, 0, 0xffffffc0, vcc_lo
	v_mov_b32_e32 v9, v12
	v_add_nc_u32_e32 v17, v17, v16
	v_mad_u64_u32 v[12:13], null, 0xdb629599, v6, v[9:10]
	v_cmp_lt_u32_e64 s0, 31, v17
	v_cndmask_b32_e64 v18, 0, 0xffffffe0, s0
	v_mov_b32_e32 v9, v13
	v_cndmask_b32_e32 v8, v12, v8, vcc_lo
	v_mad_u64_u32 v[13:14], null, 0xf534ddc0, v6, v[9:10]
	v_mov_b32_e32 v9, v14
	v_cndmask_b32_e32 v11, v13, v11, vcc_lo
	v_mad_u64_u32 v[14:15], null, 0xfc2757d1, v6, v[9:10]
	v_cndmask_b32_e64 v8, v11, v8, s0
	v_mov_b32_e32 v9, v15
	v_mad_u64_u32 v[15:16], null, 0x4e441529, v6, v[9:10]
	v_mov_b32_e32 v9, v16
	v_add_nc_u32_e32 v16, v18, v17
	v_cndmask_b32_e32 v17, v15, v13, vcc_lo
	v_mad_u64_u32 v[9:10], null, 0xa2f9836e, v6, v[9:10]
	v_cmp_lt_u32_e64 s1, 31, v16
	v_cndmask_b32_e64 v6, 0, 0xffffffe0, s1
	v_cndmask_b32_e32 v9, v9, v14, vcc_lo
	v_cndmask_b32_e32 v10, v10, v15, vcc_lo
	;; [unrolled: 1-line block ×3, first 2 shown]
	v_add_nc_u32_e32 v6, v6, v16
	v_cndmask_b32_e64 v13, v9, v17, s0
	v_cndmask_b32_e64 v9, v10, v9, s0
	;; [unrolled: 1-line block ×4, first 2 shown]
	v_sub_nc_u32_e32 v15, 32, v6
	v_cmp_eq_u32_e32 vcc_lo, 0, v6
	v_cndmask_b32_e64 v9, v9, v13, s1
	v_cndmask_b32_e64 v13, v13, v10, s1
	;; [unrolled: 1-line block ×4, first 2 shown]
	v_alignbit_b32 v16, v9, v13, v15
	v_alignbit_b32 v12, v13, v10, v15
	;; [unrolled: 1-line block ×3, first 2 shown]
	v_cndmask_b32_e32 v6, v16, v9, vcc_lo
	v_cndmask_b32_e32 v9, v12, v13, vcc_lo
	;; [unrolled: 1-line block ×3, first 2 shown]
	v_bfe_u32 v11, v6, 29, 1
	v_alignbit_b32 v12, v6, v9, 30
	v_alignbit_b32 v9, v9, v10, 30
	;; [unrolled: 1-line block ×3, first 2 shown]
	v_sub_nc_u32_e32 v13, 0, v11
	v_xor_b32_e32 v12, v12, v13
	v_xor_b32_e32 v9, v9, v13
	;; [unrolled: 1-line block ×3, first 2 shown]
	v_lshrrev_b32_e32 v13, 29, v6
	v_ffbh_u32_e32 v14, v12
	v_min_u32_e32 v14, 32, v14
	v_sub_nc_u32_e32 v10, 31, v14
	v_lshlrev_b32_e32 v15, 23, v14
	v_alignbit_b32 v12, v12, v9, v10
	v_alignbit_b32 v8, v9, v8, v10
	v_lshlrev_b32_e32 v9, 31, v13
	v_alignbit_b32 v10, v12, v8, 9
	v_or_b32_e32 v13, 0.5, v9
	v_lshrrev_b32_e32 v12, 9, v12
	v_or_b32_e32 v9, 0x33000000, v9
	v_ffbh_u32_e32 v16, v10
	v_sub_nc_u32_e32 v13, v13, v15
	v_min_u32_e32 v15, 32, v16
	v_or_b32_e32 v12, v12, v13
	v_not_b32_e32 v13, v15
	v_mul_f32_e32 v16, 0x3fc90fda, v12
	v_add_lshl_u32 v14, v15, v14, 23
	v_alignbit_b32 v8, v10, v8, v13
	v_fma_f32 v10, 0x3fc90fda, v12, -v16
	v_sub_nc_u32_e32 v9, v9, v14
	v_lshrrev_b32_e32 v8, 9, v8
	v_fmamk_f32 v10, v12, 0x33a22168, v10
	v_or_b32_e32 v8, v9, v8
	v_fmac_f32_e32 v10, 0x3fc90fda, v8
	v_lshrrev_b32_e32 v8, 30, v6
	v_add_f32_e32 v6, v16, v10
	v_add_nc_u32_e32 v8, v11, v8
	s_andn2_saveexec_b32 s0, s2
	s_cbranch_execnz .LBB19_296
	s_branch .LBB19_297
.LBB19_295:
	s_andn2_saveexec_b32 s0, s2
.LBB19_296:
	v_mul_f32_e64 v6, 0x3f22f983, |v1|
	v_rndne_f32_e32 v8, v6
	v_fma_f32 v6, 0xbfc90fda, v8, |v1|
	v_fmamk_f32 v6, v8, 0xb3a22168, v6
	v_fmamk_f32 v6, v8, 0xa7c234c4, v6
	v_cvt_i32_f32_e32 v8, v8
.LBB19_297:
	s_or_b32 exec_lo, exec_lo, s0
	v_div_scale_f32 v9, null, v3, v3, 1.0
	v_div_scale_f32 v12, vcc_lo, 1.0, v3, 1.0
	v_mul_f32_e32 v15, 0x4f800000, v2
	v_rcp_f32_e32 v10, v9
	v_mul_f32_e32 v14, v4, v4
	s_mov_b32 s0, 0xb94c1982
	s_mov_b32 s1, 0x37d75334
	v_and_b32_e32 v16, 1, v8
	v_xor_b32_e32 v5, v5, v1
	v_lshlrev_b32_e32 v8, 30, v8
	v_fma_f32 v11, -v9, v10, 1.0
	v_and_b32_e32 v8, 0x80000000, v8
	v_fmac_f32_e32 v10, v11, v10
	v_mul_f32_e32 v11, v12, v10
	v_fma_f32 v13, -v9, v11, v12
	v_fmac_f32_e32 v11, v13, v10
	v_and_b32_e32 v13, 1, v7
	v_lshlrev_b32_e32 v7, 30, v7
	v_fma_f32 v9, -v9, v11, v12
	v_mul_f32_e32 v12, v6, v6
	v_cmp_eq_u32_e64 s2, 0, v13
	v_and_b32_e32 v7, 0x80000000, v7
	v_div_fmas_f32 v9, v9, v10, v11
	v_cmp_gt_f32_e32 vcc_lo, 0xf800000, v2
	v_fmaak_f32 v10, s0, v14, 0x3c0881c4
	v_fmaak_f32 v11, s1, v14, 0xbab64f3b
	v_div_fixup_f32 v3, v9, v3, 1.0
	v_cndmask_b32_e32 v2, v2, v15, vcc_lo
	v_fmaak_f32 v9, s0, v12, 0x3c0881c4
	v_fmaak_f32 v15, s1, v12, 0xbab64f3b
	;; [unrolled: 1-line block ×3, first 2 shown]
	v_mul_f32_e32 v17, v3, v3
	v_sqrt_f32_e32 v18, v2
	v_fmaak_f32 v11, v14, v11, 0x3d2aabf7
	v_fmaak_f32 v9, v12, v9, 0xbe2aaa9d
	;; [unrolled: 1-line block ×7, first 2 shown]
	v_mul_f32_e32 v10, v14, v10
	v_fmaak_f32 v19, v17, v19, 0x3ec83ea8
	v_fmaak_f32 v20, v17, v20, 0xbf205f75
	;; [unrolled: 1-line block ×4, first 2 shown]
	v_add_nc_u32_e32 v23, -1, v18
	v_fmaak_f32 v19, v17, v19, 0x3f886c1a
	v_fmaak_f32 v20, v17, v20, 0xbf3172ce
	;; [unrolled: 1-line block ×4, first 2 shown]
	v_add_nc_u32_e32 v24, 1, v18
	v_fmaak_f32 v19, v17, v19, 0x3f706d65
	v_fmaak_f32 v20, v17, v20, 0xbe8f3f52
	v_fma_f32 v25, -v23, v18, v2
	v_fmaak_f32 v21, v17, v21, 0x4112fe41
	v_fmaak_f32 v22, v17, v22, 0x40af4271
	;; [unrolled: 1-line block ×4, first 2 shown]
	v_fma_f32 v26, -v24, v18, v2
	v_cmp_ge_f32_e64 s0, 0, v25
	v_fmaak_f32 v21, v17, v21, 0x3fbcd65a
	v_fmaak_f32 v19, v17, v19, 0x3d81d209
	;; [unrolled: 1-line block ×4, first 2 shown]
	v_cndmask_b32_e64 v18, v18, v23, s0
	v_cmp_lt_f32_e64 s0, 0, v26
	v_fmaak_f32 v19, v17, v19, 0x3bbff4d0
	v_fmaak_f32 v21, v17, v21, 0x3deced66
	;; [unrolled: 1-line block ×4, first 2 shown]
	v_cndmask_b32_e64 v18, v18, v24, s0
	v_fmaak_f32 v19, v17, v19, 0x39944bb3
	v_fmaak_f32 v21, v17, v21, 0x3b904657
	;; [unrolled: 1-line block ×4, first 2 shown]
	v_mul_f32_e32 v23, 0x37800000, v18
	v_fmaak_f32 v19, v17, v19, 0x36ea79eb
	v_fmaak_f32 v21, v17, v21, 0x389e46bd
	;; [unrolled: 1-line block ×4, first 2 shown]
	v_cndmask_b32_e32 v18, v18, v23, vcc_lo
	v_fmaak_f32 v19, v17, v19, 0x33ae5496
	v_cmp_class_f32_e64 vcc_lo, v2, 0x260
	v_fmaak_f32 v21, v17, v21, 0x34f295ce
	v_fmaak_f32 v22, v17, v22, 0x359d422f
	v_mul_f32_e32 v20, v17, v20
	v_fmaak_f32 v19, v17, v19, 0x2fbbc524
	v_cndmask_b32_e32 v2, v18, v2, vcc_lo
	v_fmaak_f32 v11, v14, v11, 0xbf000004
	v_fmaak_f32 v17, v17, v22, 0x31a8fe3a
	v_div_scale_f32 v18, null, v21, v21, v20
	v_mul_f32_e32 v3, v3, v19
	v_div_scale_f32 v19, null, v2, v2, 0x3f106ebb
	v_rcp_f32_e32 v22, v18
	v_mul_f32_e32 v9, v12, v9
	v_div_scale_f32 v23, null, v17, v17, v3
	v_rcp_f32_e32 v24, v19
	v_fmaak_f32 v15, v12, v15, 0xbf000004
	v_fmac_f32_e32 v4, v4, v10
	v_fma_f32 v10, v14, v11, 1.0
	v_rcp_f32_e32 v11, v23
	v_fmac_f32_e32 v6, v6, v9
	v_fma_f32 v9, v12, v15, 1.0
	v_fma_f32 v12, -v18, v22, 1.0
	v_div_scale_f32 v25, vcc_lo, v20, v21, v20
	v_fma_f32 v15, -v19, v24, 1.0
	v_div_scale_f32 v14, s0, 0x3f106ebb, v2, 0x3f106ebb
	v_fmac_f32_e32 v22, v12, v22
	v_fma_f32 v12, -v23, v11, 1.0
	v_fmac_f32_e32 v24, v15, v24
	v_div_scale_f32 v15, s1, v3, v17, v3
	v_mul_f32_e32 v26, v25, v22
	v_fmac_f32_e32 v11, v12, v11
	v_mul_f32_e32 v12, v14, v24
	v_cndmask_b32_e64 v4, v10, v4, s2
	v_cmp_eq_u32_e64 s2, 0, v16
	v_fma_f32 v10, -v18, v26, v25
	v_mul_f32_e32 v13, v15, v11
	v_fma_f32 v27, -v19, v12, v14
	v_xor3_b32 v4, v5, v7, v4
	v_cndmask_b32_e64 v6, -v6, v9, s2
	v_fmac_f32_e32 v26, v10, v22
	v_fma_f32 v9, -v23, v13, v15
	v_fmac_f32_e32 v12, v27, v24
	v_cmp_class_f32_e64 s2, v1, 0x1f8
	v_xor_b32_e32 v6, v8, v6
	v_fma_f32 v1, -v18, v26, v25
	v_fmac_f32_e32 v13, v9, v11
	v_fma_f32 v5, -v19, v12, v14
	v_cndmask_b32_e64 v4, 0x7fc00000, v4, s2
	v_cndmask_b32_e64 v6, 0x7fc00000, v6, s2
	v_div_fmas_f32 v1, v1, v22, v26
	v_fma_f32 v7, -v23, v13, v15
	s_mov_b32 vcc_lo, s0
	v_div_fmas_f32 v5, v5, v24, v12
	s_mov_b32 vcc_lo, s1
	v_div_fixup_f32 v1, v1, v21, v20
	v_div_fmas_f32 v7, v7, v11, v13
	v_div_fixup_f32 v2, v5, v2, 0x3f106ebb
	v_add_f32_e32 v1, 1.0, v1
	v_div_fixup_f32 v3, v7, v17, v3
	v_mul_f32_e32 v3, v3, v6
	v_fma_f32 v1, v1, v4, -v3
	v_mul_f32_e32 v2, v2, v1
.LBB19_298:
	s_or_b32 exec_lo, exec_lo, s7
.LBB19_299:
	s_or_b32 exec_lo, exec_lo, s6
.LBB19_300:
	s_or_b32 exec_lo, exec_lo, s3
	global_store_dword v0, v2, s[4:5]
	s_or_b32 exec_lo, exec_lo, s27
                                        ; implicit-def: $vgpr13
                                        ; implicit-def: $vgpr4
	s_andn2_saveexec_b32 s0, s25
	s_cbranch_execz .LBB19_253
	s_branch .LBB19_8
	.section	.rodata,"a",@progbits
	.p2align	6, 0x0
	.amdhsa_kernel _ZN2at6native32elementwise_kernel_manual_unrollILi128ELi4EZNS0_22gpu_kernel_impl_nocastIZZZNS0_12_GLOBAL__N_119airy_ai_kernel_cudaERNS_18TensorIteratorBaseEENKUlvE_clEvENKUlvE0_clEvEUlfE_EEvS5_RKT_EUlibE_EEviT1_
		.amdhsa_group_segment_fixed_size 0
		.amdhsa_private_segment_fixed_size 0
		.amdhsa_kernarg_size 360
		.amdhsa_user_sgpr_count 6
		.amdhsa_user_sgpr_private_segment_buffer 1
		.amdhsa_user_sgpr_dispatch_ptr 0
		.amdhsa_user_sgpr_queue_ptr 0
		.amdhsa_user_sgpr_kernarg_segment_ptr 1
		.amdhsa_user_sgpr_dispatch_id 0
		.amdhsa_user_sgpr_flat_scratch_init 0
		.amdhsa_user_sgpr_private_segment_size 0
		.amdhsa_wavefront_size32 1
		.amdhsa_uses_dynamic_stack 0
		.amdhsa_system_sgpr_private_segment_wavefront_offset 0
		.amdhsa_system_sgpr_workgroup_id_x 1
		.amdhsa_system_sgpr_workgroup_id_y 0
		.amdhsa_system_sgpr_workgroup_id_z 0
		.amdhsa_system_sgpr_workgroup_info 0
		.amdhsa_system_vgpr_workitem_id 0
		.amdhsa_next_free_vgpr 35
		.amdhsa_next_free_sgpr 56
		.amdhsa_reserve_vcc 1
		.amdhsa_reserve_flat_scratch 0
		.amdhsa_float_round_mode_32 0
		.amdhsa_float_round_mode_16_64 0
		.amdhsa_float_denorm_mode_32 3
		.amdhsa_float_denorm_mode_16_64 3
		.amdhsa_dx10_clamp 1
		.amdhsa_ieee_mode 1
		.amdhsa_fp16_overflow 0
		.amdhsa_workgroup_processor_mode 1
		.amdhsa_memory_ordered 1
		.amdhsa_forward_progress 1
		.amdhsa_shared_vgpr_count 0
		.amdhsa_exception_fp_ieee_invalid_op 0
		.amdhsa_exception_fp_denorm_src 0
		.amdhsa_exception_fp_ieee_div_zero 0
		.amdhsa_exception_fp_ieee_overflow 0
		.amdhsa_exception_fp_ieee_underflow 0
		.amdhsa_exception_fp_ieee_inexact 0
		.amdhsa_exception_int_div_zero 0
	.end_amdhsa_kernel
	.section	.text._ZN2at6native32elementwise_kernel_manual_unrollILi128ELi4EZNS0_22gpu_kernel_impl_nocastIZZZNS0_12_GLOBAL__N_119airy_ai_kernel_cudaERNS_18TensorIteratorBaseEENKUlvE_clEvENKUlvE0_clEvEUlfE_EEvS5_RKT_EUlibE_EEviT1_,"axG",@progbits,_ZN2at6native32elementwise_kernel_manual_unrollILi128ELi4EZNS0_22gpu_kernel_impl_nocastIZZZNS0_12_GLOBAL__N_119airy_ai_kernel_cudaERNS_18TensorIteratorBaseEENKUlvE_clEvENKUlvE0_clEvEUlfE_EEvS5_RKT_EUlibE_EEviT1_,comdat
.Lfunc_end19:
	.size	_ZN2at6native32elementwise_kernel_manual_unrollILi128ELi4EZNS0_22gpu_kernel_impl_nocastIZZZNS0_12_GLOBAL__N_119airy_ai_kernel_cudaERNS_18TensorIteratorBaseEENKUlvE_clEvENKUlvE0_clEvEUlfE_EEvS5_RKT_EUlibE_EEviT1_, .Lfunc_end19-_ZN2at6native32elementwise_kernel_manual_unrollILi128ELi4EZNS0_22gpu_kernel_impl_nocastIZZZNS0_12_GLOBAL__N_119airy_ai_kernel_cudaERNS_18TensorIteratorBaseEENKUlvE_clEvENKUlvE0_clEvEUlfE_EEvS5_RKT_EUlibE_EEviT1_
                                        ; -- End function
	.set _ZN2at6native32elementwise_kernel_manual_unrollILi128ELi4EZNS0_22gpu_kernel_impl_nocastIZZZNS0_12_GLOBAL__N_119airy_ai_kernel_cudaERNS_18TensorIteratorBaseEENKUlvE_clEvENKUlvE0_clEvEUlfE_EEvS5_RKT_EUlibE_EEviT1_.num_vgpr, 35
	.set _ZN2at6native32elementwise_kernel_manual_unrollILi128ELi4EZNS0_22gpu_kernel_impl_nocastIZZZNS0_12_GLOBAL__N_119airy_ai_kernel_cudaERNS_18TensorIteratorBaseEENKUlvE_clEvENKUlvE0_clEvEUlfE_EEvS5_RKT_EUlibE_EEviT1_.num_agpr, 0
	.set _ZN2at6native32elementwise_kernel_manual_unrollILi128ELi4EZNS0_22gpu_kernel_impl_nocastIZZZNS0_12_GLOBAL__N_119airy_ai_kernel_cudaERNS_18TensorIteratorBaseEENKUlvE_clEvENKUlvE0_clEvEUlfE_EEvS5_RKT_EUlibE_EEviT1_.numbered_sgpr, 56
	.set _ZN2at6native32elementwise_kernel_manual_unrollILi128ELi4EZNS0_22gpu_kernel_impl_nocastIZZZNS0_12_GLOBAL__N_119airy_ai_kernel_cudaERNS_18TensorIteratorBaseEENKUlvE_clEvENKUlvE0_clEvEUlfE_EEvS5_RKT_EUlibE_EEviT1_.num_named_barrier, 0
	.set _ZN2at6native32elementwise_kernel_manual_unrollILi128ELi4EZNS0_22gpu_kernel_impl_nocastIZZZNS0_12_GLOBAL__N_119airy_ai_kernel_cudaERNS_18TensorIteratorBaseEENKUlvE_clEvENKUlvE0_clEvEUlfE_EEvS5_RKT_EUlibE_EEviT1_.private_seg_size, 0
	.set _ZN2at6native32elementwise_kernel_manual_unrollILi128ELi4EZNS0_22gpu_kernel_impl_nocastIZZZNS0_12_GLOBAL__N_119airy_ai_kernel_cudaERNS_18TensorIteratorBaseEENKUlvE_clEvENKUlvE0_clEvEUlfE_EEvS5_RKT_EUlibE_EEviT1_.uses_vcc, 1
	.set _ZN2at6native32elementwise_kernel_manual_unrollILi128ELi4EZNS0_22gpu_kernel_impl_nocastIZZZNS0_12_GLOBAL__N_119airy_ai_kernel_cudaERNS_18TensorIteratorBaseEENKUlvE_clEvENKUlvE0_clEvEUlfE_EEvS5_RKT_EUlibE_EEviT1_.uses_flat_scratch, 0
	.set _ZN2at6native32elementwise_kernel_manual_unrollILi128ELi4EZNS0_22gpu_kernel_impl_nocastIZZZNS0_12_GLOBAL__N_119airy_ai_kernel_cudaERNS_18TensorIteratorBaseEENKUlvE_clEvENKUlvE0_clEvEUlfE_EEvS5_RKT_EUlibE_EEviT1_.has_dyn_sized_stack, 0
	.set _ZN2at6native32elementwise_kernel_manual_unrollILi128ELi4EZNS0_22gpu_kernel_impl_nocastIZZZNS0_12_GLOBAL__N_119airy_ai_kernel_cudaERNS_18TensorIteratorBaseEENKUlvE_clEvENKUlvE0_clEvEUlfE_EEvS5_RKT_EUlibE_EEviT1_.has_recursion, 0
	.set _ZN2at6native32elementwise_kernel_manual_unrollILi128ELi4EZNS0_22gpu_kernel_impl_nocastIZZZNS0_12_GLOBAL__N_119airy_ai_kernel_cudaERNS_18TensorIteratorBaseEENKUlvE_clEvENKUlvE0_clEvEUlfE_EEvS5_RKT_EUlibE_EEviT1_.has_indirect_call, 0
	.section	.AMDGPU.csdata,"",@progbits
; Kernel info:
; codeLenInByte = 37308
; TotalNumSgprs: 58
; NumVgprs: 35
; ScratchSize: 0
; MemoryBound: 0
; FloatMode: 240
; IeeeMode: 1
; LDSByteSize: 0 bytes/workgroup (compile time only)
; SGPRBlocks: 0
; VGPRBlocks: 4
; NumSGPRsForWavesPerEU: 58
; NumVGPRsForWavesPerEU: 35
; Occupancy: 16
; WaveLimiterHint : 1
; COMPUTE_PGM_RSRC2:SCRATCH_EN: 0
; COMPUTE_PGM_RSRC2:USER_SGPR: 6
; COMPUTE_PGM_RSRC2:TRAP_HANDLER: 0
; COMPUTE_PGM_RSRC2:TGID_X_EN: 1
; COMPUTE_PGM_RSRC2:TGID_Y_EN: 0
; COMPUTE_PGM_RSRC2:TGID_Z_EN: 0
; COMPUTE_PGM_RSRC2:TIDIG_COMP_CNT: 0
	.text
	.p2align	2                               ; -- Begin function _ZN2at6native6invokeIZZZNS0_12_GLOBAL__N_119airy_ai_kernel_cudaERNS_18TensorIteratorBaseEENKUlvE_clEvENKUlvE0_clEvEUlfE_i15function_traitsIS7_EEENT1_11result_typeERKT_PrKPcPKT0_PKN3c1010ScalarTypeEi
	.type	_ZN2at6native6invokeIZZZNS0_12_GLOBAL__N_119airy_ai_kernel_cudaERNS_18TensorIteratorBaseEENKUlvE_clEvENKUlvE0_clEvEUlfE_i15function_traitsIS7_EEENT1_11result_typeERKT_PrKPcPKT0_PKN3c1010ScalarTypeEi,@function
_ZN2at6native6invokeIZZZNS0_12_GLOBAL__N_119airy_ai_kernel_cudaERNS_18TensorIteratorBaseEENKUlvE_clEvENKUlvE0_clEvEUlfE_i15function_traitsIS7_EEENT1_11result_typeERKT_PrKPcPKT0_PKN3c1010ScalarTypeEi: ; @_ZN2at6native6invokeIZZZNS0_12_GLOBAL__N_119airy_ai_kernel_cudaERNS_18TensorIteratorBaseEENKUlvE_clEvENKUlvE0_clEvEUlfE_i15function_traitsIS7_EEENT1_11result_typeERKT_PrKPcPKT0_PKN3c1010ScalarTypeEi
; %bb.0:
	s_waitcnt vmcnt(0) expcnt(0) lgkmcnt(0)
	v_mul_lo_u32 v2, v4, v2
	v_mov_b32_e32 v5, 10
	s_mov_b32 s5, 0
	v_cmp_gt_i16_sdwa s4, v3, v5 src0_sel:BYTE_0 src1_sel:DWORD
	v_ashrrev_i32_e32 v4, 31, v2
	v_add_co_u32 v0, vcc_lo, v0, v2
                                        ; implicit-def: $vgpr2
	v_add_co_ci_u32_e64 v1, null, v1, v4, vcc_lo
	s_and_saveexec_b32 s6, s4
	s_xor_b32 s4, exec_lo, s6
	s_cbranch_execz .LBB20_53
; %bb.1:
	v_mov_b32_e32 v2, 25
	s_mov_b32 s8, 0
	s_mov_b32 s7, 0
	v_cmp_gt_i16_sdwa s6, v3, v2 src0_sel:BYTE_0 src1_sel:DWORD
                                        ; implicit-def: $vgpr2
	s_and_saveexec_b32 s9, s6
	s_xor_b32 s6, exec_lo, s9
	s_cbranch_execz .LBB20_96
; %bb.2:
	v_mov_b32_e32 v2, 28
	s_mov_b32 s9, 0
	v_cmp_gt_i16_sdwa s7, v3, v2 src0_sel:BYTE_0 src1_sel:DWORD
                                        ; implicit-def: $vgpr2
	s_and_saveexec_b32 s10, s7
	s_xor_b32 s7, exec_lo, s10
	s_cbranch_execz .LBB20_18
; %bb.3:
	v_mov_b32_e32 v2, 43
	s_mov_b32 s10, 0
	s_mov_b32 s11, 0
	v_cmp_gt_i16_sdwa s8, v3, v2 src0_sel:BYTE_0 src1_sel:DWORD
                                        ; implicit-def: $vgpr2
	s_and_saveexec_b32 s9, s8
	s_xor_b32 s8, exec_lo, s9
	s_cbranch_execz .LBB20_13
; %bb.4:
	v_mov_b32_e32 v2, 45
	s_mov_b32 s9, 0
	v_cmp_gt_i16_sdwa s11, v3, v2 src0_sel:BYTE_0 src1_sel:DWORD
                                        ; implicit-def: $vgpr2
	s_and_saveexec_b32 s12, s11
	s_xor_b32 s11, exec_lo, s12
	s_cbranch_execz .LBB20_8
; %bb.5:
	v_mov_b32_e32 v2, 46
	s_mov_b32 s12, -1
	v_cmp_eq_u16_sdwa s13, v3, v2 src0_sel:BYTE_0 src1_sel:DWORD
                                        ; implicit-def: $vgpr2
	s_and_saveexec_b32 s10, s13
	s_cbranch_execz .LBB20_7
; %bb.6:
	flat_load_dword v2, v[0:1]
	s_mov_b32 s9, exec_lo
	s_xor_b32 s12, exec_lo, -1
	s_waitcnt vmcnt(0) lgkmcnt(0)
	v_lshlrev_b32_e32 v2, 16, v2
.LBB20_7:
	s_or_b32 exec_lo, exec_lo, s10
	s_and_b32 s10, s9, exec_lo
	s_and_b32 s9, s12, exec_lo
                                        ; implicit-def: $vgpr3
.LBB20_8:
	s_andn2_saveexec_b32 s11, s11
	s_cbranch_execz .LBB20_12
; %bb.9:
	v_mov_b32_e32 v2, 44
	s_mov_b32 s12, -1
	s_mov_b32 s14, s10
	v_cmp_eq_u16_sdwa s15, v3, v2 src0_sel:BYTE_0 src1_sel:DWORD
                                        ; implicit-def: $vgpr2
	s_and_saveexec_b32 s13, s15
	s_cbranch_execz .LBB20_11
; %bb.10:
	flat_load_ubyte v2, v[0:1]
	s_or_b32 s14, s10, exec_lo
	s_xor_b32 s12, exec_lo, -1
	s_waitcnt vmcnt(0) lgkmcnt(0)
	v_lshlrev_b32_e32 v3, 23, v2
	v_cmp_ne_u32_e32 vcc_lo, 0xff, v2
	v_cndmask_b32_e32 v3, 0x7f800001, v3, vcc_lo
	v_cmp_ne_u32_e32 vcc_lo, 0, v2
	v_cndmask_b32_e32 v2, 0x400000, v3, vcc_lo
.LBB20_11:
	s_or_b32 exec_lo, exec_lo, s13
	s_andn2_b32 s10, s10, exec_lo
	s_and_b32 s13, s14, exec_lo
	s_andn2_b32 s9, s9, exec_lo
	s_and_b32 s12, s12, exec_lo
	s_or_b32 s10, s10, s13
	s_or_b32 s9, s9, s12
.LBB20_12:
	s_or_b32 exec_lo, exec_lo, s11
	s_and_b32 s11, s10, exec_lo
	s_and_b32 s10, s9, exec_lo
                                        ; implicit-def: $vgpr3
.LBB20_13:
	s_andn2_saveexec_b32 s8, s8
	s_cbranch_execz .LBB20_17
; %bb.14:
	v_mov_b32_e32 v2, 29
	s_mov_b32 s9, -1
	s_mov_b32 s13, s11
	v_cmp_eq_u16_sdwa s14, v3, v2 src0_sel:BYTE_0 src1_sel:DWORD
                                        ; implicit-def: $vgpr2
	s_and_saveexec_b32 s12, s14
	s_cbranch_execz .LBB20_16
; %bb.15:
	flat_load_dwordx2 v[2:3], v[0:1]
	s_or_b32 s13, s11, exec_lo
	s_xor_b32 s9, exec_lo, -1
	s_waitcnt vmcnt(0) lgkmcnt(0)
	v_ffbh_u32_e32 v4, v3
	v_min_u32_e32 v4, 32, v4
	v_lshlrev_b64 v[2:3], v4, v[2:3]
	v_min_u32_e32 v2, 1, v2
	v_or_b32_e32 v2, v3, v2
	v_sub_nc_u32_e32 v3, 32, v4
	v_cvt_f32_u32_e32 v2, v2
	v_ldexp_f32 v2, v2, v3
.LBB20_16:
	s_or_b32 exec_lo, exec_lo, s12
	s_andn2_b32 s11, s11, exec_lo
	s_and_b32 s12, s13, exec_lo
	s_andn2_b32 s10, s10, exec_lo
	s_and_b32 s9, s9, exec_lo
	s_or_b32 s11, s11, s12
	s_or_b32 s10, s10, s9
.LBB20_17:
	s_or_b32 exec_lo, exec_lo, s8
	s_and_b32 s9, s11, exec_lo
	s_and_b32 s8, s10, exec_lo
                                        ; implicit-def: $vgpr3
.LBB20_18:
	s_andn2_saveexec_b32 s7, s7
	s_cbranch_execz .LBB20_34
; %bb.19:
	v_mov_b32_e32 v2, 26
	v_cmp_gt_i16_sdwa s10, v3, v2 src0_sel:BYTE_0 src1_sel:DWORD
                                        ; implicit-def: $vgpr2
	s_and_saveexec_b32 s11, s10
	s_xor_b32 s10, exec_lo, s11
	s_cbranch_execz .LBB20_25
; %bb.20:
	v_mov_b32_e32 v2, 27
	v_cmp_gt_i16_sdwa s11, v3, v2 src0_sel:BYTE_0 src1_sel:DWORD
                                        ; implicit-def: $vgpr2
	s_and_saveexec_b32 s12, s11
	s_xor_b32 s11, exec_lo, s12
	s_cbranch_execz .LBB20_22
; %bb.21:
	flat_load_dword v2, v[0:1]
	s_waitcnt vmcnt(0) lgkmcnt(0)
	v_cvt_f32_u32_e32 v2, v2
.LBB20_22:
	s_andn2_saveexec_b32 s11, s11
	s_cbranch_execz .LBB20_24
; %bb.23:
	flat_load_ushort v2, v[0:1]
	s_waitcnt vmcnt(0) lgkmcnt(0)
	v_cvt_f32_u32_e32 v2, v2
.LBB20_24:
	s_or_b32 exec_lo, exec_lo, s11
.LBB20_25:
	s_andn2_saveexec_b32 s10, s10
	s_cbranch_execz .LBB20_33
; %bb.26:
	flat_load_ubyte v3, v[0:1]
	s_mov_b32 s11, 0
	s_mov_b32 s12, exec_lo
	s_waitcnt vmcnt(0) lgkmcnt(0)
	v_cmpx_lt_i16_e32 0x7f, v3
	s_xor_b32 s12, exec_lo, s12
	s_cbranch_execz .LBB20_123
; %bb.27:
	s_mov_b32 s11, -1
	s_mov_b32 s13, exec_lo
	v_cmpx_eq_u16_e32 0x80, v3
; %bb.28:
	s_xor_b32 s11, exec_lo, -1
; %bb.29:
	s_or_b32 exec_lo, exec_lo, s13
	s_and_b32 s11, s11, exec_lo
	s_or_saveexec_b32 s12, s12
	v_mov_b32_e32 v2, 0x7f800001
	s_xor_b32 exec_lo, exec_lo, s12
	s_cbranch_execnz .LBB20_124
.LBB20_30:
	s_or_b32 exec_lo, exec_lo, s12
	s_and_saveexec_b32 s12, s11
	s_cbranch_execz .LBB20_32
.LBB20_31:
	v_and_b32_e32 v2, 0xffff, v3
	v_lshlrev_b32_e32 v3, 24, v3
	v_and_b32_e32 v4, 7, v2
	v_bfe_u32 v7, v2, 3, 4
	v_and_b32_e32 v3, 0x80000000, v3
	v_ffbh_u32_e32 v5, v4
	v_cmp_eq_u32_e32 vcc_lo, 0, v7
	v_min_u32_e32 v5, 32, v5
	v_subrev_nc_u32_e32 v6, 28, v5
	v_sub_nc_u32_e32 v5, 29, v5
	v_lshlrev_b32_e32 v2, v6, v2
	v_cndmask_b32_e32 v5, v7, v5, vcc_lo
	v_and_b32_e32 v2, 7, v2
	v_cndmask_b32_e32 v2, v4, v2, vcc_lo
	v_lshl_add_u32 v4, v5, 23, 0x3b800000
	v_lshlrev_b32_e32 v2, 20, v2
	v_or3_b32 v2, v3, v4, v2
.LBB20_32:
	s_or_b32 exec_lo, exec_lo, s12
.LBB20_33:
	s_or_b32 exec_lo, exec_lo, s10
	s_or_b32 s9, s9, exec_lo
.LBB20_34:
	s_or_b32 exec_lo, exec_lo, s7
	s_and_b32 s7, s9, exec_lo
	s_and_b32 s8, s8, exec_lo
                                        ; implicit-def: $vgpr3
	s_andn2_saveexec_b32 s6, s6
	s_cbranch_execnz .LBB20_97
.LBB20_35:
	s_or_b32 exec_lo, exec_lo, s6
	s_and_saveexec_b32 s6, s8
	s_cbranch_execnz .LBB20_122
.LBB20_36:
	s_or_b32 exec_lo, exec_lo, s6
	s_and_saveexec_b32 s6, s5
	s_xor_b32 s5, exec_lo, s6
	s_cbranch_execz .LBB20_38
.LBB20_37:
	flat_load_ubyte v0, v[0:1]
	s_or_b32 s7, s7, exec_lo
	s_waitcnt vmcnt(0) lgkmcnt(0)
	v_cmp_ne_u16_e32 vcc_lo, 0, v0
	v_cndmask_b32_e64 v2, 0, 1.0, vcc_lo
.LBB20_38:
	s_or_b32 exec_lo, exec_lo, s5
	s_and_b32 s5, s7, exec_lo
                                        ; implicit-def: $vgpr3
                                        ; implicit-def: $vgpr0_vgpr1
	s_andn2_saveexec_b32 s4, s4
	s_cbranch_execnz .LBB20_54
.LBB20_39:
	s_or_b32 exec_lo, exec_lo, s4
                                        ; implicit-def: $vgpr0
	s_and_saveexec_b32 s7, s5
	s_cbranch_execz .LBB20_95
.LBB20_40:
	v_mov_b32_e32 v0, 0x7fc00000
	s_mov_b32 s8, exec_lo
	s_waitcnt vmcnt(0) lgkmcnt(0)
	v_cmpx_neq_f32_e64 0x7f800000, |v2|
	s_cbranch_execz .LBB20_134
; %bb.41:
	v_mov_b32_e32 v0, 0
	s_mov_b32 s9, exec_lo
	v_cmpx_nlt_f32_e32 0x42cfc8b4, v2
	s_cbranch_execz .LBB20_133
; %bb.42:
                                        ; implicit-def: $vgpr0
	s_mov_b32 s4, exec_lo
	v_cmpx_ngt_f32_e32 0xc005c28f, v2
	s_xor_b32 s6, exec_lo, s4
	s_cbranch_execz .LBB20_50
; %bb.43:
	v_cmp_nle_f32_e64 s10, 0x4005c28f, v2
	v_mov_b32_e32 v0, 0
	s_mov_b32 s11, exec_lo
	s_mov_b32 s4, s10
	v_cmpx_le_f32_e32 0x4005c28f, v2
	s_cbranch_execz .LBB20_45
; %bb.44:
	v_mul_f32_e32 v0, 0x4f800000, v2
	v_cmp_gt_f32_e32 vcc_lo, 0xf800000, v2
	v_cndmask_b32_e32 v0, v2, v0, vcc_lo
	v_sqrt_f32_e32 v1, v0
	v_add_nc_u32_e32 v3, -1, v1
	v_add_nc_u32_e32 v4, 1, v1
	v_fma_f32 v5, -v3, v1, v0
	v_fma_f32 v6, -v4, v1, v0
	v_cmp_ge_f32_e64 s4, 0, v5
	v_cndmask_b32_e64 v1, v1, v3, s4
	v_cmp_lt_f32_e64 s4, 0, v6
	v_cndmask_b32_e64 v1, v1, v4, s4
	v_mul_f32_e32 v3, 0x37800000, v1
	v_cndmask_b32_e32 v1, v1, v3, vcc_lo
	v_cmp_class_f32_e64 vcc_lo, v0, 0x260
	v_add_f32_e32 v3, v2, v2
	v_cndmask_b32_e32 v0, v1, v0, vcc_lo
	v_mul_f32_e32 v1, v3, v0
	v_div_scale_f32 v3, null, 0x40400000, 0x40400000, v1
	v_div_scale_f32 v6, vcc_lo, v1, 0x40400000, v1
	v_rcp_f32_e32 v4, v3
	v_fma_f32 v5, -v3, v4, 1.0
	v_fmac_f32_e32 v4, v5, v4
	v_mul_f32_e32 v5, v6, v4
	v_fma_f32 v7, -v3, v5, v6
	v_fmac_f32_e32 v5, v7, v4
	v_fma_f32 v3, -v3, v5, v6
	v_div_fmas_f32 v3, v3, v4, v5
	v_div_fixup_f32 v1, v3, 0x40400000, v1
	v_div_scale_f32 v3, null, v1, v1, 1.0
	v_div_scale_f32 v6, vcc_lo, 1.0, v1, 1.0
	v_mul_f32_e32 v10, 0x3fb8aa3b, v1
	v_rcp_f32_e32 v4, v3
	v_fma_f32 v13, 0x3fb8aa3b, v1, -v10
	v_rndne_f32_e32 v14, v10
	v_sub_f32_e32 v10, v10, v14
	v_fma_f32 v5, -v3, v4, 1.0
	v_fmac_f32_e32 v4, v5, v4
	v_mul_f32_e32 v5, v6, v4
	v_fma_f32 v7, -v3, v5, v6
	v_fmac_f32_e32 v5, v7, v4
	v_fma_f32 v3, -v3, v5, v6
	v_mul_f32_e32 v6, 0x4f800000, v0
	v_div_fmas_f32 v3, v3, v4, v5
	v_cmp_gt_f32_e32 vcc_lo, 0xf800000, v0
	v_div_fixup_f32 v3, v3, v1, 1.0
	v_cndmask_b32_e32 v0, v0, v6, vcc_lo
	v_fmaak_f32 v4, 0, v3, 0x3f114de0
	v_fmaak_f32 v5, 0, v3, 0x3eb16d71
	v_sqrt_f32_e32 v6, v0
	v_fmaak_f32 v4, v3, v4, 0x416c19a0
	v_fmaak_f32 v5, v3, v5, 0x41401f1c
	;; [unrolled: 1-line block ×4, first 2 shown]
	v_add_nc_u32_e32 v7, -1, v6
	v_add_nc_u32_e32 v8, 1, v6
	v_fmaak_f32 v4, v3, v4, 0x4331516e
	v_fmaak_f32 v5, v3, v5, 0x432816d7
	v_fma_f32 v11, -v7, v6, v0
	v_fma_f32 v12, -v8, v6, v0
	v_fmaak_f32 v4, v3, v4, 0x43243c15
	v_fmaak_f32 v5, v3, v5, 0x431fc1a3
	v_cmp_ge_f32_e64 s4, 0, v11
	v_fmamk_f32 v11, v1, 0x32a5705f, v13
	v_cmp_lt_f32_e64 s5, 0, v12
	v_fmaak_f32 v4, v3, v4, 0x428ef4a7
	v_fmaak_f32 v5, v3, v5, 0x428d127a
	v_cndmask_b32_e64 v6, v6, v7, s4
	v_cvt_i32_f32_e32 v12, v14
	v_fmaak_f32 v4, v3, v4, 0x416188dd
	v_fmaak_f32 v5, v3, v5, 0x41606c6b
	v_cndmask_b32_e64 v6, v6, v8, s5
	v_fma_f32 v4, v3, v4, 1.0
	v_fma_f32 v3, v3, v5, 1.0
	v_div_scale_f32 v5, null, v4, v4, v3
	v_div_scale_f32 v13, s4, v3, v4, v3
	v_rcp_f32_e32 v9, v5
	v_fma_f32 v7, -v5, v9, 1.0
	v_fmac_f32_e32 v9, v7, v9
	v_add_f32_e32 v7, v10, v11
	v_mul_f32_e32 v10, 0x37800000, v6
	v_mul_f32_e32 v8, v13, v9
	v_exp_f32_e32 v7, v7
	v_cndmask_b32_e32 v6, v6, v10, vcc_lo
	v_cmp_class_f32_e64 vcc_lo, v0, 0x260
	v_fma_f32 v11, -v5, v8, v13
	v_cndmask_b32_e32 v0, v6, v0, vcc_lo
	v_cmp_ngt_f32_e32 vcc_lo, 0xc2ce8ed0, v1
	v_fmac_f32_e32 v8, v11, v9
	v_ldexp_f32 v7, v7, v12
	v_add_f32_e32 v0, v0, v0
	v_fma_f32 v5, -v5, v8, v13
	v_cndmask_b32_e32 v6, 0, v7, vcc_lo
	s_mov_b32 vcc_lo, s4
	s_andn2_b32 s4, s10, exec_lo
	v_div_fmas_f32 v5, v5, v9, v8
	v_cmp_nlt_f32_e32 vcc_lo, 0x42b17218, v1
	v_div_fixup_f32 v3, v5, v4, v3
	v_cndmask_b32_e32 v1, 0x7f800000, v6, vcc_lo
	v_mul_f32_e32 v0, v0, v1
	v_mul_f32_e32 v1, 0x3f106ebb, v3
	v_div_scale_f32 v3, null, v0, v0, v1
	v_div_scale_f32 v6, vcc_lo, v1, v0, v1
	v_rcp_f32_e32 v4, v3
	v_fma_f32 v5, -v3, v4, 1.0
	v_fmac_f32_e32 v4, v5, v4
	v_mul_f32_e32 v5, v6, v4
	v_fma_f32 v7, -v3, v5, v6
	v_fmac_f32_e32 v5, v7, v4
	v_fma_f32 v3, -v3, v5, v6
	v_div_fmas_f32 v3, v3, v4, v5
	v_cmp_nlt_f32_e32 vcc_lo, 0x41052018, v2
	v_div_fixup_f32 v0, v3, v0, v1
	s_and_b32 s5, vcc_lo, exec_lo
	s_or_b32 s4, s4, s5
.LBB20_45:
	s_or_b32 exec_lo, exec_lo, s11
	s_and_saveexec_b32 s5, s4
	s_cbranch_execz .LBB20_49
; %bb.46:
	v_mul_f32_e32 v3, v2, v2
	v_mov_b32_e32 v5, 1.0
	v_mov_b32_e32 v6, 1.0
	v_mov_b32_e32 v1, v2
	s_mov_b32 s11, 0
	v_mul_f32_e32 v4, v2, v3
	v_mov_b32_e32 v3, 1.0
.LBB20_47:                              ; =>This Inner Loop Header: Depth=1
	v_mul_f32_e32 v5, v4, v5
	v_add_f32_e32 v6, 1.0, v6
	v_mul_f32_e32 v2, v4, v2
	v_div_scale_f32 v7, null, v6, v6, v5
	v_div_scale_f32 v10, vcc_lo, v5, v6, v5
	v_add_f32_e32 v9, 1.0, v6
	v_rcp_f32_e32 v8, v7
	v_div_scale_f32 v11, null, v9, v9, v2
	v_fma_f32 v12, -v7, v8, 1.0
	v_fmac_f32_e32 v8, v12, v8
	v_mul_f32_e32 v12, v10, v8
	v_fma_f32 v13, -v7, v12, v10
	v_fmac_f32_e32 v12, v13, v8
	v_fma_f32 v7, -v7, v12, v10
	v_div_fmas_f32 v7, v7, v8, v12
	v_div_scale_f32 v10, vcc_lo, v2, v9, v2
	v_div_fixup_f32 v5, v7, v6, v5
	v_rcp_f32_e32 v7, v11
	v_div_scale_f32 v6, null, v9, v9, v5
	v_div_scale_f32 v13, s4, v5, v9, v5
	v_rcp_f32_e32 v8, v6
	v_fma_f32 v12, -v11, v7, 1.0
	v_fmac_f32_e32 v7, v12, v7
	v_fma_f32 v12, -v6, v8, 1.0
	v_fmac_f32_e32 v8, v12, v8
	v_mul_f32_e32 v12, v10, v7
	v_mul_f32_e32 v14, v13, v8
	v_fma_f32 v15, -v11, v12, v10
	v_fma_f32 v16, -v6, v14, v13
	v_fmac_f32_e32 v12, v15, v7
	v_fmac_f32_e32 v14, v16, v8
	v_fma_f32 v10, -v11, v12, v10
	v_fma_f32 v6, -v6, v14, v13
	v_div_fmas_f32 v7, v10, v7, v12
	s_mov_b32 vcc_lo, s4
	v_div_fmas_f32 v8, v6, v8, v14
	v_add_f32_e32 v6, 1.0, v9
	v_div_fixup_f32 v2, v7, v9, v2
	v_div_fixup_f32 v5, v8, v9, v5
	v_div_scale_f32 v7, null, v6, v6, v2
	v_div_scale_f32 v11, vcc_lo, v2, v6, v2
	v_add_f32_e32 v3, v3, v5
	v_rcp_f32_e32 v9, v7
	v_div_scale_f32 v8, null, v3, v3, v5
	v_rcp_f32_e32 v10, v8
	v_fma_f32 v12, -v7, v9, 1.0
	v_fmac_f32_e32 v9, v12, v9
	v_div_scale_f32 v12, s4, v5, v3, v5
	v_fma_f32 v13, -v8, v10, 1.0
	v_fmac_f32_e32 v10, v13, v10
	v_mul_f32_e32 v13, v11, v9
	v_mul_f32_e32 v14, v12, v10
	v_fma_f32 v15, -v7, v13, v11
	v_fma_f32 v16, -v8, v14, v12
	v_fmac_f32_e32 v13, v15, v9
	v_fmac_f32_e32 v14, v16, v10
	v_fma_f32 v7, -v7, v13, v11
	v_fma_f32 v8, -v8, v14, v12
	v_div_fmas_f32 v7, v7, v9, v13
	s_mov_b32 vcc_lo, s4
	v_div_fmas_f32 v8, v8, v10, v14
	v_div_fixup_f32 v2, v7, v6, v2
	v_div_fixup_f32 v8, v8, v3, v5
	v_add_f32_e32 v1, v1, v2
	v_cmp_nlt_f32_e64 s4, 0x34000000, |v8|
	s_or_b32 s11, s4, s11
	s_andn2_b32 exec_lo, exec_lo, s11
	s_cbranch_execnz .LBB20_47
; %bb.48:
	s_or_b32 exec_lo, exec_lo, s11
	v_mul_f32_e32 v1, 0xbe8483fa, v1
	v_fmamk_f32 v1, v3, 0x3eb5c63d, v1
	v_cndmask_b32_e64 v0, v0, v1, s10
.LBB20_49:
	s_or_b32 exec_lo, exec_lo, s5
                                        ; implicit-def: $vgpr2
.LBB20_50:
	s_andn2_saveexec_b32 s10, s6
	s_cbranch_execz .LBB20_132
; %bb.51:
	v_mul_f32_e32 v0, 0xcf800000, v2
	v_cmp_lt_f32_e32 vcc_lo, 0x8f800000, v2
	v_cndmask_b32_e64 v0, -v2, v0, vcc_lo
	v_mul_f32_e32 v2, -2.0, v2
	v_sqrt_f32_e32 v1, v0
	v_add_nc_u32_e32 v3, -1, v1
	v_add_nc_u32_e32 v4, 1, v1
	v_fma_f32 v5, -v3, v1, v0
	v_fma_f32 v6, -v4, v1, v0
	v_cmp_ge_f32_e64 s4, 0, v5
	v_cndmask_b32_e64 v1, v1, v3, s4
	v_cmp_lt_f32_e64 s4, 0, v6
	v_cndmask_b32_e64 v1, v1, v4, s4
	v_mul_f32_e32 v3, 0x37800000, v1
	v_cndmask_b32_e32 v1, v1, v3, vcc_lo
	v_cmp_class_f32_e64 vcc_lo, v0, 0x260
	v_cndmask_b32_e32 v1, v1, v0, vcc_lo
	v_mul_f32_e32 v0, v2, v1
	v_div_scale_f32 v2, null, 0x40400000, 0x40400000, v0
	v_rcp_f32_e32 v3, v2
	v_fma_f32 v4, -v2, v3, 1.0
	v_fmac_f32_e32 v3, v4, v3
	v_div_scale_f32 v4, vcc_lo, v0, 0x40400000, v0
	v_mul_f32_e32 v5, v4, v3
	v_fma_f32 v6, -v2, v5, v4
	v_fmac_f32_e32 v5, v6, v3
                                        ; implicit-def: $vgpr6
	v_fma_f32 v2, -v2, v5, v4
	v_div_fmas_f32 v2, v2, v3, v5
                                        ; implicit-def: $vgpr3
	v_div_fixup_f32 v2, v2, 0x40400000, v0
	v_add_f32_e32 v0, 0x3f490fdb, v2
	v_and_b32_e32 v4, 0x7fffffff, v0
	v_cmp_ngt_f32_e64 s6, 0x48000000, |v0|
	v_lshrrev_b32_e32 v7, 23, v4
	s_and_saveexec_b32 s4, s6
	s_xor_b32 s11, exec_lo, s4
	s_cbranch_execz .LBB20_125
; %bb.52:
	s_mov_b32 s4, 0x7fffff
	v_mov_b32_e32 v9, 0
	v_and_or_b32 v3, v4, s4, 0x800000
	v_mad_u64_u32 v[5:6], null, 0xfe5163ab, v3, 0
	v_mov_b32_e32 v8, v6
	v_add_nc_u32_e32 v6, 0xffffff88, v7
	v_mad_u64_u32 v[10:11], null, 0x3c439041, v3, v[8:9]
	v_cmp_lt_u32_e32 vcc_lo, 63, v6
	v_cndmask_b32_e64 v15, 0, 0xffffffc0, vcc_lo
	v_mov_b32_e32 v8, v11
	v_add_nc_u32_e32 v6, v15, v6
	v_mad_u64_u32 v[11:12], null, 0xdb629599, v3, v[8:9]
	v_cmp_lt_u32_e64 s4, 31, v6
	v_mov_b32_e32 v8, v12
	v_cndmask_b32_e64 v16, 0, 0xffffffe0, s4
	v_cndmask_b32_e32 v5, v11, v5, vcc_lo
	v_mad_u64_u32 v[12:13], null, 0xf534ddc0, v3, v[8:9]
	v_add_nc_u32_e32 v6, v16, v6
	v_cmp_lt_u32_e64 s5, 31, v6
	v_mov_b32_e32 v8, v13
	v_mad_u64_u32 v[13:14], null, 0xfc2757d1, v3, v[8:9]
	v_mov_b32_e32 v8, v14
	v_mad_u64_u32 v[14:15], null, 0x4e441529, v3, v[8:9]
	v_mov_b32_e32 v8, v15
	v_cndmask_b32_e32 v15, v14, v12, vcc_lo
	v_mad_u64_u32 v[8:9], null, 0xa2f9836e, v3, v[8:9]
	v_cndmask_b32_e64 v3, 0, 0xffffffe0, s5
	v_add_nc_u32_e32 v3, v3, v6
	v_cndmask_b32_e32 v8, v8, v13, vcc_lo
	v_cndmask_b32_e32 v9, v9, v14, vcc_lo
	v_cndmask_b32_e32 v13, v13, v11, vcc_lo
	v_cndmask_b32_e32 v6, v12, v10, vcc_lo
	v_sub_nc_u32_e32 v12, 32, v3
	v_cndmask_b32_e64 v10, v8, v15, s4
	v_cndmask_b32_e64 v8, v9, v8, s4
	;; [unrolled: 1-line block ×4, first 2 shown]
	v_cmp_eq_u32_e32 vcc_lo, 0, v3
	v_cndmask_b32_e64 v5, v6, v5, s4
	v_cndmask_b32_e64 v8, v8, v10, s5
	;; [unrolled: 1-line block ×5, first 2 shown]
	v_alignbit_b32 v14, v8, v10, v12
	v_alignbit_b32 v11, v10, v9, v12
	;; [unrolled: 1-line block ×3, first 2 shown]
	v_cndmask_b32_e32 v3, v14, v8, vcc_lo
	v_cndmask_b32_e32 v6, v11, v10, vcc_lo
	v_cndmask_b32_e32 v9, v12, v9, vcc_lo
	v_bfe_u32 v8, v3, 29, 1
	v_alignbit_b32 v10, v3, v6, 30
	v_alignbit_b32 v6, v6, v9, 30
	;; [unrolled: 1-line block ×3, first 2 shown]
	v_sub_nc_u32_e32 v11, 0, v8
	v_xor_b32_e32 v10, v10, v11
	v_xor_b32_e32 v6, v6, v11
	;; [unrolled: 1-line block ×3, first 2 shown]
	v_lshrrev_b32_e32 v11, 29, v3
	v_ffbh_u32_e32 v12, v10
	v_min_u32_e32 v12, 32, v12
	v_sub_nc_u32_e32 v9, 31, v12
	v_lshlrev_b32_e32 v13, 23, v12
	v_alignbit_b32 v10, v10, v6, v9
	v_alignbit_b32 v5, v6, v5, v9
	v_lshlrev_b32_e32 v6, 31, v11
	v_alignbit_b32 v9, v10, v5, 9
	v_or_b32_e32 v11, 0.5, v6
	v_lshrrev_b32_e32 v10, 9, v10
	v_or_b32_e32 v6, 0x33000000, v6
	v_ffbh_u32_e32 v14, v9
	v_sub_nc_u32_e32 v11, v11, v13
	v_min_u32_e32 v13, 32, v14
	v_or_b32_e32 v10, v10, v11
	v_not_b32_e32 v11, v13
	v_mul_f32_e32 v14, 0x3fc90fda, v10
	v_add_lshl_u32 v12, v13, v12, 23
	v_alignbit_b32 v5, v9, v5, v11
	v_fma_f32 v9, 0x3fc90fda, v10, -v14
	v_sub_nc_u32_e32 v6, v6, v12
	v_lshrrev_b32_e32 v5, 9, v5
	v_fmamk_f32 v9, v10, 0x33a22168, v9
	v_or_b32_e32 v5, v6, v5
	v_fmac_f32_e32 v9, 0x3fc90fda, v5
	v_lshrrev_b32_e32 v5, 30, v3
	v_add_f32_e32 v3, v14, v9
	v_add_nc_u32_e32 v6, v8, v5
	s_or_saveexec_b32 s4, s11
	v_mul_f32_e64 v9, 0x3f22f983, |v0|
	s_xor_b32 exec_lo, exec_lo, s4
	s_branch .LBB20_126
.LBB20_53:
	s_andn2_saveexec_b32 s4, s4
	s_cbranch_execz .LBB20_39
.LBB20_54:
	v_mov_b32_e32 v2, 4
	v_cmp_gt_i16_sdwa s6, v3, v2 src0_sel:BYTE_0 src1_sel:DWORD
                                        ; implicit-def: $vgpr2
	s_and_saveexec_b32 s7, s6
	s_xor_b32 s6, exec_lo, s7
	s_cbranch_execz .LBB20_76
; %bb.55:
	v_mov_b32_e32 v2, 7
	v_cmp_gt_i16_sdwa s7, v3, v2 src0_sel:BYTE_0 src1_sel:DWORD
                                        ; implicit-def: $vgpr2
	s_and_saveexec_b32 s8, s7
	s_xor_b32 s7, exec_lo, s8
	s_cbranch_execz .LBB20_65
; %bb.56:
	;; [unrolled: 7-line block ×4, first 2 shown]
	flat_load_dwordx2 v[0:1], v[0:1]
	s_waitcnt vmcnt(0) lgkmcnt(0)
	v_cvt_f32_f64_e32 v2, v[0:1]
                                        ; implicit-def: $vgpr0_vgpr1
.LBB20_59:
	s_andn2_saveexec_b32 s9, s9
	s_cbranch_execz .LBB20_61
; %bb.60:
	flat_load_dword v2, v[0:1]
.LBB20_61:
	s_or_b32 exec_lo, exec_lo, s9
                                        ; implicit-def: $vgpr0_vgpr1
.LBB20_62:
	s_andn2_saveexec_b32 s8, s8
	s_cbranch_execz .LBB20_64
; %bb.63:
	flat_load_dword v0, v[0:1]
	s_waitcnt vmcnt(0) lgkmcnt(0)
	v_cvt_f32_f16_e32 v2, v0
.LBB20_64:
	s_or_b32 exec_lo, exec_lo, s8
                                        ; implicit-def: $vgpr0_vgpr1
                                        ; implicit-def: $vgpr3
.LBB20_65:
	s_andn2_saveexec_b32 s7, s7
	s_cbranch_execz .LBB20_75
; %bb.66:
	s_waitcnt vmcnt(0) lgkmcnt(0)
	v_mov_b32_e32 v2, 5
	v_cmp_gt_i16_sdwa s8, v3, v2 src0_sel:BYTE_0 src1_sel:DWORD
                                        ; implicit-def: $vgpr2
	s_and_saveexec_b32 s9, s8
	s_xor_b32 s8, exec_lo, s9
	s_cbranch_execz .LBB20_72
; %bb.67:
	v_mov_b32_e32 v2, 6
	v_cmp_gt_i16_sdwa s9, v3, v2 src0_sel:BYTE_0 src1_sel:DWORD
                                        ; implicit-def: $vgpr2
	s_and_saveexec_b32 s10, s9
	s_xor_b32 s9, exec_lo, s10
	s_cbranch_execz .LBB20_69
; %bb.68:
	flat_load_dwordx2 v[0:1], v[0:1]
	s_waitcnt vmcnt(0) lgkmcnt(0)
	v_cvt_f32_f64_e32 v2, v[0:1]
                                        ; implicit-def: $vgpr0_vgpr1
.LBB20_69:
	s_andn2_saveexec_b32 s9, s9
	s_cbranch_execz .LBB20_71
; %bb.70:
	flat_load_dword v2, v[0:1]
.LBB20_71:
	s_or_b32 exec_lo, exec_lo, s9
                                        ; implicit-def: $vgpr0_vgpr1
.LBB20_72:
	s_andn2_saveexec_b32 s8, s8
	s_cbranch_execz .LBB20_74
; %bb.73:
	flat_load_ushort v0, v[0:1]
	s_waitcnt vmcnt(0) lgkmcnt(0)
	v_cvt_f32_f16_e32 v2, v0
.LBB20_74:
	s_or_b32 exec_lo, exec_lo, s8
.LBB20_75:
	s_or_b32 exec_lo, exec_lo, s7
                                        ; implicit-def: $vgpr3
                                        ; implicit-def: $vgpr0_vgpr1
.LBB20_76:
	s_andn2_saveexec_b32 s6, s6
	s_cbranch_execz .LBB20_94
; %bb.77:
	s_waitcnt vmcnt(0) lgkmcnt(0)
	v_mov_b32_e32 v2, 1
	v_cmp_gt_i16_sdwa s7, v3, v2 src0_sel:BYTE_0 src1_sel:DWORD
                                        ; implicit-def: $vgpr2
	s_and_saveexec_b32 s8, s7
	s_xor_b32 s7, exec_lo, s8
	s_cbranch_execz .LBB20_87
; %bb.78:
	v_mov_b32_e32 v2, 2
	v_cmp_gt_i16_sdwa s8, v3, v2 src0_sel:BYTE_0 src1_sel:DWORD
                                        ; implicit-def: $vgpr2
	s_and_saveexec_b32 s9, s8
	s_xor_b32 s8, exec_lo, s9
	s_cbranch_execz .LBB20_84
; %bb.79:
	;; [unrolled: 7-line block ×3, first 2 shown]
	flat_load_dwordx2 v[0:1], v[0:1]
	s_waitcnt vmcnt(0) lgkmcnt(0)
	v_xor_b32_e32 v2, v0, v1
	v_ffbh_i32_e32 v3, v1
	v_ashrrev_i32_e32 v2, 31, v2
	v_add_nc_u32_e32 v3, -1, v3
	v_add_nc_u32_e32 v2, 32, v2
	v_min_u32_e32 v2, v3, v2
	v_lshlrev_b64 v[0:1], v2, v[0:1]
	v_min_u32_e32 v0, 1, v0
	v_or_b32_e32 v0, v1, v0
	v_sub_nc_u32_e32 v1, 32, v2
	v_cvt_f32_i32_e32 v0, v0
	v_ldexp_f32 v2, v0, v1
                                        ; implicit-def: $vgpr0_vgpr1
.LBB20_81:
	s_andn2_saveexec_b32 s9, s9
	s_cbranch_execz .LBB20_83
; %bb.82:
	flat_load_dword v0, v[0:1]
	s_waitcnt vmcnt(0) lgkmcnt(0)
	v_cvt_f32_i32_e32 v2, v0
.LBB20_83:
	s_or_b32 exec_lo, exec_lo, s9
                                        ; implicit-def: $vgpr0_vgpr1
.LBB20_84:
	s_andn2_saveexec_b32 s8, s8
	s_cbranch_execz .LBB20_86
; %bb.85:
	flat_load_sshort v0, v[0:1]
	s_waitcnt vmcnt(0) lgkmcnt(0)
	v_cvt_f32_i32_e32 v2, v0
.LBB20_86:
	s_or_b32 exec_lo, exec_lo, s8
                                        ; implicit-def: $vgpr0_vgpr1
                                        ; implicit-def: $vgpr3
.LBB20_87:
	s_andn2_saveexec_b32 s7, s7
	s_cbranch_execz .LBB20_93
; %bb.88:
	v_mov_b32_e32 v2, 0
	v_cmp_gt_i16_sdwa s8, v3, v2 src0_sel:BYTE_0 src1_sel:DWORD
                                        ; implicit-def: $vgpr2
	s_and_saveexec_b32 s9, s8
	s_xor_b32 s8, exec_lo, s9
	s_cbranch_execz .LBB20_90
; %bb.89:
	flat_load_sbyte v0, v[0:1]
	s_waitcnt vmcnt(0) lgkmcnt(0)
	v_cvt_f32_i32_e32 v2, v0
                                        ; implicit-def: $vgpr0_vgpr1
.LBB20_90:
	s_andn2_saveexec_b32 s8, s8
	s_cbranch_execz .LBB20_92
; %bb.91:
	flat_load_ubyte v0, v[0:1]
	s_waitcnt vmcnt(0) lgkmcnt(0)
	v_cvt_f32_ubyte0_e32 v2, v0
.LBB20_92:
	s_or_b32 exec_lo, exec_lo, s8
.LBB20_93:
	s_or_b32 exec_lo, exec_lo, s7
.LBB20_94:
	s_or_b32 exec_lo, exec_lo, s6
	s_or_b32 s5, s5, exec_lo
	s_or_b32 exec_lo, exec_lo, s4
                                        ; implicit-def: $vgpr0
	s_and_saveexec_b32 s7, s5
	s_cbranch_execnz .LBB20_40
.LBB20_95:
	s_or_b32 exec_lo, exec_lo, s7
	s_waitcnt vmcnt(0) lgkmcnt(0)
	s_setpc_b64 s[30:31]
.LBB20_96:
	s_andn2_saveexec_b32 s6, s6
	s_cbranch_execz .LBB20_35
.LBB20_97:
	v_mov_b32_e32 v2, 22
	s_mov_b32 s9, s7
	v_cmp_gt_i16_sdwa s5, v3, v2 src0_sel:BYTE_0 src1_sel:DWORD
                                        ; implicit-def: $vgpr2
	s_and_saveexec_b32 s10, s5
	s_xor_b32 s5, exec_lo, s10
	s_cbranch_execz .LBB20_113
; %bb.98:
	v_mov_b32_e32 v2, 23
	v_cmp_gt_i16_sdwa s9, v3, v2 src0_sel:BYTE_0 src1_sel:DWORD
                                        ; implicit-def: $vgpr2
	s_and_saveexec_b32 s10, s9
	s_xor_b32 s9, exec_lo, s10
	s_cbranch_execz .LBB20_110
; %bb.99:
	v_mov_b32_e32 v2, 24
	v_cmp_gt_i16_sdwa s10, v3, v2 src0_sel:BYTE_0 src1_sel:DWORD
                                        ; implicit-def: $vgpr2
	s_and_saveexec_b32 s11, s10
	s_xor_b32 s10, exec_lo, s11
	s_cbranch_execz .LBB20_107
; %bb.100:
	flat_load_ubyte v3, v[0:1]
	s_mov_b32 s11, 0
	s_mov_b32 s12, exec_lo
	s_waitcnt vmcnt(0) lgkmcnt(0)
	v_cmpx_lt_i16_e32 0x7f, v3
	s_xor_b32 s12, exec_lo, s12
	s_cbranch_execz .LBB20_135
; %bb.101:
	s_mov_b32 s11, -1
	s_mov_b32 s13, exec_lo
	v_cmpx_eq_u16_e32 0x80, v3
; %bb.102:
	s_xor_b32 s11, exec_lo, -1
; %bb.103:
	s_or_b32 exec_lo, exec_lo, s13
	s_and_b32 s11, s11, exec_lo
	s_or_saveexec_b32 s12, s12
	v_mov_b32_e32 v2, 0x7f800001
	s_xor_b32 exec_lo, exec_lo, s12
	s_cbranch_execnz .LBB20_136
.LBB20_104:
	s_or_b32 exec_lo, exec_lo, s12
	s_and_saveexec_b32 s12, s11
	s_cbranch_execz .LBB20_106
.LBB20_105:
	v_and_b32_e32 v2, 0xffff, v3
	v_lshlrev_b32_e32 v3, 24, v3
	v_and_b32_e32 v4, 3, v2
	v_bfe_u32 v7, v2, 2, 5
	v_and_b32_e32 v3, 0x80000000, v3
	v_ffbh_u32_e32 v5, v4
	v_cmp_eq_u32_e32 vcc_lo, 0, v7
	v_min_u32_e32 v5, 32, v5
	v_subrev_nc_u32_e32 v6, 29, v5
	v_sub_nc_u32_e32 v5, 30, v5
	v_lshlrev_b32_e32 v2, v6, v2
	v_cndmask_b32_e32 v5, v7, v5, vcc_lo
	v_and_b32_e32 v2, 3, v2
	v_cndmask_b32_e32 v2, v4, v2, vcc_lo
	v_lshl_add_u32 v4, v5, 23, 0x37800000
	v_lshlrev_b32_e32 v2, 21, v2
	v_or3_b32 v2, v3, v4, v2
.LBB20_106:
	s_or_b32 exec_lo, exec_lo, s12
.LBB20_107:
	s_andn2_saveexec_b32 s10, s10
	s_cbranch_execz .LBB20_109
; %bb.108:
	flat_load_ubyte v2, v[0:1]
	s_waitcnt vmcnt(0) lgkmcnt(0)
	v_lshlrev_b32_e32 v2, 24, v2
	v_and_b32_e32 v3, 0x7f000000, v2
	v_ffbh_u32_e32 v4, v3
	v_add_nc_u32_e32 v6, 0x1000000, v3
	v_cmp_ne_u32_e32 vcc_lo, 0, v3
	v_min_u32_e32 v4, 32, v4
	v_sub_nc_u32_e64 v4, v4, 4 clamp
	v_lshlrev_b32_e32 v5, v4, v3
	v_lshlrev_b32_e32 v4, 23, v4
	v_lshrrev_b32_e32 v5, 4, v5
	v_sub_nc_u32_e32 v4, v5, v4
	v_ashrrev_i32_e32 v5, 8, v6
	v_add_nc_u32_e32 v4, 0x3c000000, v4
	v_and_or_b32 v4, 0x7f800000, v5, v4
	v_cndmask_b32_e32 v3, 0, v4, vcc_lo
	v_and_or_b32 v2, 0x80000000, v2, v3
.LBB20_109:
	s_or_b32 exec_lo, exec_lo, s10
.LBB20_110:
	s_andn2_saveexec_b32 s9, s9
	s_cbranch_execz .LBB20_112
; %bb.111:
	flat_load_ubyte v2, v[0:1]
	s_waitcnt vmcnt(0) lgkmcnt(0)
	v_lshlrev_b32_e32 v3, 25, v2
	v_lshlrev_b16 v2, 8, v2
	v_lshrrev_b32_e32 v4, 4, v3
	v_and_or_b32 v5, 0x7f00, v2, 0.5
	v_cmp_gt_u32_e32 vcc_lo, 0x8000000, v3
	v_bfe_i32 v2, v2, 0, 16
	v_or_b32_e32 v4, 0x70000000, v4
	v_add_f32_e32 v5, -0.5, v5
	v_mul_f32_e32 v4, 0x7800000, v4
	v_cndmask_b32_e32 v3, v4, v5, vcc_lo
	v_and_or_b32 v2, 0x80000000, v2, v3
.LBB20_112:
	s_or_b32 exec_lo, exec_lo, s9
	s_or_b32 s9, s7, exec_lo
                                        ; implicit-def: $vgpr3
.LBB20_113:
	s_or_saveexec_b32 s5, s5
	s_mov_b32 s10, 0
	s_mov_b32 s11, s8
	s_xor_b32 exec_lo, exec_lo, s5
	s_cbranch_execz .LBB20_121
; %bb.114:
	v_mov_b32_e32 v2, 14
	s_mov_b32 s10, s8
	s_mov_b32 s11, s9
	v_cmp_gt_i16_sdwa s12, v3, v2 src0_sel:BYTE_0 src1_sel:DWORD
                                        ; implicit-def: $vgpr2
	s_and_saveexec_b32 s13, s12
	s_xor_b32 s12, exec_lo, s13
	s_cbranch_execz .LBB20_118
; %bb.115:
	v_mov_b32_e32 v2, 15
	s_mov_b32 s10, -1
	s_mov_b32 s11, s9
	v_cmp_eq_u16_sdwa s14, v3, v2 src0_sel:BYTE_0 src1_sel:DWORD
                                        ; implicit-def: $vgpr2
	s_and_saveexec_b32 s13, s14
	s_cbranch_execz .LBB20_117
; %bb.116:
	flat_load_ushort v2, v[0:1]
	s_or_b32 s11, s9, exec_lo
	s_xor_b32 s10, exec_lo, -1
	s_waitcnt vmcnt(0) lgkmcnt(0)
	v_lshlrev_b32_e32 v2, 16, v2
.LBB20_117:
	s_or_b32 exec_lo, exec_lo, s13
	s_andn2_b32 s13, s9, exec_lo
	s_and_b32 s11, s11, exec_lo
	s_andn2_b32 s14, s8, exec_lo
	s_and_b32 s10, s10, exec_lo
	s_or_b32 s11, s13, s11
	s_or_b32 s10, s14, s10
                                        ; implicit-def: $vgpr3
.LBB20_118:
	s_or_saveexec_b32 s12, s12
	s_mov_b32 s13, 0
	s_xor_b32 exec_lo, exec_lo, s12
; %bb.119:
	v_mov_b32_e32 v4, 11
	s_andn2_b32 s10, s10, exec_lo
	s_mov_b32 s13, exec_lo
	v_cmp_ne_u16_sdwa s14, v3, v4 src0_sel:BYTE_0 src1_sel:DWORD
	s_and_b32 s14, s14, exec_lo
	s_or_b32 s10, s10, s14
; %bb.120:
	s_or_b32 exec_lo, exec_lo, s12
	s_andn2_b32 s9, s9, exec_lo
	s_and_b32 s11, s11, exec_lo
	s_and_b32 s12, s10, exec_lo
	s_or_b32 s9, s9, s11
	s_andn2_b32 s11, s8, exec_lo
	s_and_b32 s10, s13, exec_lo
	s_or_b32 s11, s11, s12
.LBB20_121:
	s_or_b32 exec_lo, exec_lo, s5
	s_andn2_b32 s5, s7, exec_lo
	s_and_b32 s7, s9, exec_lo
	s_andn2_b32 s8, s8, exec_lo
	s_and_b32 s9, s11, exec_lo
	s_or_b32 s7, s5, s7
	s_and_b32 s5, s10, exec_lo
	s_or_b32 s8, s8, s9
	s_or_b32 exec_lo, exec_lo, s6
	s_and_saveexec_b32 s6, s8
	s_cbranch_execz .LBB20_36
.LBB20_122:
	s_trap 2
	; divergent unreachable
	s_andn2_b32 s5, s5, exec_lo
	s_or_b32 exec_lo, exec_lo, s6
	s_and_saveexec_b32 s6, s5
	s_xor_b32 s5, exec_lo, s6
	s_cbranch_execnz .LBB20_37
	s_branch .LBB20_38
.LBB20_123:
	s_or_saveexec_b32 s12, s12
	v_mov_b32_e32 v2, 0x7f800001
	s_xor_b32 exec_lo, exec_lo, s12
	s_cbranch_execz .LBB20_30
.LBB20_124:
	v_cmp_ne_u16_e32 vcc_lo, 0, v3
	v_mov_b32_e32 v2, 0
	s_andn2_b32 s11, s11, exec_lo
	s_and_b32 s13, vcc_lo, exec_lo
	s_or_b32 s11, s11, s13
	s_or_b32 exec_lo, exec_lo, s12
	s_and_saveexec_b32 s12, s11
	s_cbranch_execnz .LBB20_31
	s_branch .LBB20_32
.LBB20_125:
	s_or_saveexec_b32 s4, s11
	v_mul_f32_e64 v9, 0x3f22f983, |v0|
	s_xor_b32 exec_lo, exec_lo, s4
.LBB20_126:
	v_rndne_f32_e32 v5, v9
	v_fma_f32 v3, 0xbfc90fda, v5, |v0|
	v_cvt_i32_f32_e32 v6, v5
	v_fmamk_f32 v3, v5, 0xb3a22168, v3
	v_fmamk_f32 v3, v5, 0xa7c234c4, v3
; %bb.127:
	s_or_b32 exec_lo, exec_lo, s4
                                        ; implicit-def: $vgpr8
                                        ; implicit-def: $vgpr5
	s_and_saveexec_b32 s4, s6
	s_xor_b32 s6, exec_lo, s4
	s_cbranch_execz .LBB20_129
; %bb.128:
	s_mov_b32 s4, 0x7fffff
	v_mov_b32_e32 v10, 0
	v_and_or_b32 v5, v4, s4, 0x800000
	v_add_nc_u32_e32 v7, 0xffffff88, v7
	v_mad_u64_u32 v[8:9], null, 0xfe5163ab, v5, 0
	v_cmp_lt_u32_e32 vcc_lo, 63, v7
	v_cndmask_b32_e64 v16, 0, 0xffffffc0, vcc_lo
	v_mad_u64_u32 v[11:12], null, 0x3c439041, v5, v[9:10]
	v_add_nc_u32_e32 v7, v16, v7
	v_mov_b32_e32 v9, v12
	v_cmp_lt_u32_e64 s4, 31, v7
	v_mad_u64_u32 v[12:13], null, 0xdb629599, v5, v[9:10]
	v_cndmask_b32_e64 v17, 0, 0xffffffe0, s4
	v_add_nc_u32_e32 v7, v17, v7
	v_mov_b32_e32 v9, v13
	v_cndmask_b32_e32 v8, v12, v8, vcc_lo
	v_cmp_lt_u32_e64 s5, 31, v7
	v_mad_u64_u32 v[13:14], null, 0xf534ddc0, v5, v[9:10]
	v_mov_b32_e32 v9, v14
	v_mad_u64_u32 v[14:15], null, 0xfc2757d1, v5, v[9:10]
	v_mov_b32_e32 v9, v15
	;; [unrolled: 2-line block ×3, first 2 shown]
	v_cndmask_b32_e32 v16, v15, v13, vcc_lo
	v_mad_u64_u32 v[9:10], null, 0xa2f9836e, v5, v[9:10]
	v_cndmask_b32_e64 v5, 0, 0xffffffe0, s5
	v_add_nc_u32_e32 v5, v5, v7
	v_cndmask_b32_e32 v9, v9, v14, vcc_lo
	v_cndmask_b32_e32 v10, v10, v15, vcc_lo
	v_cndmask_b32_e32 v14, v14, v12, vcc_lo
	v_cndmask_b32_e32 v7, v13, v11, vcc_lo
	v_sub_nc_u32_e32 v13, 32, v5
	v_cndmask_b32_e64 v11, v9, v16, s4
	v_cndmask_b32_e64 v9, v10, v9, s4
	;; [unrolled: 1-line block ×4, first 2 shown]
	v_cmp_eq_u32_e32 vcc_lo, 0, v5
	v_cndmask_b32_e64 v7, v7, v8, s4
	v_cndmask_b32_e64 v9, v9, v11, s5
	;; [unrolled: 1-line block ×5, first 2 shown]
	v_alignbit_b32 v15, v9, v11, v13
	v_alignbit_b32 v12, v11, v10, v13
	;; [unrolled: 1-line block ×3, first 2 shown]
	v_cndmask_b32_e32 v5, v15, v9, vcc_lo
	v_cndmask_b32_e32 v8, v12, v11, vcc_lo
	;; [unrolled: 1-line block ×3, first 2 shown]
	v_bfe_u32 v9, v5, 29, 1
	v_alignbit_b32 v11, v5, v8, 30
	v_alignbit_b32 v8, v8, v10, 30
	;; [unrolled: 1-line block ×3, first 2 shown]
	v_sub_nc_u32_e32 v12, 0, v9
	v_xor_b32_e32 v11, v11, v12
	v_xor_b32_e32 v8, v8, v12
	v_xor_b32_e32 v7, v7, v12
	v_lshrrev_b32_e32 v12, 29, v5
	v_ffbh_u32_e32 v13, v11
	v_min_u32_e32 v13, 32, v13
	v_sub_nc_u32_e32 v10, 31, v13
	v_lshlrev_b32_e32 v14, 23, v13
	v_alignbit_b32 v11, v11, v8, v10
	v_alignbit_b32 v7, v8, v7, v10
	v_lshlrev_b32_e32 v8, 31, v12
	v_alignbit_b32 v10, v11, v7, 9
	v_or_b32_e32 v12, 0.5, v8
	v_lshrrev_b32_e32 v11, 9, v11
	v_or_b32_e32 v8, 0x33000000, v8
	v_ffbh_u32_e32 v15, v10
	v_sub_nc_u32_e32 v12, v12, v14
	v_min_u32_e32 v14, 32, v15
	v_or_b32_e32 v11, v11, v12
	v_not_b32_e32 v12, v14
	v_mul_f32_e32 v15, 0x3fc90fda, v11
	v_add_lshl_u32 v13, v14, v13, 23
	v_alignbit_b32 v7, v10, v7, v12
	v_fma_f32 v10, 0x3fc90fda, v11, -v15
	v_sub_nc_u32_e32 v8, v8, v13
	v_lshrrev_b32_e32 v7, 9, v7
	v_fmamk_f32 v10, v11, 0x33a22168, v10
	v_or_b32_e32 v7, v8, v7
	v_fmac_f32_e32 v10, 0x3fc90fda, v7
	v_lshrrev_b32_e32 v7, 30, v5
	v_add_f32_e32 v5, v15, v10
	v_add_nc_u32_e32 v8, v9, v7
                                        ; implicit-def: $vgpr9
	s_andn2_saveexec_b32 s4, s6
	s_cbranch_execnz .LBB20_130
	s_branch .LBB20_131
.LBB20_129:
	s_andn2_saveexec_b32 s4, s6
.LBB20_130:
	v_rndne_f32_e32 v7, v9
	v_fma_f32 v5, 0xbfc90fda, v7, |v0|
	v_cvt_i32_f32_e32 v8, v7
	v_fmamk_f32 v5, v7, 0xb3a22168, v5
	v_fmamk_f32 v5, v7, 0xa7c234c4, v5
.LBB20_131:
	s_or_b32 exec_lo, exec_lo, s4
	v_div_scale_f32 v7, null, v2, v2, 1.0
	v_div_scale_f32 v11, vcc_lo, 1.0, v2, 1.0
	v_mul_f32_e32 v14, 0x4f800000, v1
	v_rcp_f32_e32 v9, v7
	v_mul_f32_e32 v13, v3, v3
	s_mov_b32 s4, 0xb94c1982
	s_mov_b32 s5, 0x37d75334
	v_and_b32_e32 v15, 1, v8
	v_xor_b32_e32 v4, v4, v0
	v_lshlrev_b32_e32 v8, 30, v8
	v_fma_f32 v10, -v7, v9, 1.0
	v_and_b32_e32 v8, 0x80000000, v8
	v_fmac_f32_e32 v9, v10, v9
	v_mul_f32_e32 v10, v11, v9
	v_fma_f32 v12, -v7, v10, v11
	v_fmac_f32_e32 v10, v12, v9
	v_and_b32_e32 v12, 1, v6
	v_lshlrev_b32_e32 v6, 30, v6
	v_fma_f32 v7, -v7, v10, v11
	v_mul_f32_e32 v11, v5, v5
	v_cmp_eq_u32_e64 s6, 0, v12
	v_and_b32_e32 v6, 0x80000000, v6
	v_div_fmas_f32 v7, v7, v9, v10
	v_cmp_gt_f32_e32 vcc_lo, 0xf800000, v1
	v_fmaak_f32 v9, s4, v13, 0x3c0881c4
	v_fmaak_f32 v10, s5, v13, 0xbab64f3b
	v_div_fixup_f32 v2, v7, v2, 1.0
	v_cndmask_b32_e32 v1, v1, v14, vcc_lo
	v_fmaak_f32 v7, s4, v11, 0x3c0881c4
	v_fmaak_f32 v14, s5, v11, 0xbab64f3b
	;; [unrolled: 1-line block ×3, first 2 shown]
	v_mul_f32_e32 v16, v2, v2
	v_sqrt_f32_e32 v17, v1
	v_fmaak_f32 v10, v13, v10, 0x3d2aabf7
	v_fmaak_f32 v7, v11, v7, 0xbe2aaa9d
	;; [unrolled: 1-line block ×7, first 2 shown]
	v_mul_f32_e32 v9, v13, v9
	v_fmaak_f32 v18, v16, v18, 0x3ec83ea8
	v_fmaak_f32 v19, v16, v19, 0xbf205f75
	;; [unrolled: 1-line block ×4, first 2 shown]
	v_add_nc_u32_e32 v22, -1, v17
	v_fmaak_f32 v18, v16, v18, 0x3f886c1a
	v_fmaak_f32 v19, v16, v19, 0xbf3172ce
	;; [unrolled: 1-line block ×4, first 2 shown]
	v_add_nc_u32_e32 v23, 1, v17
	v_fmaak_f32 v18, v16, v18, 0x3f706d65
	v_fmaak_f32 v19, v16, v19, 0xbe8f3f52
	v_fma_f32 v24, -v22, v17, v1
	v_fmaak_f32 v20, v16, v20, 0x4112fe41
	v_fmaak_f32 v21, v16, v21, 0x40af4271
	;; [unrolled: 1-line block ×4, first 2 shown]
	v_fma_f32 v25, -v23, v17, v1
	v_cmp_ge_f32_e64 s4, 0, v24
	v_fmaak_f32 v20, v16, v20, 0x3fbcd65a
	v_fmaak_f32 v18, v16, v18, 0x3d81d209
	v_fmaak_f32 v21, v16, v21, 0x3f744c96
	v_fmaak_f32 v19, v16, v19, 0xbb85200e
	v_cndmask_b32_e64 v17, v17, v22, s4
	v_cmp_lt_f32_e64 s4, 0, v25
	v_fmaak_f32 v18, v16, v18, 0x3bbff4d0
	v_fmaak_f32 v20, v16, v20, 0x3deced66
	;; [unrolled: 1-line block ×4, first 2 shown]
	v_cndmask_b32_e64 v17, v17, v23, s4
	v_fmaak_f32 v18, v16, v18, 0x39944bb3
	v_fmaak_f32 v20, v16, v20, 0x3b904657
	;; [unrolled: 1-line block ×4, first 2 shown]
	v_mul_f32_e32 v22, 0x37800000, v17
	v_fmaak_f32 v18, v16, v18, 0x36ea79eb
	v_fmaak_f32 v20, v16, v20, 0x389e46bd
	;; [unrolled: 1-line block ×4, first 2 shown]
	v_cndmask_b32_e32 v17, v17, v22, vcc_lo
	v_fmaak_f32 v18, v16, v18, 0x33ae5496
	v_cmp_class_f32_e64 vcc_lo, v1, 0x260
	v_fmaak_f32 v20, v16, v20, 0x34f295ce
	v_fmaak_f32 v21, v16, v21, 0x359d422f
	v_mul_f32_e32 v19, v16, v19
	v_fmaak_f32 v18, v16, v18, 0x2fbbc524
	v_cndmask_b32_e32 v1, v17, v1, vcc_lo
	v_fmaak_f32 v10, v13, v10, 0xbf000004
	v_fmaak_f32 v16, v16, v21, 0x31a8fe3a
	v_div_scale_f32 v17, null, v20, v20, v19
	v_mul_f32_e32 v2, v2, v18
	v_div_scale_f32 v18, null, v1, v1, 0x3f106ebb
	v_rcp_f32_e32 v21, v17
	v_mul_f32_e32 v7, v11, v7
	v_div_scale_f32 v22, null, v16, v16, v2
	v_rcp_f32_e32 v23, v18
	v_fmaak_f32 v14, v11, v14, 0xbf000004
	v_fmac_f32_e32 v3, v3, v9
	v_fma_f32 v9, v13, v10, 1.0
	v_rcp_f32_e32 v10, v22
	v_fmac_f32_e32 v5, v5, v7
	v_fma_f32 v7, v11, v14, 1.0
	v_fma_f32 v11, -v17, v21, 1.0
	v_div_scale_f32 v24, vcc_lo, v19, v20, v19
	v_fma_f32 v14, -v18, v23, 1.0
	v_div_scale_f32 v13, s4, 0x3f106ebb, v1, 0x3f106ebb
	v_fmac_f32_e32 v21, v11, v21
	v_fma_f32 v11, -v22, v10, 1.0
	v_fmac_f32_e32 v23, v14, v23
	v_div_scale_f32 v14, s5, v2, v16, v2
	v_mul_f32_e32 v25, v24, v21
	v_fmac_f32_e32 v10, v11, v10
	v_mul_f32_e32 v11, v13, v23
	v_cndmask_b32_e64 v3, v9, v3, s6
	v_cmp_eq_u32_e64 s6, 0, v15
	v_fma_f32 v9, -v17, v25, v24
	v_mul_f32_e32 v12, v14, v10
	v_fma_f32 v26, -v18, v11, v13
	v_xor3_b32 v3, v4, v6, v3
	v_cndmask_b32_e64 v5, -v5, v7, s6
	v_fmac_f32_e32 v25, v9, v21
	v_fma_f32 v7, -v22, v12, v14
	v_fmac_f32_e32 v11, v26, v23
	v_cmp_class_f32_e64 s6, v0, 0x1f8
	v_xor_b32_e32 v5, v8, v5
	v_fma_f32 v0, -v17, v25, v24
	v_fmac_f32_e32 v12, v7, v10
	v_fma_f32 v4, -v18, v11, v13
	v_cndmask_b32_e64 v3, 0x7fc00000, v3, s6
	v_cndmask_b32_e64 v5, 0x7fc00000, v5, s6
	v_div_fmas_f32 v0, v0, v21, v25
	v_fma_f32 v6, -v22, v12, v14
	s_mov_b32 vcc_lo, s4
	v_div_fmas_f32 v4, v4, v23, v11
	s_mov_b32 vcc_lo, s5
	v_div_fixup_f32 v0, v0, v20, v19
	v_div_fmas_f32 v6, v6, v10, v12
	v_div_fixup_f32 v1, v4, v1, 0x3f106ebb
	v_add_f32_e32 v0, 1.0, v0
	v_div_fixup_f32 v2, v6, v16, v2
	v_mul_f32_e32 v2, v2, v5
	v_fma_f32 v0, v0, v3, -v2
	v_mul_f32_e32 v0, v1, v0
.LBB20_132:
	s_or_b32 exec_lo, exec_lo, s10
.LBB20_133:
	s_or_b32 exec_lo, exec_lo, s9
.LBB20_134:
	s_or_b32 exec_lo, exec_lo, s8
	s_or_b32 exec_lo, exec_lo, s7
	s_setpc_b64 s[30:31]
.LBB20_135:
	s_or_saveexec_b32 s12, s12
	v_mov_b32_e32 v2, 0x7f800001
	s_xor_b32 exec_lo, exec_lo, s12
	s_cbranch_execz .LBB20_104
.LBB20_136:
	v_cmp_ne_u16_e32 vcc_lo, 0, v3
	v_mov_b32_e32 v2, 0
	s_andn2_b32 s11, s11, exec_lo
	s_and_b32 s13, vcc_lo, exec_lo
	s_or_b32 s11, s11, s13
	s_or_b32 exec_lo, exec_lo, s12
	s_and_saveexec_b32 s12, s11
	s_cbranch_execnz .LBB20_105
	s_branch .LBB20_106
.Lfunc_end20:
	.size	_ZN2at6native6invokeIZZZNS0_12_GLOBAL__N_119airy_ai_kernel_cudaERNS_18TensorIteratorBaseEENKUlvE_clEvENKUlvE0_clEvEUlfE_i15function_traitsIS7_EEENT1_11result_typeERKT_PrKPcPKT0_PKN3c1010ScalarTypeEi, .Lfunc_end20-_ZN2at6native6invokeIZZZNS0_12_GLOBAL__N_119airy_ai_kernel_cudaERNS_18TensorIteratorBaseEENKUlvE_clEvENKUlvE0_clEvEUlfE_i15function_traitsIS7_EEENT1_11result_typeERKT_PrKPcPKT0_PKN3c1010ScalarTypeEi
                                        ; -- End function
	.set .L_ZN2at6native6invokeIZZZNS0_12_GLOBAL__N_119airy_ai_kernel_cudaERNS_18TensorIteratorBaseEENKUlvE_clEvENKUlvE0_clEvEUlfE_i15function_traitsIS7_EEENT1_11result_typeERKT_PrKPcPKT0_PKN3c1010ScalarTypeEi.num_vgpr, 27
	.set .L_ZN2at6native6invokeIZZZNS0_12_GLOBAL__N_119airy_ai_kernel_cudaERNS_18TensorIteratorBaseEENKUlvE_clEvENKUlvE0_clEvEUlfE_i15function_traitsIS7_EEENT1_11result_typeERKT_PrKPcPKT0_PKN3c1010ScalarTypeEi.num_agpr, 0
	.set .L_ZN2at6native6invokeIZZZNS0_12_GLOBAL__N_119airy_ai_kernel_cudaERNS_18TensorIteratorBaseEENKUlvE_clEvENKUlvE0_clEvEUlfE_i15function_traitsIS7_EEENT1_11result_typeERKT_PrKPcPKT0_PKN3c1010ScalarTypeEi.numbered_sgpr, 32
	.set .L_ZN2at6native6invokeIZZZNS0_12_GLOBAL__N_119airy_ai_kernel_cudaERNS_18TensorIteratorBaseEENKUlvE_clEvENKUlvE0_clEvEUlfE_i15function_traitsIS7_EEENT1_11result_typeERKT_PrKPcPKT0_PKN3c1010ScalarTypeEi.num_named_barrier, 0
	.set .L_ZN2at6native6invokeIZZZNS0_12_GLOBAL__N_119airy_ai_kernel_cudaERNS_18TensorIteratorBaseEENKUlvE_clEvENKUlvE0_clEvEUlfE_i15function_traitsIS7_EEENT1_11result_typeERKT_PrKPcPKT0_PKN3c1010ScalarTypeEi.private_seg_size, 0
	.set .L_ZN2at6native6invokeIZZZNS0_12_GLOBAL__N_119airy_ai_kernel_cudaERNS_18TensorIteratorBaseEENKUlvE_clEvENKUlvE0_clEvEUlfE_i15function_traitsIS7_EEENT1_11result_typeERKT_PrKPcPKT0_PKN3c1010ScalarTypeEi.uses_vcc, 1
	.set .L_ZN2at6native6invokeIZZZNS0_12_GLOBAL__N_119airy_ai_kernel_cudaERNS_18TensorIteratorBaseEENKUlvE_clEvENKUlvE0_clEvEUlfE_i15function_traitsIS7_EEENT1_11result_typeERKT_PrKPcPKT0_PKN3c1010ScalarTypeEi.uses_flat_scratch, 0
	.set .L_ZN2at6native6invokeIZZZNS0_12_GLOBAL__N_119airy_ai_kernel_cudaERNS_18TensorIteratorBaseEENKUlvE_clEvENKUlvE0_clEvEUlfE_i15function_traitsIS7_EEENT1_11result_typeERKT_PrKPcPKT0_PKN3c1010ScalarTypeEi.has_dyn_sized_stack, 0
	.set .L_ZN2at6native6invokeIZZZNS0_12_GLOBAL__N_119airy_ai_kernel_cudaERNS_18TensorIteratorBaseEENKUlvE_clEvENKUlvE0_clEvEUlfE_i15function_traitsIS7_EEENT1_11result_typeERKT_PrKPcPKT0_PKN3c1010ScalarTypeEi.has_recursion, 0
	.set .L_ZN2at6native6invokeIZZZNS0_12_GLOBAL__N_119airy_ai_kernel_cudaERNS_18TensorIteratorBaseEENKUlvE_clEvENKUlvE0_clEvEUlfE_i15function_traitsIS7_EEENT1_11result_typeERKT_PrKPcPKT0_PKN3c1010ScalarTypeEi.has_indirect_call, 0
	.section	.AMDGPU.csdata,"",@progbits
; Function info:
; codeLenInByte = 6348
; TotalNumSgprs: 34
; NumVgprs: 27
; ScratchSize: 0
; MemoryBound: 1
	.section	.text._ZN2at6native32elementwise_kernel_manual_unrollILi128ELi4EZNS0_15gpu_kernel_implIZZZNS0_12_GLOBAL__N_119airy_ai_kernel_cudaERNS_18TensorIteratorBaseEENKUlvE_clEvENKUlvE0_clEvEUlfE_EEvS5_RKT_EUlibE_EEviT1_,"axG",@progbits,_ZN2at6native32elementwise_kernel_manual_unrollILi128ELi4EZNS0_15gpu_kernel_implIZZZNS0_12_GLOBAL__N_119airy_ai_kernel_cudaERNS_18TensorIteratorBaseEENKUlvE_clEvENKUlvE0_clEvEUlfE_EEvS5_RKT_EUlibE_EEviT1_,comdat
	.globl	_ZN2at6native32elementwise_kernel_manual_unrollILi128ELi4EZNS0_15gpu_kernel_implIZZZNS0_12_GLOBAL__N_119airy_ai_kernel_cudaERNS_18TensorIteratorBaseEENKUlvE_clEvENKUlvE0_clEvEUlfE_EEvS5_RKT_EUlibE_EEviT1_ ; -- Begin function _ZN2at6native32elementwise_kernel_manual_unrollILi128ELi4EZNS0_15gpu_kernel_implIZZZNS0_12_GLOBAL__N_119airy_ai_kernel_cudaERNS_18TensorIteratorBaseEENKUlvE_clEvENKUlvE0_clEvEUlfE_EEvS5_RKT_EUlibE_EEviT1_
	.p2align	8
	.type	_ZN2at6native32elementwise_kernel_manual_unrollILi128ELi4EZNS0_15gpu_kernel_implIZZZNS0_12_GLOBAL__N_119airy_ai_kernel_cudaERNS_18TensorIteratorBaseEENKUlvE_clEvENKUlvE0_clEvEUlfE_EEvS5_RKT_EUlibE_EEviT1_,@function
_ZN2at6native32elementwise_kernel_manual_unrollILi128ELi4EZNS0_15gpu_kernel_implIZZZNS0_12_GLOBAL__N_119airy_ai_kernel_cudaERNS_18TensorIteratorBaseEENKUlvE_clEvENKUlvE0_clEvEUlfE_EEvS5_RKT_EUlibE_EEviT1_: ; @_ZN2at6native32elementwise_kernel_manual_unrollILi128ELi4EZNS0_15gpu_kernel_implIZZZNS0_12_GLOBAL__N_119airy_ai_kernel_cudaERNS_18TensorIteratorBaseEENKUlvE_clEvENKUlvE0_clEvEUlfE_EEvS5_RKT_EUlibE_EEviT1_
; %bb.0:
	v_mov_b32_e32 v1, 0
	s_clause 0x2
	s_load_dword s26, s[4:5], 0x0
	s_load_dwordx2 s[20:21], s[4:5], 0x18
	s_load_dwordx4 s[16:19], s[4:5], 0x8
	v_lshl_or_b32 v30, s6, 9, v0
	v_mov_b32_e32 v0, 8
	s_add_u32 s0, s0, s7
	global_load_ushort v1, v1, s[4:5] offset:33
	s_addc_u32 s1, s1, 0
	v_or_b32_e32 v32, 0x180, v30
	s_mov_b32 s23, 0
	s_mov_b32 s25, 0
	;; [unrolled: 1-line block ×3, first 2 shown]
	s_mov_b32 s4, exec_lo
	s_waitcnt vmcnt(0)
	v_readfirstlane_b32 s22, v1
	v_lshrrev_b32_sdwa v31, v0, v1 dst_sel:DWORD dst_unused:UNUSED_PAD src0_sel:DWORD src1_sel:WORD_0
	s_waitcnt lgkmcnt(0)
	v_cmpx_le_i32_e64 s26, v32
	s_xor_b32 s24, exec_lo, s4
	s_cbranch_execz .LBB21_512
; %bb.1:
	s_mov_b32 s4, -1
	s_mov_b32 s28, 0
	s_mov_b32 s27, exec_lo
	v_cmpx_gt_i32_e64 s26, v30
	s_cbranch_execz .LBB21_124
; %bb.2:
	v_mov_b32_e32 v0, s18
	v_mov_b32_e32 v1, s19
	;; [unrolled: 1-line block ×5, first 2 shown]
	s_getpc_b64 s[4:5]
	s_add_u32 s4, s4, _ZN2at6native6invokeIZZZNS0_12_GLOBAL__N_119airy_ai_kernel_cudaERNS_18TensorIteratorBaseEENKUlvE_clEvENKUlvE0_clEvEUlfE_i15function_traitsIS7_EEENT1_11result_typeERKT_PrKPcPKT0_PKN3c1010ScalarTypeEi@rel32@lo+4
	s_addc_u32 s5, s5, _ZN2at6native6invokeIZZZNS0_12_GLOBAL__N_119airy_ai_kernel_cudaERNS_18TensorIteratorBaseEENKUlvE_clEvENKUlvE0_clEvEUlfE_i15function_traitsIS7_EEENT1_11result_typeERKT_PrKPcPKT0_PKN3c1010ScalarTypeEi@rel32@hi+12
	s_swappc_b64 s[30:31], s[4:5]
	v_mul_lo_u32 v1, v30, s20
	s_and_b32 s5, s22, 0xff
	s_cmp_lt_i32 s5, 11
	v_ashrrev_i32_e32 v3, 31, v1
	v_add_co_u32 v2, vcc_lo, s16, v1
	v_add_co_ci_u32_e64 v3, null, s17, v3, vcc_lo
	s_cbranch_scc1 .LBB21_9
; %bb.3:
	s_and_b32 s6, 0xffff, s5
	s_cmp_gt_i32 s6, 25
	s_cbranch_scc0 .LBB21_12
; %bb.4:
	s_cmp_gt_i32 s6, 28
	s_cbranch_scc0 .LBB21_13
; %bb.5:
	;; [unrolled: 3-line block ×4, first 2 shown]
	s_mov_b32 s8, 0
	s_mov_b32 s4, -1
	s_cmp_eq_u32 s6, 46
	s_mov_b32 s7, 0
	s_cbranch_scc0 .LBB21_16
; %bb.8:
	v_bfe_u32 v1, v0, 16, 1
	v_cmp_o_f32_e32 vcc_lo, v0, v0
	v_mov_b32_e32 v4, 0x7fc0
	s_mov_b32 s7, -1
	s_mov_b32 s4, 0
	v_add3_u32 v1, v0, v1, 0x7fff
	v_cndmask_b32_sdwa v1, v4, v1, vcc_lo dst_sel:DWORD dst_unused:UNUSED_PAD src0_sel:DWORD src1_sel:WORD_1
	global_store_dword v[2:3], v1, off
	s_branch .LBB21_16
.LBB21_9:
	s_mov_b32 s4, 0
	s_mov_b32 s7, 0
	s_cbranch_execnz .LBB21_84
.LBB21_10:
	s_andn2_b32 vcc_lo, exec_lo, s7
	s_cbranch_vccnz .LBB21_122
.LBB21_11:
	v_add_nc_u32_e32 v30, 0x80, v30
	s_mov_b32 s5, -1
	s_branch .LBB21_123
.LBB21_12:
	s_mov_b32 s4, 0
	s_mov_b32 s7, 0
	s_cbranch_execnz .LBB21_43
	s_branch .LBB21_83
.LBB21_13:
	s_mov_b32 s8, -1
	s_mov_b32 s4, 0
	s_mov_b32 s7, 0
	s_branch .LBB21_26
.LBB21_14:
	s_mov_b32 s8, -1
	s_mov_b32 s4, 0
	s_mov_b32 s7, 0
	s_branch .LBB21_22
.LBB21_15:
	s_mov_b32 s8, -1
	s_mov_b32 s4, 0
	s_mov_b32 s7, 0
.LBB21_16:
	s_and_b32 vcc_lo, exec_lo, s8
	s_cbranch_vccz .LBB21_21
; %bb.17:
	s_cmp_eq_u32 s6, 44
	s_mov_b32 s4, -1
	s_cbranch_scc0 .LBB21_21
; %bb.18:
	v_bfe_u32 v4, v0, 23, 8
	v_mov_b32_e32 v1, 0xff
	s_mov_b32 s7, exec_lo
	v_cmpx_ne_u32_e32 0xff, v4
	s_cbranch_execz .LBB21_20
; %bb.19:
	v_and_b32_e32 v1, 0x400000, v0
	v_and_or_b32 v4, 0x3fffff, v0, v4
	v_cmp_ne_u32_e32 vcc_lo, 0, v1
	v_cmp_ne_u32_e64 s4, 0, v4
	v_lshrrev_b32_e32 v1, 23, v0
	s_and_b32 s4, vcc_lo, s4
	v_cndmask_b32_e64 v4, 0, 1, s4
	v_add_nc_u32_e32 v1, v1, v4
.LBB21_20:
	s_or_b32 exec_lo, exec_lo, s7
	s_mov_b32 s7, -1
	s_mov_b32 s4, 0
	global_store_byte v[2:3], v1, off
.LBB21_21:
	s_mov_b32 s8, 0
.LBB21_22:
	s_and_b32 vcc_lo, exec_lo, s8
	s_cbranch_vccz .LBB21_25
; %bb.23:
	s_cmp_eq_u32 s6, 29
	s_mov_b32 s4, -1
	s_cbranch_scc0 .LBB21_25
; %bb.24:
	v_trunc_f32_e32 v1, v0
	s_mov_b32 s7, -1
	s_mov_b32 s4, 0
	s_mov_b32 s8, 0
	v_mul_f32_e32 v4, 0x2f800000, v1
	v_floor_f32_e32 v4, v4
	v_fmamk_f32 v1, v4, 0xcf800000, v1
	v_cvt_u32_f32_e32 v5, v4
	v_cvt_u32_f32_e32 v4, v1
	global_store_dwordx2 v[2:3], v[4:5], off
	s_branch .LBB21_26
.LBB21_25:
	s_mov_b32 s8, 0
.LBB21_26:
	s_and_b32 vcc_lo, exec_lo, s8
	s_cbranch_vccz .LBB21_42
; %bb.27:
	s_cmp_lt_i32 s6, 27
	s_mov_b32 s7, -1
	s_cbranch_scc1 .LBB21_33
; %bb.28:
	v_cvt_u32_f32_e32 v1, v0
	s_cmp_gt_i32 s6, 27
	s_cbranch_scc0 .LBB21_30
; %bb.29:
	s_mov_b32 s7, 0
	global_store_dword v[2:3], v1, off
.LBB21_30:
	s_andn2_b32 vcc_lo, exec_lo, s7
	s_cbranch_vccnz .LBB21_32
; %bb.31:
	global_store_short v[2:3], v1, off
.LBB21_32:
	s_mov_b32 s7, 0
.LBB21_33:
	s_andn2_b32 vcc_lo, exec_lo, s7
	s_cbranch_vccnz .LBB21_41
; %bb.34:
	v_and_b32_e32 v1, 0x7fffffff, v0
	v_mov_b32_e32 v4, 0x80
	s_mov_b32 s7, exec_lo
	v_cmpx_gt_u32_e32 0x43800000, v1
	s_cbranch_execz .LBB21_40
; %bb.35:
	v_cmp_lt_u32_e32 vcc_lo, 0x3bffffff, v1
	s_mov_b32 s8, 0
                                        ; implicit-def: $vgpr1
	s_and_saveexec_b32 s9, vcc_lo
	s_xor_b32 s9, exec_lo, s9
	s_cbranch_execz .LBB21_141
; %bb.36:
	v_bfe_u32 v1, v0, 20, 1
	s_mov_b32 s8, exec_lo
	v_add3_u32 v1, v0, v1, 0x487ffff
	v_lshrrev_b32_e32 v1, 20, v1
	s_andn2_saveexec_b32 s9, s9
	s_cbranch_execnz .LBB21_142
.LBB21_37:
	s_or_b32 exec_lo, exec_lo, s9
	v_mov_b32_e32 v4, 0
	s_and_saveexec_b32 s9, s8
.LBB21_38:
	v_lshrrev_b32_e32 v4, 24, v0
	v_and_or_b32 v4, 0x80, v4, v1
.LBB21_39:
	s_or_b32 exec_lo, exec_lo, s9
.LBB21_40:
	s_or_b32 exec_lo, exec_lo, s7
	global_store_byte v[2:3], v4, off
.LBB21_41:
	s_mov_b32 s7, -1
.LBB21_42:
	s_branch .LBB21_83
.LBB21_43:
	s_cmp_gt_i32 s6, 22
	s_mov_b32 s8, -1
	s_cbranch_scc0 .LBB21_75
; %bb.44:
	s_cmp_lt_i32 s6, 24
	s_mov_b32 s7, -1
	s_cbranch_scc1 .LBB21_64
; %bb.45:
	s_cmp_gt_i32 s6, 24
	s_cbranch_scc0 .LBB21_53
; %bb.46:
	v_and_b32_e32 v1, 0x7fffffff, v0
	v_mov_b32_e32 v4, 0x80
	s_mov_b32 s7, exec_lo
	v_cmpx_gt_u32_e32 0x47800000, v1
	s_cbranch_execz .LBB21_52
; %bb.47:
	v_cmp_lt_u32_e32 vcc_lo, 0x37ffffff, v1
	s_mov_b32 s8, 0
                                        ; implicit-def: $vgpr1
	s_and_saveexec_b32 s9, vcc_lo
	s_xor_b32 s9, exec_lo, s9
	s_cbranch_execz .LBB21_144
; %bb.48:
	v_bfe_u32 v1, v0, 21, 1
	s_mov_b32 s8, exec_lo
	v_add3_u32 v1, v0, v1, 0x88fffff
	v_lshrrev_b32_e32 v1, 21, v1
	s_andn2_saveexec_b32 s9, s9
	s_cbranch_execnz .LBB21_145
.LBB21_49:
	s_or_b32 exec_lo, exec_lo, s9
	v_mov_b32_e32 v4, 0
	s_and_saveexec_b32 s9, s8
.LBB21_50:
	v_lshrrev_b32_e32 v4, 24, v0
	v_and_or_b32 v4, 0x80, v4, v1
.LBB21_51:
	s_or_b32 exec_lo, exec_lo, s9
.LBB21_52:
	s_or_b32 exec_lo, exec_lo, s7
	s_mov_b32 s7, 0
	global_store_byte v[2:3], v4, off
.LBB21_53:
	s_and_b32 vcc_lo, exec_lo, s7
	s_cbranch_vccz .LBB21_63
; %bb.54:
	v_and_b32_e32 v4, 0x7fffffff, v0
	s_mov_b32 s7, exec_lo
                                        ; implicit-def: $vgpr1
	v_cmpx_gt_u32_e32 0x43f00000, v4
	s_xor_b32 s7, exec_lo, s7
	s_cbranch_execz .LBB21_60
; %bb.55:
	s_mov_b32 s8, exec_lo
                                        ; implicit-def: $vgpr1
	v_cmpx_lt_u32_e32 0x3c7fffff, v4
	s_xor_b32 s8, exec_lo, s8
; %bb.56:
	v_bfe_u32 v1, v0, 20, 1
	v_add3_u32 v1, v0, v1, 0x407ffff
	v_and_b32_e32 v4, 0xff00000, v1
	v_lshrrev_b32_e32 v1, 20, v1
	v_cmp_ne_u32_e32 vcc_lo, 0x7f00000, v4
	v_cndmask_b32_e32 v1, 0x7e, v1, vcc_lo
; %bb.57:
	s_andn2_saveexec_b32 s8, s8
; %bb.58:
	v_add_f32_e64 v1, 0x46800000, |v0|
; %bb.59:
	s_or_b32 exec_lo, exec_lo, s8
                                        ; implicit-def: $vgpr4
.LBB21_60:
	s_andn2_saveexec_b32 s7, s7
; %bb.61:
	v_mov_b32_e32 v1, 0x7f
	v_cmp_lt_u32_e32 vcc_lo, 0x7f800000, v4
	v_cndmask_b32_e32 v1, 0x7e, v1, vcc_lo
; %bb.62:
	s_or_b32 exec_lo, exec_lo, s7
	v_lshrrev_b32_e32 v4, 24, v0
	v_and_or_b32 v1, 0x80, v4, v1
	global_store_byte v[2:3], v1, off
.LBB21_63:
	s_mov_b32 s7, 0
.LBB21_64:
	s_andn2_b32 vcc_lo, exec_lo, s7
	s_cbranch_vccnz .LBB21_74
; %bb.65:
	v_and_b32_e32 v4, 0x7fffffff, v0
	s_mov_b32 s7, exec_lo
                                        ; implicit-def: $vgpr1
	v_cmpx_gt_u32_e32 0x47800000, v4
	s_xor_b32 s7, exec_lo, s7
	s_cbranch_execz .LBB21_71
; %bb.66:
	s_mov_b32 s8, exec_lo
                                        ; implicit-def: $vgpr1
	v_cmpx_lt_u32_e32 0x387fffff, v4
	s_xor_b32 s8, exec_lo, s8
; %bb.67:
	v_bfe_u32 v1, v0, 21, 1
	v_add3_u32 v1, v0, v1, 0x80fffff
	v_lshrrev_b32_e32 v1, 21, v1
; %bb.68:
	s_andn2_saveexec_b32 s8, s8
; %bb.69:
	v_add_f32_e64 v1, 0x43000000, |v0|
; %bb.70:
	s_or_b32 exec_lo, exec_lo, s8
                                        ; implicit-def: $vgpr4
.LBB21_71:
	s_andn2_saveexec_b32 s7, s7
; %bb.72:
	v_mov_b32_e32 v1, 0x7f
	v_cmp_lt_u32_e32 vcc_lo, 0x7f800000, v4
	v_cndmask_b32_e32 v1, 0x7c, v1, vcc_lo
; %bb.73:
	s_or_b32 exec_lo, exec_lo, s7
	v_lshrrev_b32_e32 v4, 24, v0
	v_and_or_b32 v1, 0x80, v4, v1
	global_store_byte v[2:3], v1, off
.LBB21_74:
	s_mov_b32 s8, 0
	s_mov_b32 s7, -1
.LBB21_75:
	s_andn2_b32 vcc_lo, exec_lo, s8
	s_cbranch_vccnz .LBB21_83
; %bb.76:
	s_cmp_gt_i32 s6, 14
	s_mov_b32 s8, -1
	s_cbranch_scc0 .LBB21_80
; %bb.77:
	s_cmp_eq_u32 s6, 15
	s_mov_b32 s4, -1
	s_cbranch_scc0 .LBB21_79
; %bb.78:
	v_bfe_u32 v1, v0, 16, 1
	v_cmp_o_f32_e32 vcc_lo, v0, v0
	v_mov_b32_e32 v4, 0x7fc0
	s_mov_b32 s7, -1
	s_mov_b32 s4, 0
	v_add3_u32 v1, v0, v1, 0x7fff
	v_cndmask_b32_sdwa v1, v4, v1, vcc_lo dst_sel:DWORD dst_unused:UNUSED_PAD src0_sel:DWORD src1_sel:WORD_1
	global_store_short v[2:3], v1, off
.LBB21_79:
	s_mov_b32 s8, 0
.LBB21_80:
	s_and_b32 vcc_lo, exec_lo, s8
	s_cbranch_vccz .LBB21_83
; %bb.81:
	s_cmp_eq_u32 s6, 11
	s_mov_b32 s4, -1
	s_cbranch_scc0 .LBB21_83
; %bb.82:
	v_cmp_neq_f32_e32 vcc_lo, 0, v0
	s_mov_b32 s4, 0
	s_mov_b32 s7, -1
	v_cndmask_b32_e64 v1, 0, 1, vcc_lo
	global_store_byte v[2:3], v1, off
.LBB21_83:
	s_branch .LBB21_10
.LBB21_84:
	s_and_b32 s5, 0xffff, s5
	s_mov_b32 s6, -1
	s_cmp_lt_i32 s5, 5
	s_cbranch_scc1 .LBB21_105
; %bb.85:
	s_cmp_lt_i32 s5, 8
	s_cbranch_scc1 .LBB21_95
; %bb.86:
	;; [unrolled: 3-line block ×3, first 2 shown]
	s_cmp_gt_i32 s5, 9
	s_cbranch_scc0 .LBB21_89
; %bb.88:
	v_cvt_f64_f32_e32 v[4:5], v0
	v_mov_b32_e32 v6, 0
	s_mov_b32 s6, 0
	v_mov_b32_e32 v7, v6
	global_store_dwordx4 v[2:3], v[4:7], off
.LBB21_89:
	s_andn2_b32 vcc_lo, exec_lo, s6
	s_cbranch_vccnz .LBB21_91
; %bb.90:
	v_mov_b32_e32 v1, 0
	global_store_dwordx2 v[2:3], v[0:1], off
.LBB21_91:
	s_mov_b32 s6, 0
.LBB21_92:
	s_andn2_b32 vcc_lo, exec_lo, s6
	s_cbranch_vccnz .LBB21_94
; %bb.93:
	v_cvt_f16_f32_e32 v1, v0
	v_and_b32_e32 v1, 0xffff, v1
	global_store_dword v[2:3], v1, off
.LBB21_94:
	s_mov_b32 s6, 0
.LBB21_95:
	s_andn2_b32 vcc_lo, exec_lo, s6
	s_cbranch_vccnz .LBB21_104
; %bb.96:
	s_cmp_lt_i32 s5, 6
	s_mov_b32 s6, -1
	s_cbranch_scc1 .LBB21_102
; %bb.97:
	s_cmp_gt_i32 s5, 6
	s_cbranch_scc0 .LBB21_99
; %bb.98:
	v_cvt_f64_f32_e32 v[4:5], v0
	s_mov_b32 s6, 0
	global_store_dwordx2 v[2:3], v[4:5], off
.LBB21_99:
	s_andn2_b32 vcc_lo, exec_lo, s6
	s_cbranch_vccnz .LBB21_101
; %bb.100:
	global_store_dword v[2:3], v0, off
.LBB21_101:
	s_mov_b32 s6, 0
.LBB21_102:
	s_andn2_b32 vcc_lo, exec_lo, s6
	s_cbranch_vccnz .LBB21_104
; %bb.103:
	v_cvt_f16_f32_e32 v1, v0
	global_store_short v[2:3], v1, off
.LBB21_104:
	s_mov_b32 s6, 0
.LBB21_105:
	s_andn2_b32 vcc_lo, exec_lo, s6
	s_cbranch_vccnz .LBB21_121
; %bb.106:
	s_cmp_lt_i32 s5, 2
	s_mov_b32 s6, -1
	s_cbranch_scc1 .LBB21_116
; %bb.107:
	s_cmp_lt_i32 s5, 3
	s_cbranch_scc1 .LBB21_113
; %bb.108:
	s_cmp_gt_i32 s5, 3
	s_cbranch_scc0 .LBB21_110
; %bb.109:
	v_trunc_f32_e32 v1, v0
	s_mov_b32 s6, 0
	v_mul_f32_e64 v4, 0x2f800000, |v1|
	v_floor_f32_e32 v4, v4
	v_fma_f32 v5, 0xcf800000, v4, |v1|
	v_ashrrev_i32_e32 v1, 31, v1
	v_cvt_u32_f32_e32 v4, v4
	v_cvt_u32_f32_e32 v5, v5
	v_xor_b32_e32 v6, v4, v1
	v_xor_b32_e32 v5, v5, v1
	v_sub_co_u32 v4, vcc_lo, v5, v1
	v_sub_co_ci_u32_e64 v5, null, v6, v1, vcc_lo
	global_store_dwordx2 v[2:3], v[4:5], off
.LBB21_110:
	s_andn2_b32 vcc_lo, exec_lo, s6
	s_cbranch_vccnz .LBB21_112
; %bb.111:
	v_cvt_i32_f32_e32 v1, v0
	global_store_dword v[2:3], v1, off
.LBB21_112:
	s_mov_b32 s6, 0
.LBB21_113:
	s_andn2_b32 vcc_lo, exec_lo, s6
	s_cbranch_vccnz .LBB21_115
; %bb.114:
	v_cvt_i32_f32_e32 v1, v0
	global_store_short v[2:3], v1, off
.LBB21_115:
	s_mov_b32 s6, 0
.LBB21_116:
	s_andn2_b32 vcc_lo, exec_lo, s6
	s_cbranch_vccnz .LBB21_121
; %bb.117:
	s_cmp_gt_i32 s5, 0
	s_mov_b32 s5, -1
	s_cbranch_scc0 .LBB21_119
; %bb.118:
	v_cvt_i32_f32_e32 v1, v0
	s_mov_b32 s5, 0
	global_store_byte v[2:3], v1, off
.LBB21_119:
	s_andn2_b32 vcc_lo, exec_lo, s5
	s_cbranch_vccnz .LBB21_121
; %bb.120:
	v_trunc_f32_e32 v0, v0
	v_mul_f32_e64 v1, 0x2f800000, |v0|
	v_floor_f32_e32 v1, v1
	v_fma_f32 v1, 0xcf800000, v1, |v0|
	v_ashrrev_i32_e32 v0, 31, v0
	v_cvt_u32_f32_e32 v1, v1
	v_xor_b32_e32 v1, v1, v0
	v_sub_nc_u32_e32 v0, v1, v0
	global_store_byte v[2:3], v0, off
.LBB21_121:
	s_branch .LBB21_11
.LBB21_122:
	s_mov_b32 s5, 0
                                        ; implicit-def: $vgpr30
.LBB21_123:
	s_and_b32 s25, s4, exec_lo
	s_orn2_b32 s4, s5, exec_lo
.LBB21_124:
	s_or_b32 exec_lo, exec_lo, s27
	s_mov_b32 s6, 0
                                        ; implicit-def: $sgpr5
                                        ; implicit-def: $vgpr2_vgpr3
                                        ; implicit-def: $vgpr0
	s_and_saveexec_b32 s27, s4
	s_cbranch_execz .LBB21_133
; %bb.125:
	s_mov_b32 s7, -1
	s_mov_b32 s28, s25
	s_mov_b32 s29, exec_lo
	v_cmpx_gt_i32_e64 s26, v30
	s_cbranch_execz .LBB21_256
; %bb.126:
	v_mov_b32_e32 v0, s18
	v_mov_b32_e32 v1, s19
	;; [unrolled: 1-line block ×5, first 2 shown]
	s_getpc_b64 s[4:5]
	s_add_u32 s4, s4, _ZN2at6native6invokeIZZZNS0_12_GLOBAL__N_119airy_ai_kernel_cudaERNS_18TensorIteratorBaseEENKUlvE_clEvENKUlvE0_clEvEUlfE_i15function_traitsIS7_EEENT1_11result_typeERKT_PrKPcPKT0_PKN3c1010ScalarTypeEi@rel32@lo+4
	s_addc_u32 s5, s5, _ZN2at6native6invokeIZZZNS0_12_GLOBAL__N_119airy_ai_kernel_cudaERNS_18TensorIteratorBaseEENKUlvE_clEvENKUlvE0_clEvEUlfE_i15function_traitsIS7_EEENT1_11result_typeERKT_PrKPcPKT0_PKN3c1010ScalarTypeEi@rel32@hi+12
	s_swappc_b64 s[30:31], s[4:5]
	v_mul_lo_u32 v1, v30, s20
	s_and_b32 s5, s22, 0xff
	s_cmp_lt_i32 s5, 11
	v_ashrrev_i32_e32 v3, 31, v1
	v_add_co_u32 v2, vcc_lo, s16, v1
	v_add_co_ci_u32_e64 v3, null, s17, v3, vcc_lo
	s_cbranch_scc1 .LBB21_136
; %bb.127:
	s_and_b32 s6, 0xffff, s5
	s_cmp_gt_i32 s6, 25
	s_cbranch_scc0 .LBB21_139
; %bb.128:
	s_cmp_gt_i32 s6, 28
	s_cbranch_scc0 .LBB21_140
; %bb.129:
	;; [unrolled: 3-line block ×4, first 2 shown]
	s_mov_b32 s8, 0
	s_mov_b32 s4, -1
	s_cmp_eq_u32 s6, 46
	s_mov_b32 s7, 0
	s_cbranch_scc0 .LBB21_147
; %bb.132:
	v_bfe_u32 v1, v0, 16, 1
	v_cmp_o_f32_e32 vcc_lo, v0, v0
	v_mov_b32_e32 v4, 0x7fc0
	s_mov_b32 s7, -1
	s_mov_b32 s4, 0
	v_add3_u32 v1, v0, v1, 0x7fff
	v_cndmask_b32_sdwa v1, v4, v1, vcc_lo dst_sel:DWORD dst_unused:UNUSED_PAD src0_sel:DWORD src1_sel:WORD_1
	global_store_dword v[2:3], v1, off
	s_branch .LBB21_147
.LBB21_133:
	s_or_b32 exec_lo, exec_lo, s27
	s_mov_b32 s4, 0
	s_and_saveexec_b32 s7, s25
	s_cbranch_execnz .LBB21_472
.LBB21_134:
	s_or_b32 exec_lo, exec_lo, s7
	s_and_saveexec_b32 s7, s28
	s_xor_b32 s7, exec_lo, s7
	s_cbranch_execz .LBB21_473
.LBB21_135:
	v_cmp_neq_f32_e32 vcc_lo, 0, v0
	v_cndmask_b32_e64 v1, 0, 1, vcc_lo
	global_store_byte v[2:3], v1, off
	s_or_b32 exec_lo, exec_lo, s7
	s_and_saveexec_b32 s7, s6
	s_xor_b32 s6, exec_lo, s7
	s_cbranch_execz .LBB21_511
	s_branch .LBB21_474
.LBB21_136:
	s_mov_b32 s7, 0
	s_mov_b32 s4, s25
	s_cbranch_execnz .LBB21_216
.LBB21_137:
	s_andn2_b32 vcc_lo, exec_lo, s7
	s_cbranch_vccnz .LBB21_254
.LBB21_138:
	v_add_nc_u32_e32 v30, 0x80, v30
	s_mov_b32 s5, -1
	s_branch .LBB21_255
.LBB21_139:
	s_mov_b32 s8, -1
	s_mov_b32 s7, 0
	s_mov_b32 s4, s25
	s_branch .LBB21_174
.LBB21_140:
	s_mov_b32 s8, -1
	s_mov_b32 s7, 0
	s_mov_b32 s4, s25
	s_branch .LBB21_157
.LBB21_141:
	s_andn2_saveexec_b32 s9, s9
	s_cbranch_execz .LBB21_37
.LBB21_142:
	v_add_f32_e64 v1, 0x46000000, |v0|
	s_andn2_b32 s8, s8, exec_lo
	v_and_b32_e32 v1, 0xff, v1
	v_cmp_ne_u32_e32 vcc_lo, 0, v1
	s_and_b32 s10, vcc_lo, exec_lo
	s_or_b32 s8, s8, s10
	s_or_b32 exec_lo, exec_lo, s9
	v_mov_b32_e32 v4, 0
	s_and_saveexec_b32 s9, s8
	s_cbranch_execnz .LBB21_38
	s_branch .LBB21_39
.LBB21_143:
	s_mov_b32 s8, -1
	s_mov_b32 s7, 0
	s_mov_b32 s4, s25
	s_branch .LBB21_153
.LBB21_144:
	s_andn2_saveexec_b32 s9, s9
	s_cbranch_execz .LBB21_49
.LBB21_145:
	v_add_f32_e64 v1, 0x42800000, |v0|
	s_andn2_b32 s8, s8, exec_lo
	v_and_b32_e32 v1, 0xff, v1
	v_cmp_ne_u32_e32 vcc_lo, 0, v1
	s_and_b32 s10, vcc_lo, exec_lo
	s_or_b32 s8, s8, s10
	s_or_b32 exec_lo, exec_lo, s9
	v_mov_b32_e32 v4, 0
	s_and_saveexec_b32 s9, s8
	s_cbranch_execnz .LBB21_50
	s_branch .LBB21_51
.LBB21_146:
	s_mov_b32 s8, -1
	s_mov_b32 s7, 0
	s_mov_b32 s4, s25
.LBB21_147:
	s_and_b32 vcc_lo, exec_lo, s8
	s_cbranch_vccz .LBB21_152
; %bb.148:
	s_cmp_eq_u32 s6, 44
	s_mov_b32 s4, -1
	s_cbranch_scc0 .LBB21_152
; %bb.149:
	v_bfe_u32 v4, v0, 23, 8
	v_mov_b32_e32 v1, 0xff
	s_mov_b32 s7, exec_lo
	v_cmpx_ne_u32_e32 0xff, v4
	s_cbranch_execz .LBB21_151
; %bb.150:
	v_and_b32_e32 v1, 0x400000, v0
	v_and_or_b32 v4, 0x3fffff, v0, v4
	v_cmp_ne_u32_e32 vcc_lo, 0, v1
	v_cmp_ne_u32_e64 s4, 0, v4
	v_lshrrev_b32_e32 v1, 23, v0
	s_and_b32 s4, vcc_lo, s4
	v_cndmask_b32_e64 v4, 0, 1, s4
	v_add_nc_u32_e32 v1, v1, v4
.LBB21_151:
	s_or_b32 exec_lo, exec_lo, s7
	s_mov_b32 s7, -1
	s_mov_b32 s4, 0
	global_store_byte v[2:3], v1, off
.LBB21_152:
	s_mov_b32 s8, 0
.LBB21_153:
	s_and_b32 vcc_lo, exec_lo, s8
	s_cbranch_vccz .LBB21_156
; %bb.154:
	s_cmp_eq_u32 s6, 29
	s_mov_b32 s4, -1
	s_cbranch_scc0 .LBB21_156
; %bb.155:
	v_trunc_f32_e32 v1, v0
	s_mov_b32 s7, -1
	s_mov_b32 s4, 0
	s_mov_b32 s8, 0
	v_mul_f32_e32 v4, 0x2f800000, v1
	v_floor_f32_e32 v4, v4
	v_fmamk_f32 v1, v4, 0xcf800000, v1
	v_cvt_u32_f32_e32 v5, v4
	v_cvt_u32_f32_e32 v4, v1
	global_store_dwordx2 v[2:3], v[4:5], off
	s_branch .LBB21_157
.LBB21_156:
	s_mov_b32 s8, 0
.LBB21_157:
	s_and_b32 vcc_lo, exec_lo, s8
	s_cbranch_vccz .LBB21_173
; %bb.158:
	s_cmp_lt_i32 s6, 27
	s_mov_b32 s7, -1
	s_cbranch_scc1 .LBB21_164
; %bb.159:
	v_cvt_u32_f32_e32 v1, v0
	s_cmp_gt_i32 s6, 27
	s_cbranch_scc0 .LBB21_161
; %bb.160:
	s_mov_b32 s7, 0
	global_store_dword v[2:3], v1, off
.LBB21_161:
	s_andn2_b32 vcc_lo, exec_lo, s7
	s_cbranch_vccnz .LBB21_163
; %bb.162:
	global_store_short v[2:3], v1, off
.LBB21_163:
	s_mov_b32 s7, 0
.LBB21_164:
	s_andn2_b32 vcc_lo, exec_lo, s7
	s_cbranch_vccnz .LBB21_172
; %bb.165:
	v_and_b32_e32 v1, 0x7fffffff, v0
	v_mov_b32_e32 v4, 0x80
	s_mov_b32 s7, exec_lo
	v_cmpx_gt_u32_e32 0x43800000, v1
	s_cbranch_execz .LBB21_171
; %bb.166:
	v_cmp_lt_u32_e32 vcc_lo, 0x3bffffff, v1
	s_mov_b32 s8, 0
                                        ; implicit-def: $vgpr1
	s_and_saveexec_b32 s9, vcc_lo
	s_xor_b32 s9, exec_lo, s9
	s_cbranch_execz .LBB21_268
; %bb.167:
	v_bfe_u32 v1, v0, 20, 1
	s_mov_b32 s8, exec_lo
	v_add3_u32 v1, v0, v1, 0x487ffff
	v_lshrrev_b32_e32 v1, 20, v1
	s_andn2_saveexec_b32 s9, s9
	s_cbranch_execnz .LBB21_269
.LBB21_168:
	s_or_b32 exec_lo, exec_lo, s9
	v_mov_b32_e32 v4, 0
	s_and_saveexec_b32 s9, s8
.LBB21_169:
	v_lshrrev_b32_e32 v4, 24, v0
	v_and_or_b32 v4, 0x80, v4, v1
.LBB21_170:
	s_or_b32 exec_lo, exec_lo, s9
.LBB21_171:
	s_or_b32 exec_lo, exec_lo, s7
	global_store_byte v[2:3], v4, off
.LBB21_172:
	s_mov_b32 s7, -1
.LBB21_173:
	s_mov_b32 s8, 0
.LBB21_174:
	s_and_b32 vcc_lo, exec_lo, s8
	s_cbranch_vccz .LBB21_215
; %bb.175:
	s_cmp_gt_i32 s6, 22
	s_mov_b32 s8, -1
	s_cbranch_scc0 .LBB21_207
; %bb.176:
	s_cmp_lt_i32 s6, 24
	s_mov_b32 s7, -1
	s_cbranch_scc1 .LBB21_196
; %bb.177:
	s_cmp_gt_i32 s6, 24
	s_cbranch_scc0 .LBB21_185
; %bb.178:
	v_and_b32_e32 v1, 0x7fffffff, v0
	v_mov_b32_e32 v4, 0x80
	s_mov_b32 s7, exec_lo
	v_cmpx_gt_u32_e32 0x47800000, v1
	s_cbranch_execz .LBB21_184
; %bb.179:
	v_cmp_lt_u32_e32 vcc_lo, 0x37ffffff, v1
	s_mov_b32 s8, 0
                                        ; implicit-def: $vgpr1
	s_and_saveexec_b32 s9, vcc_lo
	s_xor_b32 s9, exec_lo, s9
	s_cbranch_execz .LBB21_271
; %bb.180:
	v_bfe_u32 v1, v0, 21, 1
	s_mov_b32 s8, exec_lo
	v_add3_u32 v1, v0, v1, 0x88fffff
	v_lshrrev_b32_e32 v1, 21, v1
	s_andn2_saveexec_b32 s9, s9
	s_cbranch_execnz .LBB21_272
.LBB21_181:
	s_or_b32 exec_lo, exec_lo, s9
	v_mov_b32_e32 v4, 0
	s_and_saveexec_b32 s9, s8
.LBB21_182:
	v_lshrrev_b32_e32 v4, 24, v0
	v_and_or_b32 v4, 0x80, v4, v1
.LBB21_183:
	s_or_b32 exec_lo, exec_lo, s9
.LBB21_184:
	s_or_b32 exec_lo, exec_lo, s7
	s_mov_b32 s7, 0
	global_store_byte v[2:3], v4, off
.LBB21_185:
	s_and_b32 vcc_lo, exec_lo, s7
	s_cbranch_vccz .LBB21_195
; %bb.186:
	v_and_b32_e32 v4, 0x7fffffff, v0
	s_mov_b32 s7, exec_lo
                                        ; implicit-def: $vgpr1
	v_cmpx_gt_u32_e32 0x43f00000, v4
	s_xor_b32 s7, exec_lo, s7
	s_cbranch_execz .LBB21_192
; %bb.187:
	s_mov_b32 s8, exec_lo
                                        ; implicit-def: $vgpr1
	v_cmpx_lt_u32_e32 0x3c7fffff, v4
	s_xor_b32 s8, exec_lo, s8
; %bb.188:
	v_bfe_u32 v1, v0, 20, 1
	v_add3_u32 v1, v0, v1, 0x407ffff
	v_and_b32_e32 v4, 0xff00000, v1
	v_lshrrev_b32_e32 v1, 20, v1
	v_cmp_ne_u32_e32 vcc_lo, 0x7f00000, v4
	v_cndmask_b32_e32 v1, 0x7e, v1, vcc_lo
; %bb.189:
	s_andn2_saveexec_b32 s8, s8
; %bb.190:
	v_add_f32_e64 v1, 0x46800000, |v0|
; %bb.191:
	s_or_b32 exec_lo, exec_lo, s8
                                        ; implicit-def: $vgpr4
.LBB21_192:
	s_andn2_saveexec_b32 s7, s7
; %bb.193:
	v_mov_b32_e32 v1, 0x7f
	v_cmp_lt_u32_e32 vcc_lo, 0x7f800000, v4
	v_cndmask_b32_e32 v1, 0x7e, v1, vcc_lo
; %bb.194:
	s_or_b32 exec_lo, exec_lo, s7
	v_lshrrev_b32_e32 v4, 24, v0
	v_and_or_b32 v1, 0x80, v4, v1
	global_store_byte v[2:3], v1, off
.LBB21_195:
	s_mov_b32 s7, 0
.LBB21_196:
	s_andn2_b32 vcc_lo, exec_lo, s7
	s_cbranch_vccnz .LBB21_206
; %bb.197:
	v_and_b32_e32 v4, 0x7fffffff, v0
	s_mov_b32 s7, exec_lo
                                        ; implicit-def: $vgpr1
	v_cmpx_gt_u32_e32 0x47800000, v4
	s_xor_b32 s7, exec_lo, s7
	s_cbranch_execz .LBB21_203
; %bb.198:
	s_mov_b32 s8, exec_lo
                                        ; implicit-def: $vgpr1
	v_cmpx_lt_u32_e32 0x387fffff, v4
	s_xor_b32 s8, exec_lo, s8
; %bb.199:
	v_bfe_u32 v1, v0, 21, 1
	v_add3_u32 v1, v0, v1, 0x80fffff
	v_lshrrev_b32_e32 v1, 21, v1
; %bb.200:
	s_andn2_saveexec_b32 s8, s8
; %bb.201:
	v_add_f32_e64 v1, 0x43000000, |v0|
; %bb.202:
	s_or_b32 exec_lo, exec_lo, s8
                                        ; implicit-def: $vgpr4
.LBB21_203:
	s_andn2_saveexec_b32 s7, s7
; %bb.204:
	v_mov_b32_e32 v1, 0x7f
	v_cmp_lt_u32_e32 vcc_lo, 0x7f800000, v4
	v_cndmask_b32_e32 v1, 0x7c, v1, vcc_lo
; %bb.205:
	s_or_b32 exec_lo, exec_lo, s7
	v_lshrrev_b32_e32 v4, 24, v0
	v_and_or_b32 v1, 0x80, v4, v1
	global_store_byte v[2:3], v1, off
.LBB21_206:
	s_mov_b32 s8, 0
	s_mov_b32 s7, -1
.LBB21_207:
	s_andn2_b32 vcc_lo, exec_lo, s8
	s_cbranch_vccnz .LBB21_215
; %bb.208:
	s_cmp_gt_i32 s6, 14
	s_mov_b32 s8, -1
	s_cbranch_scc0 .LBB21_212
; %bb.209:
	s_cmp_eq_u32 s6, 15
	s_mov_b32 s4, -1
	s_cbranch_scc0 .LBB21_211
; %bb.210:
	v_bfe_u32 v1, v0, 16, 1
	v_cmp_o_f32_e32 vcc_lo, v0, v0
	v_mov_b32_e32 v4, 0x7fc0
	s_mov_b32 s7, -1
	s_mov_b32 s4, 0
	v_add3_u32 v1, v0, v1, 0x7fff
	v_cndmask_b32_sdwa v1, v4, v1, vcc_lo dst_sel:DWORD dst_unused:UNUSED_PAD src0_sel:DWORD src1_sel:WORD_1
	global_store_short v[2:3], v1, off
.LBB21_211:
	s_mov_b32 s8, 0
.LBB21_212:
	s_and_b32 vcc_lo, exec_lo, s8
	s_cbranch_vccz .LBB21_215
; %bb.213:
	s_cmp_eq_u32 s6, 11
	s_mov_b32 s4, -1
	s_cbranch_scc0 .LBB21_215
; %bb.214:
	v_cmp_neq_f32_e32 vcc_lo, 0, v0
	s_mov_b32 s4, 0
	s_mov_b32 s7, -1
	v_cndmask_b32_e64 v1, 0, 1, vcc_lo
	global_store_byte v[2:3], v1, off
.LBB21_215:
	s_branch .LBB21_137
.LBB21_216:
	s_and_b32 s5, 0xffff, s5
	s_mov_b32 s6, -1
	s_cmp_lt_i32 s5, 5
	s_cbranch_scc1 .LBB21_237
; %bb.217:
	s_cmp_lt_i32 s5, 8
	s_cbranch_scc1 .LBB21_227
; %bb.218:
	;; [unrolled: 3-line block ×3, first 2 shown]
	s_cmp_gt_i32 s5, 9
	s_cbranch_scc0 .LBB21_221
; %bb.220:
	v_cvt_f64_f32_e32 v[4:5], v0
	v_mov_b32_e32 v6, 0
	s_mov_b32 s6, 0
	v_mov_b32_e32 v7, v6
	global_store_dwordx4 v[2:3], v[4:7], off
.LBB21_221:
	s_andn2_b32 vcc_lo, exec_lo, s6
	s_cbranch_vccnz .LBB21_223
; %bb.222:
	v_mov_b32_e32 v1, 0
	global_store_dwordx2 v[2:3], v[0:1], off
.LBB21_223:
	s_mov_b32 s6, 0
.LBB21_224:
	s_andn2_b32 vcc_lo, exec_lo, s6
	s_cbranch_vccnz .LBB21_226
; %bb.225:
	v_cvt_f16_f32_e32 v1, v0
	v_and_b32_e32 v1, 0xffff, v1
	global_store_dword v[2:3], v1, off
.LBB21_226:
	s_mov_b32 s6, 0
.LBB21_227:
	s_andn2_b32 vcc_lo, exec_lo, s6
	s_cbranch_vccnz .LBB21_236
; %bb.228:
	s_cmp_lt_i32 s5, 6
	s_mov_b32 s6, -1
	s_cbranch_scc1 .LBB21_234
; %bb.229:
	s_cmp_gt_i32 s5, 6
	s_cbranch_scc0 .LBB21_231
; %bb.230:
	v_cvt_f64_f32_e32 v[4:5], v0
	s_mov_b32 s6, 0
	global_store_dwordx2 v[2:3], v[4:5], off
.LBB21_231:
	s_andn2_b32 vcc_lo, exec_lo, s6
	s_cbranch_vccnz .LBB21_233
; %bb.232:
	global_store_dword v[2:3], v0, off
.LBB21_233:
	s_mov_b32 s6, 0
.LBB21_234:
	s_andn2_b32 vcc_lo, exec_lo, s6
	s_cbranch_vccnz .LBB21_236
; %bb.235:
	v_cvt_f16_f32_e32 v1, v0
	global_store_short v[2:3], v1, off
.LBB21_236:
	s_mov_b32 s6, 0
.LBB21_237:
	s_andn2_b32 vcc_lo, exec_lo, s6
	s_cbranch_vccnz .LBB21_253
; %bb.238:
	s_cmp_lt_i32 s5, 2
	s_mov_b32 s6, -1
	s_cbranch_scc1 .LBB21_248
; %bb.239:
	s_cmp_lt_i32 s5, 3
	s_cbranch_scc1 .LBB21_245
; %bb.240:
	s_cmp_gt_i32 s5, 3
	s_cbranch_scc0 .LBB21_242
; %bb.241:
	v_trunc_f32_e32 v1, v0
	s_mov_b32 s6, 0
	v_mul_f32_e64 v4, 0x2f800000, |v1|
	v_floor_f32_e32 v4, v4
	v_fma_f32 v5, 0xcf800000, v4, |v1|
	v_ashrrev_i32_e32 v1, 31, v1
	v_cvt_u32_f32_e32 v4, v4
	v_cvt_u32_f32_e32 v5, v5
	v_xor_b32_e32 v6, v4, v1
	v_xor_b32_e32 v5, v5, v1
	v_sub_co_u32 v4, vcc_lo, v5, v1
	v_sub_co_ci_u32_e64 v5, null, v6, v1, vcc_lo
	global_store_dwordx2 v[2:3], v[4:5], off
.LBB21_242:
	s_andn2_b32 vcc_lo, exec_lo, s6
	s_cbranch_vccnz .LBB21_244
; %bb.243:
	v_cvt_i32_f32_e32 v1, v0
	global_store_dword v[2:3], v1, off
.LBB21_244:
	s_mov_b32 s6, 0
.LBB21_245:
	s_andn2_b32 vcc_lo, exec_lo, s6
	s_cbranch_vccnz .LBB21_247
; %bb.246:
	v_cvt_i32_f32_e32 v1, v0
	global_store_short v[2:3], v1, off
.LBB21_247:
	s_mov_b32 s6, 0
.LBB21_248:
	s_andn2_b32 vcc_lo, exec_lo, s6
	s_cbranch_vccnz .LBB21_253
; %bb.249:
	s_cmp_gt_i32 s5, 0
	s_mov_b32 s5, -1
	s_cbranch_scc0 .LBB21_251
; %bb.250:
	v_cvt_i32_f32_e32 v1, v0
	s_mov_b32 s5, 0
	global_store_byte v[2:3], v1, off
.LBB21_251:
	s_andn2_b32 vcc_lo, exec_lo, s5
	s_cbranch_vccnz .LBB21_253
; %bb.252:
	v_trunc_f32_e32 v0, v0
	v_mul_f32_e64 v1, 0x2f800000, |v0|
	v_floor_f32_e32 v1, v1
	v_fma_f32 v1, 0xcf800000, v1, |v0|
	v_ashrrev_i32_e32 v0, 31, v0
	v_cvt_u32_f32_e32 v1, v1
	v_xor_b32_e32 v1, v1, v0
	v_sub_nc_u32_e32 v0, v1, v0
	global_store_byte v[2:3], v0, off
.LBB21_253:
	s_branch .LBB21_138
.LBB21_254:
	s_mov_b32 s5, 0
                                        ; implicit-def: $vgpr30
.LBB21_255:
	s_andn2_b32 s6, s25, exec_lo
	s_and_b32 s4, s4, exec_lo
	s_orn2_b32 s7, s5, exec_lo
	s_or_b32 s28, s6, s4
.LBB21_256:
	s_or_b32 exec_lo, exec_lo, s29
	s_mov_b32 s4, 0
	s_mov_b32 s6, 0
                                        ; implicit-def: $sgpr5
                                        ; implicit-def: $vgpr2_vgpr3
                                        ; implicit-def: $vgpr0
	s_and_saveexec_b32 s29, s7
	s_cbranch_execz .LBB21_471
; %bb.257:
	s_mov_b32 s7, -1
	s_mov_b32 s34, s28
	s_mov_b32 s33, exec_lo
	v_cmpx_gt_i32_e64 s26, v30
	s_cbranch_execz .LBB21_386
; %bb.258:
	v_mov_b32_e32 v0, s18
	v_mov_b32_e32 v1, s19
	;; [unrolled: 1-line block ×5, first 2 shown]
	s_getpc_b64 s[4:5]
	s_add_u32 s4, s4, _ZN2at6native6invokeIZZZNS0_12_GLOBAL__N_119airy_ai_kernel_cudaERNS_18TensorIteratorBaseEENKUlvE_clEvENKUlvE0_clEvEUlfE_i15function_traitsIS7_EEENT1_11result_typeERKT_PrKPcPKT0_PKN3c1010ScalarTypeEi@rel32@lo+4
	s_addc_u32 s5, s5, _ZN2at6native6invokeIZZZNS0_12_GLOBAL__N_119airy_ai_kernel_cudaERNS_18TensorIteratorBaseEENKUlvE_clEvENKUlvE0_clEvEUlfE_i15function_traitsIS7_EEENT1_11result_typeERKT_PrKPcPKT0_PKN3c1010ScalarTypeEi@rel32@hi+12
	s_swappc_b64 s[30:31], s[4:5]
	v_mul_lo_u32 v1, v30, s20
	s_and_b32 s5, s22, 0xff
	s_cmp_lt_i32 s5, 11
	v_ashrrev_i32_e32 v3, 31, v1
	v_add_co_u32 v2, vcc_lo, s16, v1
	v_add_co_ci_u32_e64 v3, null, s17, v3, vcc_lo
	s_cbranch_scc1 .LBB21_265
; %bb.259:
	s_and_b32 s6, 0xffff, s5
	s_cmp_gt_i32 s6, 25
	s_cbranch_scc0 .LBB21_266
; %bb.260:
	s_cmp_gt_i32 s6, 28
	s_cbranch_scc0 .LBB21_267
; %bb.261:
	;; [unrolled: 3-line block ×4, first 2 shown]
	s_mov_b32 s8, 0
	s_mov_b32 s4, -1
	s_cmp_eq_u32 s6, 46
	s_mov_b32 s7, 0
	s_cbranch_scc0 .LBB21_274
; %bb.264:
	v_bfe_u32 v1, v0, 16, 1
	v_cmp_o_f32_e32 vcc_lo, v0, v0
	v_mov_b32_e32 v4, 0x7fc0
	s_mov_b32 s7, -1
	s_mov_b32 s4, 0
	v_add3_u32 v1, v0, v1, 0x7fff
	v_cndmask_b32_sdwa v1, v4, v1, vcc_lo dst_sel:DWORD dst_unused:UNUSED_PAD src0_sel:DWORD src1_sel:WORD_1
	global_store_dword v[2:3], v1, off
	s_branch .LBB21_274
.LBB21_265:
	s_mov_b32 s6, -1
	s_mov_b32 s7, 0
	s_mov_b32 s4, s28
	s_branch .LBB21_343
.LBB21_266:
	s_mov_b32 s8, -1
	s_mov_b32 s7, 0
	s_mov_b32 s4, s28
	s_branch .LBB21_301
.LBB21_267:
	s_mov_b32 s8, -1
	s_mov_b32 s7, 0
	s_mov_b32 s4, s28
	s_branch .LBB21_284
.LBB21_268:
	s_andn2_saveexec_b32 s9, s9
	s_cbranch_execz .LBB21_168
.LBB21_269:
	v_add_f32_e64 v1, 0x46000000, |v0|
	s_andn2_b32 s8, s8, exec_lo
	v_and_b32_e32 v1, 0xff, v1
	v_cmp_ne_u32_e32 vcc_lo, 0, v1
	s_and_b32 s10, vcc_lo, exec_lo
	s_or_b32 s8, s8, s10
	s_or_b32 exec_lo, exec_lo, s9
	v_mov_b32_e32 v4, 0
	s_and_saveexec_b32 s9, s8
	s_cbranch_execnz .LBB21_169
	s_branch .LBB21_170
.LBB21_270:
	s_mov_b32 s8, -1
	s_mov_b32 s7, 0
	s_mov_b32 s4, s28
	s_branch .LBB21_280
.LBB21_271:
	s_andn2_saveexec_b32 s9, s9
	s_cbranch_execz .LBB21_181
.LBB21_272:
	v_add_f32_e64 v1, 0x42800000, |v0|
	s_andn2_b32 s8, s8, exec_lo
	v_and_b32_e32 v1, 0xff, v1
	v_cmp_ne_u32_e32 vcc_lo, 0, v1
	s_and_b32 s10, vcc_lo, exec_lo
	s_or_b32 s8, s8, s10
	s_or_b32 exec_lo, exec_lo, s9
	v_mov_b32_e32 v4, 0
	s_and_saveexec_b32 s9, s8
	s_cbranch_execnz .LBB21_182
	s_branch .LBB21_183
.LBB21_273:
	s_mov_b32 s8, -1
	s_mov_b32 s7, 0
	s_mov_b32 s4, s28
.LBB21_274:
	s_and_b32 vcc_lo, exec_lo, s8
	s_cbranch_vccz .LBB21_279
; %bb.275:
	s_cmp_eq_u32 s6, 44
	s_mov_b32 s4, -1
	s_cbranch_scc0 .LBB21_279
; %bb.276:
	v_bfe_u32 v4, v0, 23, 8
	v_mov_b32_e32 v1, 0xff
	s_mov_b32 s7, exec_lo
	v_cmpx_ne_u32_e32 0xff, v4
	s_cbranch_execz .LBB21_278
; %bb.277:
	v_and_b32_e32 v1, 0x400000, v0
	v_and_or_b32 v4, 0x3fffff, v0, v4
	v_cmp_ne_u32_e32 vcc_lo, 0, v1
	v_cmp_ne_u32_e64 s4, 0, v4
	v_lshrrev_b32_e32 v1, 23, v0
	s_and_b32 s4, vcc_lo, s4
	v_cndmask_b32_e64 v4, 0, 1, s4
	v_add_nc_u32_e32 v1, v1, v4
.LBB21_278:
	s_or_b32 exec_lo, exec_lo, s7
	s_mov_b32 s7, -1
	s_mov_b32 s4, 0
	global_store_byte v[2:3], v1, off
.LBB21_279:
	s_mov_b32 s8, 0
.LBB21_280:
	s_and_b32 vcc_lo, exec_lo, s8
	s_cbranch_vccz .LBB21_283
; %bb.281:
	s_cmp_eq_u32 s6, 29
	s_mov_b32 s4, -1
	s_cbranch_scc0 .LBB21_283
; %bb.282:
	v_trunc_f32_e32 v1, v0
	s_mov_b32 s7, -1
	s_mov_b32 s4, 0
	s_mov_b32 s8, 0
	v_mul_f32_e32 v4, 0x2f800000, v1
	v_floor_f32_e32 v4, v4
	v_fmamk_f32 v1, v4, 0xcf800000, v1
	v_cvt_u32_f32_e32 v5, v4
	v_cvt_u32_f32_e32 v4, v1
	global_store_dwordx2 v[2:3], v[4:5], off
	s_branch .LBB21_284
.LBB21_283:
	s_mov_b32 s8, 0
.LBB21_284:
	s_and_b32 vcc_lo, exec_lo, s8
	s_cbranch_vccz .LBB21_300
; %bb.285:
	s_cmp_lt_i32 s6, 27
	s_mov_b32 s7, -1
	s_cbranch_scc1 .LBB21_291
; %bb.286:
	v_cvt_u32_f32_e32 v1, v0
	s_cmp_gt_i32 s6, 27
	s_cbranch_scc0 .LBB21_288
; %bb.287:
	s_mov_b32 s7, 0
	global_store_dword v[2:3], v1, off
.LBB21_288:
	s_andn2_b32 vcc_lo, exec_lo, s7
	s_cbranch_vccnz .LBB21_290
; %bb.289:
	global_store_short v[2:3], v1, off
.LBB21_290:
	s_mov_b32 s7, 0
.LBB21_291:
	s_andn2_b32 vcc_lo, exec_lo, s7
	s_cbranch_vccnz .LBB21_299
; %bb.292:
	v_and_b32_e32 v1, 0x7fffffff, v0
	v_mov_b32_e32 v4, 0x80
	s_mov_b32 s7, exec_lo
	v_cmpx_gt_u32_e32 0x43800000, v1
	s_cbranch_execz .LBB21_298
; %bb.293:
	v_cmp_lt_u32_e32 vcc_lo, 0x3bffffff, v1
	s_mov_b32 s8, 0
                                        ; implicit-def: $vgpr1
	s_and_saveexec_b32 s9, vcc_lo
	s_xor_b32 s9, exec_lo, s9
	s_cbranch_execz .LBB21_396
; %bb.294:
	v_bfe_u32 v1, v0, 20, 1
	s_mov_b32 s8, exec_lo
	v_add3_u32 v1, v0, v1, 0x487ffff
	v_lshrrev_b32_e32 v1, 20, v1
	s_andn2_saveexec_b32 s9, s9
	s_cbranch_execnz .LBB21_397
.LBB21_295:
	s_or_b32 exec_lo, exec_lo, s9
	v_mov_b32_e32 v4, 0
	s_and_saveexec_b32 s9, s8
.LBB21_296:
	v_lshrrev_b32_e32 v4, 24, v0
	v_and_or_b32 v4, 0x80, v4, v1
.LBB21_297:
	s_or_b32 exec_lo, exec_lo, s9
.LBB21_298:
	s_or_b32 exec_lo, exec_lo, s7
	global_store_byte v[2:3], v4, off
.LBB21_299:
	s_mov_b32 s7, -1
.LBB21_300:
	s_mov_b32 s8, 0
.LBB21_301:
	s_and_b32 vcc_lo, exec_lo, s8
	s_cbranch_vccz .LBB21_342
; %bb.302:
	s_cmp_gt_i32 s6, 22
	s_mov_b32 s8, -1
	s_cbranch_scc0 .LBB21_334
; %bb.303:
	s_cmp_lt_i32 s6, 24
	s_mov_b32 s7, -1
	s_cbranch_scc1 .LBB21_323
; %bb.304:
	s_cmp_gt_i32 s6, 24
	s_cbranch_scc0 .LBB21_312
; %bb.305:
	v_and_b32_e32 v1, 0x7fffffff, v0
	v_mov_b32_e32 v4, 0x80
	s_mov_b32 s7, exec_lo
	v_cmpx_gt_u32_e32 0x47800000, v1
	s_cbranch_execz .LBB21_311
; %bb.306:
	v_cmp_lt_u32_e32 vcc_lo, 0x37ffffff, v1
	s_mov_b32 s8, 0
                                        ; implicit-def: $vgpr1
	s_and_saveexec_b32 s9, vcc_lo
	s_xor_b32 s9, exec_lo, s9
	s_cbranch_execz .LBB21_398
; %bb.307:
	v_bfe_u32 v1, v0, 21, 1
	s_mov_b32 s8, exec_lo
	v_add3_u32 v1, v0, v1, 0x88fffff
	v_lshrrev_b32_e32 v1, 21, v1
	s_andn2_saveexec_b32 s9, s9
	s_cbranch_execnz .LBB21_399
.LBB21_308:
	s_or_b32 exec_lo, exec_lo, s9
	v_mov_b32_e32 v4, 0
	s_and_saveexec_b32 s9, s8
.LBB21_309:
	v_lshrrev_b32_e32 v4, 24, v0
	v_and_or_b32 v4, 0x80, v4, v1
.LBB21_310:
	s_or_b32 exec_lo, exec_lo, s9
.LBB21_311:
	s_or_b32 exec_lo, exec_lo, s7
	s_mov_b32 s7, 0
	global_store_byte v[2:3], v4, off
.LBB21_312:
	s_and_b32 vcc_lo, exec_lo, s7
	s_cbranch_vccz .LBB21_322
; %bb.313:
	v_and_b32_e32 v4, 0x7fffffff, v0
	s_mov_b32 s7, exec_lo
                                        ; implicit-def: $vgpr1
	v_cmpx_gt_u32_e32 0x43f00000, v4
	s_xor_b32 s7, exec_lo, s7
	s_cbranch_execz .LBB21_319
; %bb.314:
	s_mov_b32 s8, exec_lo
                                        ; implicit-def: $vgpr1
	v_cmpx_lt_u32_e32 0x3c7fffff, v4
	s_xor_b32 s8, exec_lo, s8
; %bb.315:
	v_bfe_u32 v1, v0, 20, 1
	v_add3_u32 v1, v0, v1, 0x407ffff
	v_and_b32_e32 v4, 0xff00000, v1
	v_lshrrev_b32_e32 v1, 20, v1
	v_cmp_ne_u32_e32 vcc_lo, 0x7f00000, v4
	v_cndmask_b32_e32 v1, 0x7e, v1, vcc_lo
; %bb.316:
	s_andn2_saveexec_b32 s8, s8
; %bb.317:
	v_add_f32_e64 v1, 0x46800000, |v0|
; %bb.318:
	s_or_b32 exec_lo, exec_lo, s8
                                        ; implicit-def: $vgpr4
.LBB21_319:
	s_andn2_saveexec_b32 s7, s7
; %bb.320:
	v_mov_b32_e32 v1, 0x7f
	v_cmp_lt_u32_e32 vcc_lo, 0x7f800000, v4
	v_cndmask_b32_e32 v1, 0x7e, v1, vcc_lo
; %bb.321:
	s_or_b32 exec_lo, exec_lo, s7
	v_lshrrev_b32_e32 v4, 24, v0
	v_and_or_b32 v1, 0x80, v4, v1
	global_store_byte v[2:3], v1, off
.LBB21_322:
	s_mov_b32 s7, 0
.LBB21_323:
	s_andn2_b32 vcc_lo, exec_lo, s7
	s_cbranch_vccnz .LBB21_333
; %bb.324:
	v_and_b32_e32 v4, 0x7fffffff, v0
	s_mov_b32 s7, exec_lo
                                        ; implicit-def: $vgpr1
	v_cmpx_gt_u32_e32 0x47800000, v4
	s_xor_b32 s7, exec_lo, s7
	s_cbranch_execz .LBB21_330
; %bb.325:
	s_mov_b32 s8, exec_lo
                                        ; implicit-def: $vgpr1
	v_cmpx_lt_u32_e32 0x387fffff, v4
	s_xor_b32 s8, exec_lo, s8
; %bb.326:
	v_bfe_u32 v1, v0, 21, 1
	v_add3_u32 v1, v0, v1, 0x80fffff
	v_lshrrev_b32_e32 v1, 21, v1
; %bb.327:
	s_andn2_saveexec_b32 s8, s8
; %bb.328:
	v_add_f32_e64 v1, 0x43000000, |v0|
; %bb.329:
	s_or_b32 exec_lo, exec_lo, s8
                                        ; implicit-def: $vgpr4
.LBB21_330:
	s_andn2_saveexec_b32 s7, s7
; %bb.331:
	v_mov_b32_e32 v1, 0x7f
	v_cmp_lt_u32_e32 vcc_lo, 0x7f800000, v4
	v_cndmask_b32_e32 v1, 0x7c, v1, vcc_lo
; %bb.332:
	s_or_b32 exec_lo, exec_lo, s7
	v_lshrrev_b32_e32 v4, 24, v0
	v_and_or_b32 v1, 0x80, v4, v1
	global_store_byte v[2:3], v1, off
.LBB21_333:
	s_mov_b32 s8, 0
	s_mov_b32 s7, -1
.LBB21_334:
	s_andn2_b32 vcc_lo, exec_lo, s8
	s_cbranch_vccnz .LBB21_342
; %bb.335:
	s_cmp_gt_i32 s6, 14
	s_mov_b32 s8, -1
	s_cbranch_scc0 .LBB21_339
; %bb.336:
	s_cmp_eq_u32 s6, 15
	s_mov_b32 s4, -1
	s_cbranch_scc0 .LBB21_338
; %bb.337:
	v_bfe_u32 v1, v0, 16, 1
	v_cmp_o_f32_e32 vcc_lo, v0, v0
	v_mov_b32_e32 v4, 0x7fc0
	s_mov_b32 s7, -1
	s_mov_b32 s4, 0
	v_add3_u32 v1, v0, v1, 0x7fff
	v_cndmask_b32_sdwa v1, v4, v1, vcc_lo dst_sel:DWORD dst_unused:UNUSED_PAD src0_sel:DWORD src1_sel:WORD_1
	global_store_short v[2:3], v1, off
.LBB21_338:
	s_mov_b32 s8, 0
.LBB21_339:
	s_and_b32 vcc_lo, exec_lo, s8
	s_cbranch_vccz .LBB21_342
; %bb.340:
	s_cmp_eq_u32 s6, 11
	s_mov_b32 s4, -1
	s_cbranch_scc0 .LBB21_342
; %bb.341:
	v_cmp_neq_f32_e32 vcc_lo, 0, v0
	s_mov_b32 s4, 0
	s_mov_b32 s7, -1
	v_cndmask_b32_e64 v1, 0, 1, vcc_lo
	global_store_byte v[2:3], v1, off
.LBB21_342:
	s_mov_b32 s6, 0
.LBB21_343:
	s_and_b32 vcc_lo, exec_lo, s6
	s_cbranch_vccz .LBB21_382
; %bb.344:
	s_and_b32 s5, 0xffff, s5
	s_mov_b32 s6, -1
	s_cmp_lt_i32 s5, 5
	s_cbranch_scc1 .LBB21_365
; %bb.345:
	s_cmp_lt_i32 s5, 8
	s_cbranch_scc1 .LBB21_355
; %bb.346:
	;; [unrolled: 3-line block ×3, first 2 shown]
	s_cmp_gt_i32 s5, 9
	s_cbranch_scc0 .LBB21_349
; %bb.348:
	v_cvt_f64_f32_e32 v[4:5], v0
	v_mov_b32_e32 v6, 0
	s_mov_b32 s6, 0
	v_mov_b32_e32 v7, v6
	global_store_dwordx4 v[2:3], v[4:7], off
.LBB21_349:
	s_andn2_b32 vcc_lo, exec_lo, s6
	s_cbranch_vccnz .LBB21_351
; %bb.350:
	v_mov_b32_e32 v1, 0
	global_store_dwordx2 v[2:3], v[0:1], off
.LBB21_351:
	s_mov_b32 s6, 0
.LBB21_352:
	s_andn2_b32 vcc_lo, exec_lo, s6
	s_cbranch_vccnz .LBB21_354
; %bb.353:
	v_cvt_f16_f32_e32 v1, v0
	v_and_b32_e32 v1, 0xffff, v1
	global_store_dword v[2:3], v1, off
.LBB21_354:
	s_mov_b32 s6, 0
.LBB21_355:
	s_andn2_b32 vcc_lo, exec_lo, s6
	s_cbranch_vccnz .LBB21_364
; %bb.356:
	s_cmp_lt_i32 s5, 6
	s_mov_b32 s6, -1
	s_cbranch_scc1 .LBB21_362
; %bb.357:
	s_cmp_gt_i32 s5, 6
	s_cbranch_scc0 .LBB21_359
; %bb.358:
	v_cvt_f64_f32_e32 v[4:5], v0
	s_mov_b32 s6, 0
	global_store_dwordx2 v[2:3], v[4:5], off
.LBB21_359:
	s_andn2_b32 vcc_lo, exec_lo, s6
	s_cbranch_vccnz .LBB21_361
; %bb.360:
	global_store_dword v[2:3], v0, off
.LBB21_361:
	s_mov_b32 s6, 0
.LBB21_362:
	s_andn2_b32 vcc_lo, exec_lo, s6
	s_cbranch_vccnz .LBB21_364
; %bb.363:
	v_cvt_f16_f32_e32 v1, v0
	global_store_short v[2:3], v1, off
.LBB21_364:
	s_mov_b32 s6, 0
.LBB21_365:
	s_andn2_b32 vcc_lo, exec_lo, s6
	s_cbranch_vccnz .LBB21_381
; %bb.366:
	s_cmp_lt_i32 s5, 2
	s_mov_b32 s6, -1
	s_cbranch_scc1 .LBB21_376
; %bb.367:
	s_cmp_lt_i32 s5, 3
	s_cbranch_scc1 .LBB21_373
; %bb.368:
	s_cmp_gt_i32 s5, 3
	s_cbranch_scc0 .LBB21_370
; %bb.369:
	v_trunc_f32_e32 v1, v0
	s_mov_b32 s6, 0
	v_mul_f32_e64 v4, 0x2f800000, |v1|
	v_floor_f32_e32 v4, v4
	v_fma_f32 v5, 0xcf800000, v4, |v1|
	v_ashrrev_i32_e32 v1, 31, v1
	v_cvt_u32_f32_e32 v4, v4
	v_cvt_u32_f32_e32 v5, v5
	v_xor_b32_e32 v6, v4, v1
	v_xor_b32_e32 v5, v5, v1
	v_sub_co_u32 v4, vcc_lo, v5, v1
	v_sub_co_ci_u32_e64 v5, null, v6, v1, vcc_lo
	global_store_dwordx2 v[2:3], v[4:5], off
.LBB21_370:
	s_andn2_b32 vcc_lo, exec_lo, s6
	s_cbranch_vccnz .LBB21_372
; %bb.371:
	v_cvt_i32_f32_e32 v1, v0
	global_store_dword v[2:3], v1, off
.LBB21_372:
	s_mov_b32 s6, 0
.LBB21_373:
	s_andn2_b32 vcc_lo, exec_lo, s6
	s_cbranch_vccnz .LBB21_375
; %bb.374:
	v_cvt_i32_f32_e32 v1, v0
	global_store_short v[2:3], v1, off
.LBB21_375:
	s_mov_b32 s6, 0
.LBB21_376:
	s_andn2_b32 vcc_lo, exec_lo, s6
	s_cbranch_vccnz .LBB21_381
; %bb.377:
	s_cmp_gt_i32 s5, 0
	s_mov_b32 s5, -1
	s_cbranch_scc0 .LBB21_379
; %bb.378:
	v_cvt_i32_f32_e32 v1, v0
	s_mov_b32 s5, 0
	global_store_byte v[2:3], v1, off
.LBB21_379:
	s_andn2_b32 vcc_lo, exec_lo, s5
	s_cbranch_vccnz .LBB21_381
; %bb.380:
	v_trunc_f32_e32 v0, v0
	v_mul_f32_e64 v1, 0x2f800000, |v0|
	v_floor_f32_e32 v1, v1
	v_fma_f32 v1, 0xcf800000, v1, |v0|
	v_ashrrev_i32_e32 v0, 31, v0
	v_cvt_u32_f32_e32 v1, v1
	v_xor_b32_e32 v1, v1, v0
	v_sub_nc_u32_e32 v0, v1, v0
	global_store_byte v[2:3], v0, off
.LBB21_381:
	s_mov_b32 s7, -1
.LBB21_382:
	s_andn2_b32 vcc_lo, exec_lo, s7
	s_cbranch_vccnz .LBB21_384
; %bb.383:
	v_add_nc_u32_e32 v30, 0x80, v30
	s_mov_b32 s5, -1
	s_branch .LBB21_385
.LBB21_384:
	s_mov_b32 s5, 0
                                        ; implicit-def: $vgpr30
.LBB21_385:
	s_andn2_b32 s6, s28, exec_lo
	s_and_b32 s4, s4, exec_lo
	s_orn2_b32 s7, s5, exec_lo
	s_or_b32 s34, s6, s4
.LBB21_386:
	s_or_b32 exec_lo, exec_lo, s33
	s_mov_b32 s4, 0
	s_mov_b32 s6, 0
                                        ; implicit-def: $sgpr5
                                        ; implicit-def: $vgpr2_vgpr3
                                        ; implicit-def: $vgpr0
	s_and_saveexec_b32 s33, s7
	s_cbranch_execz .LBB21_470
; %bb.387:
	v_cmp_gt_i32_e32 vcc_lo, s26, v30
	s_mov_b32 s7, s34
                                        ; implicit-def: $sgpr5
                                        ; implicit-def: $vgpr2_vgpr3
                                        ; implicit-def: $vgpr0
	s_and_saveexec_b32 s26, vcc_lo
	s_cbranch_execz .LBB21_469
; %bb.388:
	v_mov_b32_e32 v0, s18
	v_mov_b32_e32 v1, s19
	;; [unrolled: 1-line block ×5, first 2 shown]
	s_getpc_b64 s[4:5]
	s_add_u32 s4, s4, _ZN2at6native6invokeIZZZNS0_12_GLOBAL__N_119airy_ai_kernel_cudaERNS_18TensorIteratorBaseEENKUlvE_clEvENKUlvE0_clEvEUlfE_i15function_traitsIS7_EEENT1_11result_typeERKT_PrKPcPKT0_PKN3c1010ScalarTypeEi@rel32@lo+4
	s_addc_u32 s5, s5, _ZN2at6native6invokeIZZZNS0_12_GLOBAL__N_119airy_ai_kernel_cudaERNS_18TensorIteratorBaseEENKUlvE_clEvENKUlvE0_clEvEUlfE_i15function_traitsIS7_EEENT1_11result_typeERKT_PrKPcPKT0_PKN3c1010ScalarTypeEi@rel32@hi+12
	s_swappc_b64 s[30:31], s[4:5]
	v_mul_lo_u32 v1, v30, s20
	s_and_b32 s5, s22, 0xff
	s_cmp_lt_i32 s5, 11
	v_ashrrev_i32_e32 v3, 31, v1
	v_add_co_u32 v2, vcc_lo, s16, v1
	v_add_co_ci_u32_e64 v3, null, s17, v3, vcc_lo
	s_cbranch_scc1 .LBB21_395
; %bb.389:
	s_and_b32 s6, 0xffff, s5
	s_mov_b32 s7, -1
	s_cmp_gt_i32 s6, 25
	s_mov_b32 s4, s34
	s_cbranch_scc0 .LBB21_427
; %bb.390:
	s_cmp_gt_i32 s6, 28
	s_mov_b32 s4, s34
	s_cbranch_scc0 .LBB21_411
; %bb.391:
	;; [unrolled: 4-line block ×4, first 2 shown]
	s_cmp_eq_u32 s6, 46
	s_mov_b32 s4, -1
	s_cbranch_scc0 .LBB21_400
; %bb.394:
	v_bfe_u32 v1, v0, 16, 1
	v_cmp_o_f32_e32 vcc_lo, v0, v0
	v_mov_b32_e32 v4, 0x7fc0
	s_mov_b32 s4, 0
	s_mov_b32 s7, 0
	v_add3_u32 v1, v0, v1, 0x7fff
	v_cndmask_b32_sdwa v1, v4, v1, vcc_lo dst_sel:DWORD dst_unused:UNUSED_PAD src0_sel:DWORD src1_sel:WORD_1
	global_store_dword v[2:3], v1, off
	s_branch .LBB21_401
.LBB21_395:
	s_mov_b32 s8, 0
	s_mov_b32 s7, -1
	s_mov_b32 s4, s34
	s_branch .LBB21_468
.LBB21_396:
	s_andn2_saveexec_b32 s9, s9
	s_cbranch_execz .LBB21_295
.LBB21_397:
	v_add_f32_e64 v1, 0x46000000, |v0|
	s_andn2_b32 s8, s8, exec_lo
	v_and_b32_e32 v1, 0xff, v1
	v_cmp_ne_u32_e32 vcc_lo, 0, v1
	s_and_b32 s10, vcc_lo, exec_lo
	s_or_b32 s8, s8, s10
	s_or_b32 exec_lo, exec_lo, s9
	v_mov_b32_e32 v4, 0
	s_and_saveexec_b32 s9, s8
	s_cbranch_execnz .LBB21_296
	s_branch .LBB21_297
.LBB21_398:
	s_andn2_saveexec_b32 s9, s9
	s_cbranch_execz .LBB21_308
.LBB21_399:
	v_add_f32_e64 v1, 0x42800000, |v0|
	s_andn2_b32 s8, s8, exec_lo
	v_and_b32_e32 v1, 0xff, v1
	v_cmp_ne_u32_e32 vcc_lo, 0, v1
	s_and_b32 s10, vcc_lo, exec_lo
	s_or_b32 s8, s8, s10
	s_or_b32 exec_lo, exec_lo, s9
	v_mov_b32_e32 v4, 0
	s_and_saveexec_b32 s9, s8
	s_cbranch_execnz .LBB21_309
	s_branch .LBB21_310
.LBB21_400:
	s_mov_b32 s7, 0
.LBB21_401:
	s_and_b32 vcc_lo, exec_lo, s7
	s_cbranch_vccz .LBB21_406
; %bb.402:
	s_cmp_eq_u32 s6, 44
	s_mov_b32 s4, -1
	s_cbranch_scc0 .LBB21_406
; %bb.403:
	v_bfe_u32 v4, v0, 23, 8
	v_mov_b32_e32 v1, 0xff
	s_mov_b32 s7, exec_lo
	v_cmpx_ne_u32_e32 0xff, v4
	s_cbranch_execz .LBB21_405
; %bb.404:
	v_and_b32_e32 v1, 0x400000, v0
	v_and_or_b32 v4, 0x3fffff, v0, v4
	v_cmp_ne_u32_e32 vcc_lo, 0, v1
	v_cmp_ne_u32_e64 s4, 0, v4
	v_lshrrev_b32_e32 v1, 23, v0
	s_and_b32 s4, vcc_lo, s4
	v_cndmask_b32_e64 v4, 0, 1, s4
	v_add_nc_u32_e32 v1, v1, v4
.LBB21_405:
	s_or_b32 exec_lo, exec_lo, s7
	s_mov_b32 s4, 0
	global_store_byte v[2:3], v1, off
.LBB21_406:
	s_mov_b32 s7, 0
.LBB21_407:
	s_and_b32 vcc_lo, exec_lo, s7
	s_cbranch_vccz .LBB21_410
; %bb.408:
	s_cmp_eq_u32 s6, 29
	s_mov_b32 s4, -1
	s_cbranch_scc0 .LBB21_410
; %bb.409:
	v_trunc_f32_e32 v1, v0
	s_mov_b32 s4, 0
	s_mov_b32 s7, 0
	v_mul_f32_e32 v4, 0x2f800000, v1
	v_floor_f32_e32 v4, v4
	v_fmamk_f32 v1, v4, 0xcf800000, v1
	v_cvt_u32_f32_e32 v5, v4
	v_cvt_u32_f32_e32 v4, v1
	global_store_dwordx2 v[2:3], v[4:5], off
	s_branch .LBB21_411
.LBB21_410:
	s_mov_b32 s7, 0
.LBB21_411:
	s_and_b32 vcc_lo, exec_lo, s7
	s_cbranch_vccz .LBB21_426
; %bb.412:
	s_cmp_lt_i32 s6, 27
	s_mov_b32 s7, -1
	s_cbranch_scc1 .LBB21_418
; %bb.413:
	v_cvt_u32_f32_e32 v1, v0
	s_cmp_gt_i32 s6, 27
	s_cbranch_scc0 .LBB21_415
; %bb.414:
	s_mov_b32 s7, 0
	global_store_dword v[2:3], v1, off
.LBB21_415:
	s_andn2_b32 vcc_lo, exec_lo, s7
	s_cbranch_vccnz .LBB21_417
; %bb.416:
	global_store_short v[2:3], v1, off
.LBB21_417:
	s_mov_b32 s7, 0
.LBB21_418:
	s_andn2_b32 vcc_lo, exec_lo, s7
	s_cbranch_vccnz .LBB21_426
; %bb.419:
	v_and_b32_e32 v1, 0x7fffffff, v0
	v_mov_b32_e32 v4, 0x80
	s_mov_b32 s7, exec_lo
	v_cmpx_gt_u32_e32 0x43800000, v1
	s_cbranch_execz .LBB21_425
; %bb.420:
	v_cmp_lt_u32_e32 vcc_lo, 0x3bffffff, v1
	s_mov_b32 s8, 0
                                        ; implicit-def: $vgpr1
	s_and_saveexec_b32 s9, vcc_lo
	s_xor_b32 s9, exec_lo, s9
	s_cbranch_execz .LBB21_1007
; %bb.421:
	v_bfe_u32 v1, v0, 20, 1
	s_mov_b32 s8, exec_lo
	v_add3_u32 v1, v0, v1, 0x487ffff
	v_lshrrev_b32_e32 v1, 20, v1
	s_andn2_saveexec_b32 s9, s9
	s_cbranch_execnz .LBB21_1008
.LBB21_422:
	s_or_b32 exec_lo, exec_lo, s9
	v_mov_b32_e32 v4, 0
	s_and_saveexec_b32 s9, s8
.LBB21_423:
	v_lshrrev_b32_e32 v4, 24, v0
	v_and_or_b32 v4, 0x80, v4, v1
.LBB21_424:
	s_or_b32 exec_lo, exec_lo, s9
.LBB21_425:
	s_or_b32 exec_lo, exec_lo, s7
	global_store_byte v[2:3], v4, off
.LBB21_426:
	s_mov_b32 s7, 0
.LBB21_427:
	s_and_b32 vcc_lo, exec_lo, s7
	s_mov_b32 s7, 0
	s_cbranch_vccz .LBB21_467
; %bb.428:
	s_cmp_gt_i32 s6, 22
	s_mov_b32 s8, -1
	s_cbranch_scc0 .LBB21_460
; %bb.429:
	s_cmp_lt_i32 s6, 24
	s_cbranch_scc1 .LBB21_449
; %bb.430:
	s_cmp_gt_i32 s6, 24
	s_cbranch_scc0 .LBB21_438
; %bb.431:
	v_and_b32_e32 v1, 0x7fffffff, v0
	v_mov_b32_e32 v4, 0x80
	s_mov_b32 s8, exec_lo
	v_cmpx_gt_u32_e32 0x47800000, v1
	s_cbranch_execz .LBB21_437
; %bb.432:
	v_cmp_lt_u32_e32 vcc_lo, 0x37ffffff, v1
	s_mov_b32 s9, 0
                                        ; implicit-def: $vgpr1
	s_and_saveexec_b32 s10, vcc_lo
	s_xor_b32 s10, exec_lo, s10
	s_cbranch_execz .LBB21_1011
; %bb.433:
	v_bfe_u32 v1, v0, 21, 1
	s_mov_b32 s9, exec_lo
	v_add3_u32 v1, v0, v1, 0x88fffff
	v_lshrrev_b32_e32 v1, 21, v1
	s_andn2_saveexec_b32 s10, s10
	s_cbranch_execnz .LBB21_1012
.LBB21_434:
	s_or_b32 exec_lo, exec_lo, s10
	v_mov_b32_e32 v4, 0
	s_and_saveexec_b32 s10, s9
.LBB21_435:
	v_lshrrev_b32_e32 v4, 24, v0
	v_and_or_b32 v4, 0x80, v4, v1
.LBB21_436:
	s_or_b32 exec_lo, exec_lo, s10
.LBB21_437:
	s_or_b32 exec_lo, exec_lo, s8
	s_mov_b32 s8, 0
	global_store_byte v[2:3], v4, off
.LBB21_438:
	s_and_b32 vcc_lo, exec_lo, s8
	s_cbranch_vccz .LBB21_448
; %bb.439:
	v_and_b32_e32 v4, 0x7fffffff, v0
	s_mov_b32 s8, exec_lo
                                        ; implicit-def: $vgpr1
	v_cmpx_gt_u32_e32 0x43f00000, v4
	s_xor_b32 s8, exec_lo, s8
	s_cbranch_execz .LBB21_445
; %bb.440:
	s_mov_b32 s9, exec_lo
                                        ; implicit-def: $vgpr1
	v_cmpx_lt_u32_e32 0x3c7fffff, v4
	s_xor_b32 s9, exec_lo, s9
; %bb.441:
	v_bfe_u32 v1, v0, 20, 1
	v_add3_u32 v1, v0, v1, 0x407ffff
	v_and_b32_e32 v4, 0xff00000, v1
	v_lshrrev_b32_e32 v1, 20, v1
	v_cmp_ne_u32_e32 vcc_lo, 0x7f00000, v4
	v_cndmask_b32_e32 v1, 0x7e, v1, vcc_lo
; %bb.442:
	s_andn2_saveexec_b32 s9, s9
; %bb.443:
	v_add_f32_e64 v1, 0x46800000, |v0|
; %bb.444:
	s_or_b32 exec_lo, exec_lo, s9
                                        ; implicit-def: $vgpr4
.LBB21_445:
	s_andn2_saveexec_b32 s8, s8
; %bb.446:
	v_mov_b32_e32 v1, 0x7f
	v_cmp_lt_u32_e32 vcc_lo, 0x7f800000, v4
	v_cndmask_b32_e32 v1, 0x7e, v1, vcc_lo
; %bb.447:
	s_or_b32 exec_lo, exec_lo, s8
	v_lshrrev_b32_e32 v4, 24, v0
	v_and_or_b32 v1, 0x80, v4, v1
	global_store_byte v[2:3], v1, off
.LBB21_448:
	s_mov_b32 s8, 0
.LBB21_449:
	s_andn2_b32 vcc_lo, exec_lo, s8
	s_cbranch_vccnz .LBB21_459
; %bb.450:
	v_and_b32_e32 v4, 0x7fffffff, v0
	s_mov_b32 s8, exec_lo
                                        ; implicit-def: $vgpr1
	v_cmpx_gt_u32_e32 0x47800000, v4
	s_xor_b32 s8, exec_lo, s8
	s_cbranch_execz .LBB21_456
; %bb.451:
	s_mov_b32 s9, exec_lo
                                        ; implicit-def: $vgpr1
	v_cmpx_lt_u32_e32 0x387fffff, v4
	s_xor_b32 s9, exec_lo, s9
; %bb.452:
	v_bfe_u32 v1, v0, 21, 1
	v_add3_u32 v1, v0, v1, 0x80fffff
	v_lshrrev_b32_e32 v1, 21, v1
; %bb.453:
	s_andn2_saveexec_b32 s9, s9
; %bb.454:
	v_add_f32_e64 v1, 0x43000000, |v0|
; %bb.455:
	s_or_b32 exec_lo, exec_lo, s9
                                        ; implicit-def: $vgpr4
.LBB21_456:
	s_andn2_saveexec_b32 s8, s8
; %bb.457:
	v_mov_b32_e32 v1, 0x7f
	v_cmp_lt_u32_e32 vcc_lo, 0x7f800000, v4
	v_cndmask_b32_e32 v1, 0x7c, v1, vcc_lo
; %bb.458:
	s_or_b32 exec_lo, exec_lo, s8
	v_lshrrev_b32_e32 v4, 24, v0
	v_and_or_b32 v1, 0x80, v4, v1
	global_store_byte v[2:3], v1, off
.LBB21_459:
	s_mov_b32 s8, 0
.LBB21_460:
	s_andn2_b32 vcc_lo, exec_lo, s8
	s_mov_b32 s8, 0
	s_cbranch_vccnz .LBB21_468
; %bb.461:
	s_cmp_gt_i32 s6, 14
	s_mov_b32 s8, -1
	s_cbranch_scc0 .LBB21_465
; %bb.462:
	s_cmp_eq_u32 s6, 15
	s_mov_b32 s4, -1
	s_cbranch_scc0 .LBB21_464
; %bb.463:
	v_bfe_u32 v1, v0, 16, 1
	v_cmp_o_f32_e32 vcc_lo, v0, v0
	v_mov_b32_e32 v4, 0x7fc0
	s_mov_b32 s4, 0
	v_add3_u32 v1, v0, v1, 0x7fff
	v_cndmask_b32_sdwa v1, v4, v1, vcc_lo dst_sel:DWORD dst_unused:UNUSED_PAD src0_sel:DWORD src1_sel:WORD_1
	global_store_short v[2:3], v1, off
.LBB21_464:
	s_mov_b32 s8, 0
.LBB21_465:
	s_and_b32 vcc_lo, exec_lo, s8
	s_mov_b32 s8, 0
	s_cbranch_vccz .LBB21_468
; %bb.466:
	s_cmp_lg_u32 s6, 11
	s_mov_b32 s8, -1
	s_cselect_b32 s6, -1, 0
	s_andn2_b32 s4, s4, exec_lo
	s_and_b32 s6, s6, exec_lo
	s_or_b32 s4, s4, s6
	s_branch .LBB21_468
.LBB21_467:
	s_mov_b32 s8, 0
.LBB21_468:
	s_and_b32 s6, s7, exec_lo
	s_andn2_b32 s7, s34, exec_lo
	s_and_b32 s9, s4, exec_lo
	s_and_b32 s4, s8, exec_lo
	s_or_b32 s7, s7, s9
.LBB21_469:
	s_or_b32 exec_lo, exec_lo, s26
	s_andn2_b32 s8, s34, exec_lo
	s_and_b32 s7, s7, exec_lo
	s_and_b32 s6, s6, exec_lo
	;; [unrolled: 1-line block ×3, first 2 shown]
	s_or_b32 s34, s8, s7
.LBB21_470:
	s_or_b32 exec_lo, exec_lo, s33
	s_andn2_b32 s7, s28, exec_lo
	s_and_b32 s8, s34, exec_lo
	s_and_b32 s6, s6, exec_lo
	;; [unrolled: 1-line block ×3, first 2 shown]
	s_or_b32 s28, s7, s8
.LBB21_471:
	s_or_b32 exec_lo, exec_lo, s29
	s_andn2_b32 s7, s25, exec_lo
	s_and_b32 s8, s28, exec_lo
	s_and_b32 s6, s6, exec_lo
	;; [unrolled: 1-line block ×3, first 2 shown]
	s_or_b32 s25, s7, s8
	s_or_b32 exec_lo, exec_lo, s27
	s_mov_b32 s4, 0
	s_and_saveexec_b32 s7, s25
	s_cbranch_execz .LBB21_134
.LBB21_472:
	s_mov_b32 s4, exec_lo
	s_andn2_b32 s28, s28, exec_lo
	s_trap 2
	s_or_b32 exec_lo, exec_lo, s7
	s_and_saveexec_b32 s7, s28
	s_xor_b32 s7, exec_lo, s7
	s_cbranch_execnz .LBB21_135
.LBB21_473:
	s_or_b32 exec_lo, exec_lo, s7
	s_and_saveexec_b32 s7, s6
	s_xor_b32 s6, exec_lo, s7
	s_cbranch_execz .LBB21_511
.LBB21_474:
	s_sext_i32_i16 s8, s5
	s_mov_b32 s7, -1
	s_cmp_lt_i32 s8, 5
	s_cbranch_scc1 .LBB21_495
; %bb.475:
	s_cmp_lt_i32 s8, 8
	s_cbranch_scc1 .LBB21_485
; %bb.476:
	;; [unrolled: 3-line block ×3, first 2 shown]
	s_cmp_gt_i32 s8, 9
	s_cbranch_scc0 .LBB21_479
; %bb.478:
	v_cvt_f64_f32_e32 v[4:5], v0
	v_mov_b32_e32 v6, 0
	s_mov_b32 s7, 0
	v_mov_b32_e32 v7, v6
	global_store_dwordx4 v[2:3], v[4:7], off
.LBB21_479:
	s_andn2_b32 vcc_lo, exec_lo, s7
	s_cbranch_vccnz .LBB21_481
; %bb.480:
	v_mov_b32_e32 v1, 0
	global_store_dwordx2 v[2:3], v[0:1], off
.LBB21_481:
	s_mov_b32 s7, 0
.LBB21_482:
	s_andn2_b32 vcc_lo, exec_lo, s7
	s_cbranch_vccnz .LBB21_484
; %bb.483:
	v_cvt_f16_f32_e32 v1, v0
	v_and_b32_e32 v1, 0xffff, v1
	global_store_dword v[2:3], v1, off
.LBB21_484:
	s_mov_b32 s7, 0
.LBB21_485:
	s_andn2_b32 vcc_lo, exec_lo, s7
	s_cbranch_vccnz .LBB21_494
; %bb.486:
	s_sext_i32_i16 s8, s5
	s_mov_b32 s7, -1
	s_cmp_lt_i32 s8, 6
	s_cbranch_scc1 .LBB21_492
; %bb.487:
	s_cmp_gt_i32 s8, 6
	s_cbranch_scc0 .LBB21_489
; %bb.488:
	v_cvt_f64_f32_e32 v[4:5], v0
	s_mov_b32 s7, 0
	global_store_dwordx2 v[2:3], v[4:5], off
.LBB21_489:
	s_andn2_b32 vcc_lo, exec_lo, s7
	s_cbranch_vccnz .LBB21_491
; %bb.490:
	global_store_dword v[2:3], v0, off
.LBB21_491:
	s_mov_b32 s7, 0
.LBB21_492:
	s_andn2_b32 vcc_lo, exec_lo, s7
	s_cbranch_vccnz .LBB21_494
; %bb.493:
	v_cvt_f16_f32_e32 v1, v0
	global_store_short v[2:3], v1, off
.LBB21_494:
	s_mov_b32 s7, 0
.LBB21_495:
	s_andn2_b32 vcc_lo, exec_lo, s7
	s_cbranch_vccnz .LBB21_511
; %bb.496:
	s_sext_i32_i16 s8, s5
	s_mov_b32 s7, -1
	s_cmp_lt_i32 s8, 2
	s_cbranch_scc1 .LBB21_506
; %bb.497:
	s_cmp_lt_i32 s8, 3
	s_cbranch_scc1 .LBB21_503
; %bb.498:
	s_cmp_gt_i32 s8, 3
	s_cbranch_scc0 .LBB21_500
; %bb.499:
	v_trunc_f32_e32 v1, v0
	s_mov_b32 s7, 0
	v_mul_f32_e64 v4, 0x2f800000, |v1|
	v_floor_f32_e32 v4, v4
	v_fma_f32 v5, 0xcf800000, v4, |v1|
	v_ashrrev_i32_e32 v1, 31, v1
	v_cvt_u32_f32_e32 v4, v4
	v_cvt_u32_f32_e32 v5, v5
	v_xor_b32_e32 v6, v4, v1
	v_xor_b32_e32 v5, v5, v1
	v_sub_co_u32 v4, vcc_lo, v5, v1
	v_sub_co_ci_u32_e64 v5, null, v6, v1, vcc_lo
	global_store_dwordx2 v[2:3], v[4:5], off
.LBB21_500:
	s_andn2_b32 vcc_lo, exec_lo, s7
	s_cbranch_vccnz .LBB21_502
; %bb.501:
	v_cvt_i32_f32_e32 v1, v0
	global_store_dword v[2:3], v1, off
.LBB21_502:
	s_mov_b32 s7, 0
.LBB21_503:
	s_andn2_b32 vcc_lo, exec_lo, s7
	s_cbranch_vccnz .LBB21_505
; %bb.504:
	v_cvt_i32_f32_e32 v1, v0
	global_store_short v[2:3], v1, off
.LBB21_505:
	s_mov_b32 s7, 0
.LBB21_506:
	s_andn2_b32 vcc_lo, exec_lo, s7
	s_cbranch_vccnz .LBB21_511
; %bb.507:
	s_sext_i32_i16 s5, s5
	s_cmp_gt_i32 s5, 0
	s_mov_b32 s5, -1
	s_cbranch_scc0 .LBB21_509
; %bb.508:
	v_cvt_i32_f32_e32 v1, v0
	s_mov_b32 s5, 0
	global_store_byte v[2:3], v1, off
.LBB21_509:
	s_andn2_b32 vcc_lo, exec_lo, s5
	s_cbranch_vccnz .LBB21_511
; %bb.510:
	v_trunc_f32_e32 v0, v0
	v_mul_f32_e64 v1, 0x2f800000, |v0|
	v_floor_f32_e32 v1, v1
	v_fma_f32 v1, 0xcf800000, v1, |v0|
	v_ashrrev_i32_e32 v0, 31, v0
	v_cvt_u32_f32_e32 v1, v1
	v_xor_b32_e32 v1, v1, v0
	v_sub_nc_u32_e32 v0, v1, v0
	global_store_byte v[2:3], v0, off
.LBB21_511:
	s_or_b32 exec_lo, exec_lo, s6
	s_and_b32 s25, s4, exec_lo
                                        ; implicit-def: $vgpr30
                                        ; implicit-def: $vgpr31
                                        ; implicit-def: $vgpr32
.LBB21_512:
	s_or_saveexec_b32 s24, s24
	s_mov_b32 s4, 0
                                        ; implicit-def: $sgpr5
                                        ; implicit-def: $vgpr2_vgpr3
                                        ; implicit-def: $vgpr0
	s_xor_b32 exec_lo, exec_lo, s24
	s_cbranch_execz .LBB21_945
; %bb.513:
	v_mov_b32_e32 v0, s18
	v_mov_b32_e32 v1, s19
	;; [unrolled: 1-line block ×5, first 2 shown]
	s_getpc_b64 s[26:27]
	s_add_u32 s26, s26, _ZN2at6native6invokeIZZZNS0_12_GLOBAL__N_119airy_ai_kernel_cudaERNS_18TensorIteratorBaseEENKUlvE_clEvENKUlvE0_clEvEUlfE_i15function_traitsIS7_EEENT1_11result_typeERKT_PrKPcPKT0_PKN3c1010ScalarTypeEi@rel32@lo+4
	s_addc_u32 s27, s27, _ZN2at6native6invokeIZZZNS0_12_GLOBAL__N_119airy_ai_kernel_cudaERNS_18TensorIteratorBaseEENKUlvE_clEvENKUlvE0_clEvEUlfE_i15function_traitsIS7_EEENT1_11result_typeERKT_PrKPcPKT0_PKN3c1010ScalarTypeEi@rel32@hi+12
	v_add_nc_u32_e32 v27, 0x80, v30
	v_add_nc_u32_e32 v33, 0x100, v30
	s_swappc_b64 s[30:31], s[26:27]
	v_mov_b32_e32 v29, v0
	v_mov_b32_e32 v0, s18
	v_mov_b32_e32 v1, s19
	v_mov_b32_e32 v2, s21
	v_mov_b32_e32 v3, v31
	v_mov_b32_e32 v4, v27
	s_swappc_b64 s[30:31], s[26:27]
	v_mov_b32_e32 v28, v0
	v_mov_b32_e32 v0, s18
	v_mov_b32_e32 v1, s19
	v_mov_b32_e32 v2, s21
	v_mov_b32_e32 v3, v31
	v_mov_b32_e32 v4, v33
	;; [unrolled: 7-line block ×3, first 2 shown]
	s_swappc_b64 s[30:31], s[26:27]
	v_mul_lo_u32 v3, s20, v30
	s_and_b32 s5, s22, 0xff
	s_cmp_lt_i32 s5, 11
	v_ashrrev_i32_e32 v2, 31, v3
	v_add_co_u32 v1, vcc_lo, s16, v3
	v_add_co_ci_u32_e64 v2, null, s17, v2, vcc_lo
	s_cbranch_scc1 .LBB21_592
; %bb.514:
	s_and_b32 s6, 0xffff, s5
	s_mov_b32 s9, -1
	s_mov_b32 s7, 0
	s_cmp_gt_i32 s6, 25
	s_mov_b32 s8, 0
	s_mov_b32 s4, 0
	s_cbranch_scc0 .LBB21_547
; %bb.515:
	s_cmp_gt_i32 s6, 28
	s_cbranch_scc0 .LBB21_530
; %bb.516:
	s_cmp_gt_i32 s6, 43
	;; [unrolled: 3-line block ×3, first 2 shown]
	s_cbranch_scc0 .LBB21_520
; %bb.518:
	s_mov_b32 s4, -1
	s_mov_b32 s9, 0
	s_cmp_eq_u32 s6, 46
	s_cbranch_scc0 .LBB21_520
; %bb.519:
	v_bfe_u32 v4, v29, 16, 1
	v_cmp_o_f32_e32 vcc_lo, v29, v29
	v_mov_b32_e32 v5, 0x7fc0
	s_mov_b32 s4, 0
	s_mov_b32 s8, -1
	v_add3_u32 v4, v29, v4, 0x7fff
	v_cndmask_b32_sdwa v4, v5, v4, vcc_lo dst_sel:DWORD dst_unused:UNUSED_PAD src0_sel:DWORD src1_sel:WORD_1
	global_store_dword v[1:2], v4, off
.LBB21_520:
	s_and_b32 vcc_lo, exec_lo, s9
	s_cbranch_vccz .LBB21_525
; %bb.521:
	s_cmp_eq_u32 s6, 44
	s_mov_b32 s4, -1
	s_cbranch_scc0 .LBB21_525
; %bb.522:
	v_bfe_u32 v5, v29, 23, 8
	v_mov_b32_e32 v4, 0xff
	s_mov_b32 s8, exec_lo
	v_cmpx_ne_u32_e32 0xff, v5
	s_cbranch_execz .LBB21_524
; %bb.523:
	v_and_b32_e32 v4, 0x400000, v29
	v_and_or_b32 v5, 0x3fffff, v29, v5
	v_cmp_ne_u32_e32 vcc_lo, 0, v4
	v_cmp_ne_u32_e64 s4, 0, v5
	v_lshrrev_b32_e32 v4, 23, v29
	s_and_b32 s4, vcc_lo, s4
	v_cndmask_b32_e64 v5, 0, 1, s4
	v_add_nc_u32_e32 v4, v4, v5
.LBB21_524:
	s_or_b32 exec_lo, exec_lo, s8
	s_mov_b32 s4, 0
	s_mov_b32 s8, -1
	global_store_byte v[1:2], v4, off
.LBB21_525:
	s_mov_b32 s9, 0
.LBB21_526:
	s_and_b32 vcc_lo, exec_lo, s9
	s_cbranch_vccz .LBB21_529
; %bb.527:
	s_cmp_eq_u32 s6, 29
	s_mov_b32 s4, -1
	s_cbranch_scc0 .LBB21_529
; %bb.528:
	v_trunc_f32_e32 v4, v29
	s_mov_b32 s4, 0
	s_mov_b32 s8, -1
	v_mul_f32_e32 v5, 0x2f800000, v4
	v_floor_f32_e32 v5, v5
	v_fmamk_f32 v4, v5, 0xcf800000, v4
	v_cvt_u32_f32_e32 v5, v5
	v_cvt_u32_f32_e32 v4, v4
	global_store_dwordx2 v[1:2], v[4:5], off
.LBB21_529:
	s_mov_b32 s9, 0
.LBB21_530:
	s_and_b32 vcc_lo, exec_lo, s9
	s_cbranch_vccz .LBB21_546
; %bb.531:
	s_cmp_lt_i32 s6, 27
	s_mov_b32 s8, -1
	s_cbranch_scc1 .LBB21_537
; %bb.532:
	v_cvt_u32_f32_e32 v4, v29
	s_cmp_gt_i32 s6, 27
	s_cbranch_scc0 .LBB21_534
; %bb.533:
	s_mov_b32 s8, 0
	global_store_dword v[1:2], v4, off
.LBB21_534:
	s_andn2_b32 vcc_lo, exec_lo, s8
	s_cbranch_vccnz .LBB21_536
; %bb.535:
	global_store_short v[1:2], v4, off
.LBB21_536:
	s_mov_b32 s8, 0
.LBB21_537:
	s_andn2_b32 vcc_lo, exec_lo, s8
	s_cbranch_vccnz .LBB21_545
; %bb.538:
	v_and_b32_e32 v4, 0x7fffffff, v29
	v_mov_b32_e32 v5, 0x80
	s_mov_b32 s8, exec_lo
	v_cmpx_gt_u32_e32 0x43800000, v4
	s_cbranch_execz .LBB21_544
; %bb.539:
	v_cmp_lt_u32_e32 vcc_lo, 0x3bffffff, v4
	s_mov_b32 s9, 0
                                        ; implicit-def: $vgpr4
	s_and_saveexec_b32 s10, vcc_lo
	s_xor_b32 s10, exec_lo, s10
	s_cbranch_execz .LBB21_989
; %bb.540:
	v_bfe_u32 v4, v29, 20, 1
	s_mov_b32 s9, exec_lo
	v_add3_u32 v4, v29, v4, 0x487ffff
	v_lshrrev_b32_e32 v4, 20, v4
	s_andn2_saveexec_b32 s10, s10
	s_cbranch_execnz .LBB21_990
.LBB21_541:
	s_or_b32 exec_lo, exec_lo, s10
	v_mov_b32_e32 v5, 0
	s_and_saveexec_b32 s10, s9
.LBB21_542:
	v_lshrrev_b32_e32 v5, 24, v29
	v_and_or_b32 v5, 0x80, v5, v4
.LBB21_543:
	s_or_b32 exec_lo, exec_lo, s10
.LBB21_544:
	s_or_b32 exec_lo, exec_lo, s8
	global_store_byte v[1:2], v5, off
.LBB21_545:
	s_mov_b32 s8, -1
.LBB21_546:
	s_mov_b32 s9, 0
.LBB21_547:
	s_and_b32 vcc_lo, exec_lo, s9
	s_cbranch_vccz .LBB21_587
; %bb.548:
	s_cmp_gt_i32 s6, 22
	s_mov_b32 s7, -1
	s_cbranch_scc0 .LBB21_580
; %bb.549:
	s_cmp_lt_i32 s6, 24
	s_cbranch_scc1 .LBB21_569
; %bb.550:
	s_cmp_gt_i32 s6, 24
	s_cbranch_scc0 .LBB21_558
; %bb.551:
	v_and_b32_e32 v4, 0x7fffffff, v29
	v_mov_b32_e32 v5, 0x80
	s_mov_b32 s7, exec_lo
	v_cmpx_gt_u32_e32 0x47800000, v4
	s_cbranch_execz .LBB21_557
; %bb.552:
	v_cmp_lt_u32_e32 vcc_lo, 0x37ffffff, v4
	s_mov_b32 s8, 0
                                        ; implicit-def: $vgpr4
	s_and_saveexec_b32 s9, vcc_lo
	s_xor_b32 s9, exec_lo, s9
	s_cbranch_execz .LBB21_992
; %bb.553:
	v_bfe_u32 v4, v29, 21, 1
	s_mov_b32 s8, exec_lo
	v_add3_u32 v4, v29, v4, 0x88fffff
	v_lshrrev_b32_e32 v4, 21, v4
	s_andn2_saveexec_b32 s9, s9
	s_cbranch_execnz .LBB21_993
.LBB21_554:
	s_or_b32 exec_lo, exec_lo, s9
	v_mov_b32_e32 v5, 0
	s_and_saveexec_b32 s9, s8
.LBB21_555:
	v_lshrrev_b32_e32 v5, 24, v29
	v_and_or_b32 v5, 0x80, v5, v4
.LBB21_556:
	s_or_b32 exec_lo, exec_lo, s9
.LBB21_557:
	s_or_b32 exec_lo, exec_lo, s7
	s_mov_b32 s7, 0
	global_store_byte v[1:2], v5, off
.LBB21_558:
	s_and_b32 vcc_lo, exec_lo, s7
	s_cbranch_vccz .LBB21_568
; %bb.559:
	v_and_b32_e32 v5, 0x7fffffff, v29
	s_mov_b32 s7, exec_lo
                                        ; implicit-def: $vgpr4
	v_cmpx_gt_u32_e32 0x43f00000, v5
	s_xor_b32 s7, exec_lo, s7
	s_cbranch_execz .LBB21_565
; %bb.560:
	s_mov_b32 s8, exec_lo
                                        ; implicit-def: $vgpr4
	v_cmpx_lt_u32_e32 0x3c7fffff, v5
	s_xor_b32 s8, exec_lo, s8
; %bb.561:
	v_bfe_u32 v4, v29, 20, 1
	v_add3_u32 v4, v29, v4, 0x407ffff
	v_and_b32_e32 v5, 0xff00000, v4
	v_lshrrev_b32_e32 v4, 20, v4
	v_cmp_ne_u32_e32 vcc_lo, 0x7f00000, v5
	v_cndmask_b32_e32 v4, 0x7e, v4, vcc_lo
; %bb.562:
	s_andn2_saveexec_b32 s8, s8
; %bb.563:
	v_add_f32_e64 v4, 0x46800000, |v29|
; %bb.564:
	s_or_b32 exec_lo, exec_lo, s8
                                        ; implicit-def: $vgpr5
.LBB21_565:
	s_andn2_saveexec_b32 s7, s7
; %bb.566:
	v_mov_b32_e32 v4, 0x7f
	v_cmp_lt_u32_e32 vcc_lo, 0x7f800000, v5
	v_cndmask_b32_e32 v4, 0x7e, v4, vcc_lo
; %bb.567:
	s_or_b32 exec_lo, exec_lo, s7
	v_lshrrev_b32_e32 v5, 24, v29
	v_and_or_b32 v4, 0x80, v5, v4
	global_store_byte v[1:2], v4, off
.LBB21_568:
	s_mov_b32 s7, 0
.LBB21_569:
	s_andn2_b32 vcc_lo, exec_lo, s7
	s_cbranch_vccnz .LBB21_579
; %bb.570:
	v_and_b32_e32 v5, 0x7fffffff, v29
	s_mov_b32 s7, exec_lo
                                        ; implicit-def: $vgpr4
	v_cmpx_gt_u32_e32 0x47800000, v5
	s_xor_b32 s7, exec_lo, s7
	s_cbranch_execz .LBB21_576
; %bb.571:
	s_mov_b32 s8, exec_lo
                                        ; implicit-def: $vgpr4
	v_cmpx_lt_u32_e32 0x387fffff, v5
	s_xor_b32 s8, exec_lo, s8
; %bb.572:
	v_bfe_u32 v4, v29, 21, 1
	v_add3_u32 v4, v29, v4, 0x80fffff
	v_lshrrev_b32_e32 v4, 21, v4
; %bb.573:
	s_andn2_saveexec_b32 s8, s8
; %bb.574:
	v_add_f32_e64 v4, 0x43000000, |v29|
; %bb.575:
	s_or_b32 exec_lo, exec_lo, s8
                                        ; implicit-def: $vgpr5
.LBB21_576:
	s_andn2_saveexec_b32 s7, s7
; %bb.577:
	v_mov_b32_e32 v4, 0x7f
	v_cmp_lt_u32_e32 vcc_lo, 0x7f800000, v5
	v_cndmask_b32_e32 v4, 0x7c, v4, vcc_lo
; %bb.578:
	s_or_b32 exec_lo, exec_lo, s7
	v_lshrrev_b32_e32 v5, 24, v29
	v_and_or_b32 v4, 0x80, v5, v4
	global_store_byte v[1:2], v4, off
.LBB21_579:
	s_mov_b32 s7, 0
	s_mov_b32 s8, -1
.LBB21_580:
	s_andn2_b32 vcc_lo, exec_lo, s7
	s_mov_b32 s7, 0
	s_cbranch_vccnz .LBB21_587
; %bb.581:
	s_cmp_gt_i32 s6, 14
	s_mov_b32 s7, -1
	s_cbranch_scc0 .LBB21_585
; %bb.582:
	s_cmp_eq_u32 s6, 15
	s_mov_b32 s4, -1
	s_cbranch_scc0 .LBB21_584
; %bb.583:
	v_bfe_u32 v4, v29, 16, 1
	v_cmp_o_f32_e32 vcc_lo, v29, v29
	v_mov_b32_e32 v5, 0x7fc0
	s_mov_b32 s4, 0
	s_mov_b32 s8, -1
	v_add3_u32 v4, v29, v4, 0x7fff
	v_cndmask_b32_sdwa v4, v5, v4, vcc_lo dst_sel:DWORD dst_unused:UNUSED_PAD src0_sel:DWORD src1_sel:WORD_1
	global_store_short v[1:2], v4, off
.LBB21_584:
	s_mov_b32 s7, 0
.LBB21_585:
	s_and_b32 vcc_lo, exec_lo, s7
	s_mov_b32 s7, 0
	s_cbranch_vccz .LBB21_587
; %bb.586:
	s_cmp_lg_u32 s6, 11
	s_mov_b32 s7, -1
	s_cselect_b32 s4, -1, 0
.LBB21_587:
	s_and_b32 vcc_lo, exec_lo, s4
	s_mov_b32 s6, s25
	s_cbranch_vccnz .LBB21_991
; %bb.588:
	s_andn2_b32 vcc_lo, exec_lo, s7
	s_cbranch_vccnz .LBB21_590
.LBB21_589:
	v_cmp_neq_f32_e32 vcc_lo, 0, v29
	s_mov_b32 s8, -1
	v_cndmask_b32_e64 v4, 0, 1, vcc_lo
	global_store_byte v[1:2], v4, off
.LBB21_590:
.LBB21_591:
	s_andn2_b32 vcc_lo, exec_lo, s8
	s_cbranch_vccz .LBB21_631
	s_branch .LBB21_943
.LBB21_592:
	s_mov_b32 s8, 0
	s_mov_b32 s6, s25
	s_cbranch_execz .LBB21_591
; %bb.593:
	s_and_b32 s4, 0xffff, s5
	s_mov_b32 s7, -1
	s_cmp_lt_i32 s4, 5
	s_cbranch_scc1 .LBB21_614
; %bb.594:
	s_cmp_lt_i32 s4, 8
	s_cbranch_scc1 .LBB21_604
; %bb.595:
	;; [unrolled: 3-line block ×3, first 2 shown]
	s_cmp_gt_i32 s4, 9
	s_cbranch_scc0 .LBB21_598
; %bb.597:
	v_cvt_f64_f32_e32 v[4:5], v29
	v_mov_b32_e32 v6, 0
	s_mov_b32 s7, 0
	v_mov_b32_e32 v7, v6
	global_store_dwordx4 v[1:2], v[4:7], off
.LBB21_598:
	s_andn2_b32 vcc_lo, exec_lo, s7
	s_cbranch_vccnz .LBB21_600
; %bb.599:
	v_mov_b32_e32 v30, 0
	global_store_dwordx2 v[1:2], v[29:30], off
.LBB21_600:
	s_mov_b32 s7, 0
.LBB21_601:
	s_andn2_b32 vcc_lo, exec_lo, s7
	s_cbranch_vccnz .LBB21_603
; %bb.602:
	v_cvt_f16_f32_e32 v4, v29
	v_and_b32_e32 v4, 0xffff, v4
	global_store_dword v[1:2], v4, off
.LBB21_603:
	s_mov_b32 s7, 0
.LBB21_604:
	s_andn2_b32 vcc_lo, exec_lo, s7
	s_cbranch_vccnz .LBB21_613
; %bb.605:
	s_cmp_lt_i32 s4, 6
	s_mov_b32 s7, -1
	s_cbranch_scc1 .LBB21_611
; %bb.606:
	s_cmp_gt_i32 s4, 6
	s_cbranch_scc0 .LBB21_608
; %bb.607:
	v_cvt_f64_f32_e32 v[4:5], v29
	s_mov_b32 s7, 0
	global_store_dwordx2 v[1:2], v[4:5], off
.LBB21_608:
	s_andn2_b32 vcc_lo, exec_lo, s7
	s_cbranch_vccnz .LBB21_610
; %bb.609:
	global_store_dword v[1:2], v29, off
.LBB21_610:
	s_mov_b32 s7, 0
.LBB21_611:
	s_andn2_b32 vcc_lo, exec_lo, s7
	s_cbranch_vccnz .LBB21_613
; %bb.612:
	v_cvt_f16_f32_e32 v4, v29
	global_store_short v[1:2], v4, off
.LBB21_613:
	s_mov_b32 s7, 0
.LBB21_614:
	s_andn2_b32 vcc_lo, exec_lo, s7
	s_cbranch_vccnz .LBB21_630
; %bb.615:
	s_cmp_lt_i32 s4, 2
	s_mov_b32 s7, -1
	s_cbranch_scc1 .LBB21_625
; %bb.616:
	s_cmp_lt_i32 s4, 3
	s_cbranch_scc1 .LBB21_622
; %bb.617:
	s_cmp_gt_i32 s4, 3
	s_cbranch_scc0 .LBB21_619
; %bb.618:
	v_trunc_f32_e32 v4, v29
	s_mov_b32 s7, 0
	v_mul_f32_e64 v5, 0x2f800000, |v4|
	v_ashrrev_i32_e32 v7, 31, v4
	v_floor_f32_e32 v5, v5
	v_fma_f32 v6, 0xcf800000, v5, |v4|
	v_cvt_u32_f32_e32 v5, v5
	v_cvt_u32_f32_e32 v4, v6
	v_xor_b32_e32 v5, v5, v7
	v_xor_b32_e32 v4, v4, v7
	v_sub_co_u32 v4, vcc_lo, v4, v7
	v_sub_co_ci_u32_e64 v5, null, v5, v7, vcc_lo
	global_store_dwordx2 v[1:2], v[4:5], off
.LBB21_619:
	s_andn2_b32 vcc_lo, exec_lo, s7
	s_cbranch_vccnz .LBB21_621
; %bb.620:
	v_cvt_i32_f32_e32 v4, v29
	global_store_dword v[1:2], v4, off
.LBB21_621:
	s_mov_b32 s7, 0
.LBB21_622:
	s_andn2_b32 vcc_lo, exec_lo, s7
	s_cbranch_vccnz .LBB21_624
; %bb.623:
	v_cvt_i32_f32_e32 v4, v29
	global_store_short v[1:2], v4, off
.LBB21_624:
	s_mov_b32 s7, 0
.LBB21_625:
	s_andn2_b32 vcc_lo, exec_lo, s7
	s_cbranch_vccnz .LBB21_630
; %bb.626:
	s_cmp_gt_i32 s4, 0
	s_mov_b32 s4, -1
	s_cbranch_scc0 .LBB21_628
; %bb.627:
	v_cvt_i32_f32_e32 v4, v29
	s_mov_b32 s4, 0
	global_store_byte v[1:2], v4, off
.LBB21_628:
	s_andn2_b32 vcc_lo, exec_lo, s4
	s_cbranch_vccnz .LBB21_630
; %bb.629:
	v_trunc_f32_e32 v4, v29
	v_mul_f32_e64 v5, 0x2f800000, |v4|
	v_floor_f32_e32 v5, v5
	v_fma_f32 v5, 0xcf800000, v5, |v4|
	v_ashrrev_i32_e32 v4, 31, v4
	v_cvt_u32_f32_e32 v5, v5
	v_xor_b32_e32 v5, v5, v4
	v_sub_nc_u32_e32 v4, v5, v4
	global_store_byte v[1:2], v4, off
.LBB21_630:
.LBB21_631:
	s_lshl_b32 s7, s20, 7
	s_cmp_lt_i32 s5, 11
	v_add_nc_u32_e32 v3, s7, v3
	v_ashrrev_i32_e32 v2, 31, v3
	v_add_co_u32 v1, vcc_lo, s16, v3
	v_add_co_ci_u32_e64 v2, null, s17, v2, vcc_lo
	s_cbranch_scc1 .LBB21_710
; %bb.632:
	s_and_b32 s8, 0xffff, s5
	s_mov_b32 s11, -1
	s_mov_b32 s9, 0
	s_cmp_gt_i32 s8, 25
	s_mov_b32 s10, 0
	s_mov_b32 s4, 0
	s_cbranch_scc0 .LBB21_665
; %bb.633:
	s_cmp_gt_i32 s8, 28
	s_cbranch_scc0 .LBB21_648
; %bb.634:
	s_cmp_gt_i32 s8, 43
	;; [unrolled: 3-line block ×3, first 2 shown]
	s_cbranch_scc0 .LBB21_638
; %bb.636:
	s_mov_b32 s4, -1
	s_mov_b32 s11, 0
	s_cmp_eq_u32 s8, 46
	s_cbranch_scc0 .LBB21_638
; %bb.637:
	v_bfe_u32 v4, v28, 16, 1
	v_cmp_o_f32_e32 vcc_lo, v28, v28
	v_mov_b32_e32 v5, 0x7fc0
	s_mov_b32 s4, 0
	s_mov_b32 s10, -1
	v_add3_u32 v4, v28, v4, 0x7fff
	v_cndmask_b32_sdwa v4, v5, v4, vcc_lo dst_sel:DWORD dst_unused:UNUSED_PAD src0_sel:DWORD src1_sel:WORD_1
	global_store_dword v[1:2], v4, off
.LBB21_638:
	s_and_b32 vcc_lo, exec_lo, s11
	s_cbranch_vccz .LBB21_643
; %bb.639:
	s_cmp_eq_u32 s8, 44
	s_mov_b32 s4, -1
	s_cbranch_scc0 .LBB21_643
; %bb.640:
	v_bfe_u32 v5, v28, 23, 8
	v_mov_b32_e32 v4, 0xff
	s_mov_b32 s10, exec_lo
	v_cmpx_ne_u32_e32 0xff, v5
	s_cbranch_execz .LBB21_642
; %bb.641:
	v_and_b32_e32 v4, 0x400000, v28
	v_and_or_b32 v5, 0x3fffff, v28, v5
	v_cmp_ne_u32_e32 vcc_lo, 0, v4
	v_cmp_ne_u32_e64 s4, 0, v5
	v_lshrrev_b32_e32 v4, 23, v28
	s_and_b32 s4, vcc_lo, s4
	v_cndmask_b32_e64 v5, 0, 1, s4
	v_add_nc_u32_e32 v4, v4, v5
.LBB21_642:
	s_or_b32 exec_lo, exec_lo, s10
	s_mov_b32 s4, 0
	s_mov_b32 s10, -1
	global_store_byte v[1:2], v4, off
.LBB21_643:
	s_mov_b32 s11, 0
.LBB21_644:
	s_and_b32 vcc_lo, exec_lo, s11
	s_cbranch_vccz .LBB21_647
; %bb.645:
	s_cmp_eq_u32 s8, 29
	s_mov_b32 s4, -1
	s_cbranch_scc0 .LBB21_647
; %bb.646:
	v_trunc_f32_e32 v4, v28
	s_mov_b32 s4, 0
	s_mov_b32 s10, -1
	v_mul_f32_e32 v5, 0x2f800000, v4
	v_floor_f32_e32 v5, v5
	v_fmamk_f32 v4, v5, 0xcf800000, v4
	v_cvt_u32_f32_e32 v5, v5
	v_cvt_u32_f32_e32 v4, v4
	global_store_dwordx2 v[1:2], v[4:5], off
.LBB21_647:
	s_mov_b32 s11, 0
.LBB21_648:
	s_and_b32 vcc_lo, exec_lo, s11
	s_cbranch_vccz .LBB21_664
; %bb.649:
	s_cmp_lt_i32 s8, 27
	s_mov_b32 s10, -1
	s_cbranch_scc1 .LBB21_655
; %bb.650:
	v_cvt_u32_f32_e32 v4, v28
	s_cmp_gt_i32 s8, 27
	s_cbranch_scc0 .LBB21_652
; %bb.651:
	s_mov_b32 s10, 0
	global_store_dword v[1:2], v4, off
.LBB21_652:
	s_andn2_b32 vcc_lo, exec_lo, s10
	s_cbranch_vccnz .LBB21_654
; %bb.653:
	global_store_short v[1:2], v4, off
.LBB21_654:
	s_mov_b32 s10, 0
.LBB21_655:
	s_andn2_b32 vcc_lo, exec_lo, s10
	s_cbranch_vccnz .LBB21_663
; %bb.656:
	v_and_b32_e32 v4, 0x7fffffff, v28
	v_mov_b32_e32 v5, 0x80
	s_mov_b32 s10, exec_lo
	v_cmpx_gt_u32_e32 0x43800000, v4
	s_cbranch_execz .LBB21_662
; %bb.657:
	v_cmp_lt_u32_e32 vcc_lo, 0x3bffffff, v4
	s_mov_b32 s11, 0
                                        ; implicit-def: $vgpr4
	s_and_saveexec_b32 s12, vcc_lo
	s_xor_b32 s12, exec_lo, s12
	s_cbranch_execz .LBB21_994
; %bb.658:
	v_bfe_u32 v4, v28, 20, 1
	s_mov_b32 s11, exec_lo
	v_add3_u32 v4, v28, v4, 0x487ffff
	v_lshrrev_b32_e32 v4, 20, v4
	s_andn2_saveexec_b32 s12, s12
	s_cbranch_execnz .LBB21_995
.LBB21_659:
	s_or_b32 exec_lo, exec_lo, s12
	v_mov_b32_e32 v5, 0
	s_and_saveexec_b32 s12, s11
.LBB21_660:
	v_lshrrev_b32_e32 v5, 24, v28
	v_and_or_b32 v5, 0x80, v5, v4
.LBB21_661:
	s_or_b32 exec_lo, exec_lo, s12
.LBB21_662:
	s_or_b32 exec_lo, exec_lo, s10
	global_store_byte v[1:2], v5, off
.LBB21_663:
	s_mov_b32 s10, -1
.LBB21_664:
	s_mov_b32 s11, 0
.LBB21_665:
	s_and_b32 vcc_lo, exec_lo, s11
	s_cbranch_vccz .LBB21_705
; %bb.666:
	s_cmp_gt_i32 s8, 22
	s_mov_b32 s9, -1
	s_cbranch_scc0 .LBB21_698
; %bb.667:
	s_cmp_lt_i32 s8, 24
	s_cbranch_scc1 .LBB21_687
; %bb.668:
	s_cmp_gt_i32 s8, 24
	s_cbranch_scc0 .LBB21_676
; %bb.669:
	v_and_b32_e32 v4, 0x7fffffff, v28
	v_mov_b32_e32 v5, 0x80
	s_mov_b32 s9, exec_lo
	v_cmpx_gt_u32_e32 0x47800000, v4
	s_cbranch_execz .LBB21_675
; %bb.670:
	v_cmp_lt_u32_e32 vcc_lo, 0x37ffffff, v4
	s_mov_b32 s10, 0
                                        ; implicit-def: $vgpr4
	s_and_saveexec_b32 s11, vcc_lo
	s_xor_b32 s11, exec_lo, s11
	s_cbranch_execz .LBB21_997
; %bb.671:
	v_bfe_u32 v4, v28, 21, 1
	s_mov_b32 s10, exec_lo
	v_add3_u32 v4, v28, v4, 0x88fffff
	v_lshrrev_b32_e32 v4, 21, v4
	s_andn2_saveexec_b32 s11, s11
	s_cbranch_execnz .LBB21_998
.LBB21_672:
	s_or_b32 exec_lo, exec_lo, s11
	v_mov_b32_e32 v5, 0
	s_and_saveexec_b32 s11, s10
.LBB21_673:
	v_lshrrev_b32_e32 v5, 24, v28
	v_and_or_b32 v5, 0x80, v5, v4
.LBB21_674:
	s_or_b32 exec_lo, exec_lo, s11
.LBB21_675:
	s_or_b32 exec_lo, exec_lo, s9
	s_mov_b32 s9, 0
	global_store_byte v[1:2], v5, off
.LBB21_676:
	s_and_b32 vcc_lo, exec_lo, s9
	s_cbranch_vccz .LBB21_686
; %bb.677:
	v_and_b32_e32 v5, 0x7fffffff, v28
	s_mov_b32 s9, exec_lo
                                        ; implicit-def: $vgpr4
	v_cmpx_gt_u32_e32 0x43f00000, v5
	s_xor_b32 s9, exec_lo, s9
	s_cbranch_execz .LBB21_683
; %bb.678:
	s_mov_b32 s10, exec_lo
                                        ; implicit-def: $vgpr4
	v_cmpx_lt_u32_e32 0x3c7fffff, v5
	s_xor_b32 s10, exec_lo, s10
; %bb.679:
	v_bfe_u32 v4, v28, 20, 1
	v_add3_u32 v4, v28, v4, 0x407ffff
	v_and_b32_e32 v5, 0xff00000, v4
	v_lshrrev_b32_e32 v4, 20, v4
	v_cmp_ne_u32_e32 vcc_lo, 0x7f00000, v5
	v_cndmask_b32_e32 v4, 0x7e, v4, vcc_lo
; %bb.680:
	s_andn2_saveexec_b32 s10, s10
; %bb.681:
	v_add_f32_e64 v4, 0x46800000, |v28|
; %bb.682:
	s_or_b32 exec_lo, exec_lo, s10
                                        ; implicit-def: $vgpr5
.LBB21_683:
	s_andn2_saveexec_b32 s9, s9
; %bb.684:
	v_mov_b32_e32 v4, 0x7f
	v_cmp_lt_u32_e32 vcc_lo, 0x7f800000, v5
	v_cndmask_b32_e32 v4, 0x7e, v4, vcc_lo
; %bb.685:
	s_or_b32 exec_lo, exec_lo, s9
	v_lshrrev_b32_e32 v5, 24, v28
	v_and_or_b32 v4, 0x80, v5, v4
	global_store_byte v[1:2], v4, off
.LBB21_686:
	s_mov_b32 s9, 0
.LBB21_687:
	s_andn2_b32 vcc_lo, exec_lo, s9
	s_cbranch_vccnz .LBB21_697
; %bb.688:
	v_and_b32_e32 v5, 0x7fffffff, v28
	s_mov_b32 s9, exec_lo
                                        ; implicit-def: $vgpr4
	v_cmpx_gt_u32_e32 0x47800000, v5
	s_xor_b32 s9, exec_lo, s9
	s_cbranch_execz .LBB21_694
; %bb.689:
	s_mov_b32 s10, exec_lo
                                        ; implicit-def: $vgpr4
	v_cmpx_lt_u32_e32 0x387fffff, v5
	s_xor_b32 s10, exec_lo, s10
; %bb.690:
	v_bfe_u32 v4, v28, 21, 1
	v_add3_u32 v4, v28, v4, 0x80fffff
	v_lshrrev_b32_e32 v4, 21, v4
; %bb.691:
	s_andn2_saveexec_b32 s10, s10
; %bb.692:
	v_add_f32_e64 v4, 0x43000000, |v28|
; %bb.693:
	s_or_b32 exec_lo, exec_lo, s10
                                        ; implicit-def: $vgpr5
.LBB21_694:
	s_andn2_saveexec_b32 s9, s9
; %bb.695:
	v_mov_b32_e32 v4, 0x7f
	v_cmp_lt_u32_e32 vcc_lo, 0x7f800000, v5
	v_cndmask_b32_e32 v4, 0x7c, v4, vcc_lo
; %bb.696:
	s_or_b32 exec_lo, exec_lo, s9
	v_lshrrev_b32_e32 v5, 24, v28
	v_and_or_b32 v4, 0x80, v5, v4
	global_store_byte v[1:2], v4, off
.LBB21_697:
	s_mov_b32 s9, 0
	s_mov_b32 s10, -1
.LBB21_698:
	s_andn2_b32 vcc_lo, exec_lo, s9
	s_mov_b32 s9, 0
	s_cbranch_vccnz .LBB21_705
; %bb.699:
	s_cmp_gt_i32 s8, 14
	s_mov_b32 s9, -1
	s_cbranch_scc0 .LBB21_703
; %bb.700:
	s_cmp_eq_u32 s8, 15
	s_mov_b32 s4, -1
	s_cbranch_scc0 .LBB21_702
; %bb.701:
	v_bfe_u32 v4, v28, 16, 1
	v_cmp_o_f32_e32 vcc_lo, v28, v28
	v_mov_b32_e32 v5, 0x7fc0
	s_mov_b32 s4, 0
	s_mov_b32 s10, -1
	v_add3_u32 v4, v28, v4, 0x7fff
	v_cndmask_b32_sdwa v4, v5, v4, vcc_lo dst_sel:DWORD dst_unused:UNUSED_PAD src0_sel:DWORD src1_sel:WORD_1
	global_store_short v[1:2], v4, off
.LBB21_702:
	s_mov_b32 s9, 0
.LBB21_703:
	s_and_b32 vcc_lo, exec_lo, s9
	s_mov_b32 s9, 0
	s_cbranch_vccz .LBB21_705
; %bb.704:
	s_cmp_lg_u32 s8, 11
	s_mov_b32 s9, -1
	s_cselect_b32 s4, -1, 0
.LBB21_705:
	s_and_b32 vcc_lo, exec_lo, s4
	s_cbranch_vccnz .LBB21_996
; %bb.706:
	s_andn2_b32 vcc_lo, exec_lo, s9
	s_cbranch_vccnz .LBB21_708
.LBB21_707:
	v_cmp_neq_f32_e32 vcc_lo, 0, v28
	s_mov_b32 s10, -1
	v_cndmask_b32_e64 v4, 0, 1, vcc_lo
	global_store_byte v[1:2], v4, off
.LBB21_708:
.LBB21_709:
	s_andn2_b32 vcc_lo, exec_lo, s10
	s_cbranch_vccz .LBB21_749
	s_branch .LBB21_943
.LBB21_710:
	s_mov_b32 s10, 0
	s_cbranch_execz .LBB21_709
; %bb.711:
	s_and_b32 s4, 0xffff, s5
	s_mov_b32 s8, -1
	s_cmp_lt_i32 s4, 5
	s_cbranch_scc1 .LBB21_732
; %bb.712:
	s_cmp_lt_i32 s4, 8
	s_cbranch_scc1 .LBB21_722
; %bb.713:
	;; [unrolled: 3-line block ×3, first 2 shown]
	s_cmp_gt_i32 s4, 9
	s_cbranch_scc0 .LBB21_716
; %bb.715:
	v_cvt_f64_f32_e32 v[4:5], v28
	v_mov_b32_e32 v6, 0
	s_mov_b32 s8, 0
	v_mov_b32_e32 v7, v6
	global_store_dwordx4 v[1:2], v[4:7], off
.LBB21_716:
	s_andn2_b32 vcc_lo, exec_lo, s8
	s_cbranch_vccnz .LBB21_718
; %bb.717:
	v_mov_b32_e32 v29, 0
	global_store_dwordx2 v[1:2], v[28:29], off
.LBB21_718:
	s_mov_b32 s8, 0
.LBB21_719:
	s_andn2_b32 vcc_lo, exec_lo, s8
	s_cbranch_vccnz .LBB21_721
; %bb.720:
	v_cvt_f16_f32_e32 v4, v28
	v_and_b32_e32 v4, 0xffff, v4
	global_store_dword v[1:2], v4, off
.LBB21_721:
	s_mov_b32 s8, 0
.LBB21_722:
	s_andn2_b32 vcc_lo, exec_lo, s8
	s_cbranch_vccnz .LBB21_731
; %bb.723:
	s_cmp_lt_i32 s4, 6
	s_mov_b32 s8, -1
	s_cbranch_scc1 .LBB21_729
; %bb.724:
	s_cmp_gt_i32 s4, 6
	s_cbranch_scc0 .LBB21_726
; %bb.725:
	v_cvt_f64_f32_e32 v[4:5], v28
	s_mov_b32 s8, 0
	global_store_dwordx2 v[1:2], v[4:5], off
.LBB21_726:
	s_andn2_b32 vcc_lo, exec_lo, s8
	s_cbranch_vccnz .LBB21_728
; %bb.727:
	global_store_dword v[1:2], v28, off
.LBB21_728:
	s_mov_b32 s8, 0
.LBB21_729:
	s_andn2_b32 vcc_lo, exec_lo, s8
	s_cbranch_vccnz .LBB21_731
; %bb.730:
	v_cvt_f16_f32_e32 v4, v28
	global_store_short v[1:2], v4, off
.LBB21_731:
	s_mov_b32 s8, 0
.LBB21_732:
	s_andn2_b32 vcc_lo, exec_lo, s8
	s_cbranch_vccnz .LBB21_748
; %bb.733:
	s_cmp_lt_i32 s4, 2
	s_mov_b32 s8, -1
	s_cbranch_scc1 .LBB21_743
; %bb.734:
	s_cmp_lt_i32 s4, 3
	s_cbranch_scc1 .LBB21_740
; %bb.735:
	s_cmp_gt_i32 s4, 3
	s_cbranch_scc0 .LBB21_737
; %bb.736:
	v_trunc_f32_e32 v4, v28
	s_mov_b32 s8, 0
	v_mul_f32_e64 v5, 0x2f800000, |v4|
	v_ashrrev_i32_e32 v7, 31, v4
	v_floor_f32_e32 v5, v5
	v_fma_f32 v6, 0xcf800000, v5, |v4|
	v_cvt_u32_f32_e32 v5, v5
	v_cvt_u32_f32_e32 v4, v6
	v_xor_b32_e32 v5, v5, v7
	v_xor_b32_e32 v4, v4, v7
	v_sub_co_u32 v4, vcc_lo, v4, v7
	v_sub_co_ci_u32_e64 v5, null, v5, v7, vcc_lo
	global_store_dwordx2 v[1:2], v[4:5], off
.LBB21_737:
	s_andn2_b32 vcc_lo, exec_lo, s8
	s_cbranch_vccnz .LBB21_739
; %bb.738:
	v_cvt_i32_f32_e32 v4, v28
	global_store_dword v[1:2], v4, off
.LBB21_739:
	s_mov_b32 s8, 0
.LBB21_740:
	s_andn2_b32 vcc_lo, exec_lo, s8
	s_cbranch_vccnz .LBB21_742
; %bb.741:
	v_cvt_i32_f32_e32 v4, v28
	global_store_short v[1:2], v4, off
.LBB21_742:
	s_mov_b32 s8, 0
.LBB21_743:
	s_andn2_b32 vcc_lo, exec_lo, s8
	s_cbranch_vccnz .LBB21_748
; %bb.744:
	s_cmp_gt_i32 s4, 0
	s_mov_b32 s4, -1
	s_cbranch_scc0 .LBB21_746
; %bb.745:
	v_cvt_i32_f32_e32 v4, v28
	s_mov_b32 s4, 0
	global_store_byte v[1:2], v4, off
.LBB21_746:
	s_andn2_b32 vcc_lo, exec_lo, s4
	s_cbranch_vccnz .LBB21_748
; %bb.747:
	v_trunc_f32_e32 v4, v28
	v_mul_f32_e64 v5, 0x2f800000, |v4|
	v_floor_f32_e32 v5, v5
	v_fma_f32 v5, 0xcf800000, v5, |v4|
	v_ashrrev_i32_e32 v4, 31, v4
	v_cvt_u32_f32_e32 v5, v5
	v_xor_b32_e32 v5, v5, v4
	v_sub_nc_u32_e32 v4, v5, v4
	global_store_byte v[1:2], v4, off
.LBB21_748:
.LBB21_749:
	v_add_nc_u32_e32 v3, s7, v3
	s_cmp_lt_i32 s5, 11
	v_ashrrev_i32_e32 v2, 31, v3
	v_add_co_u32 v1, vcc_lo, s16, v3
	v_add_co_ci_u32_e64 v2, null, s17, v2, vcc_lo
	s_cbranch_scc1 .LBB21_904
; %bb.750:
	s_and_b32 s8, 0xffff, s5
	s_mov_b32 s11, -1
	s_mov_b32 s9, 0
	s_cmp_gt_i32 s8, 25
	s_mov_b32 s10, 0
	s_mov_b32 s4, 0
	s_cbranch_scc0 .LBB21_783
; %bb.751:
	s_cmp_gt_i32 s8, 28
	s_cbranch_scc0 .LBB21_766
; %bb.752:
	s_cmp_gt_i32 s8, 43
	s_cbranch_scc0 .LBB21_762
; %bb.753:
	s_cmp_gt_i32 s8, 45
	s_cbranch_scc0 .LBB21_756
; %bb.754:
	s_mov_b32 s4, -1
	s_mov_b32 s11, 0
	s_cmp_eq_u32 s8, 46
	s_cbranch_scc0 .LBB21_756
; %bb.755:
	v_bfe_u32 v4, v27, 16, 1
	v_cmp_o_f32_e32 vcc_lo, v27, v27
	v_mov_b32_e32 v5, 0x7fc0
	s_mov_b32 s4, 0
	s_mov_b32 s10, -1
	v_add3_u32 v4, v27, v4, 0x7fff
	v_cndmask_b32_sdwa v4, v5, v4, vcc_lo dst_sel:DWORD dst_unused:UNUSED_PAD src0_sel:DWORD src1_sel:WORD_1
	global_store_dword v[1:2], v4, off
.LBB21_756:
	s_and_b32 vcc_lo, exec_lo, s11
	s_cbranch_vccz .LBB21_761
; %bb.757:
	s_cmp_eq_u32 s8, 44
	s_mov_b32 s4, -1
	s_cbranch_scc0 .LBB21_761
; %bb.758:
	v_bfe_u32 v5, v27, 23, 8
	v_mov_b32_e32 v4, 0xff
	s_mov_b32 s10, exec_lo
	v_cmpx_ne_u32_e32 0xff, v5
	s_cbranch_execz .LBB21_760
; %bb.759:
	v_and_b32_e32 v4, 0x400000, v27
	v_and_or_b32 v5, 0x3fffff, v27, v5
	v_cmp_ne_u32_e32 vcc_lo, 0, v4
	v_cmp_ne_u32_e64 s4, 0, v5
	v_lshrrev_b32_e32 v4, 23, v27
	s_and_b32 s4, vcc_lo, s4
	v_cndmask_b32_e64 v5, 0, 1, s4
	v_add_nc_u32_e32 v4, v4, v5
.LBB21_760:
	s_or_b32 exec_lo, exec_lo, s10
	s_mov_b32 s4, 0
	s_mov_b32 s10, -1
	global_store_byte v[1:2], v4, off
.LBB21_761:
	s_mov_b32 s11, 0
.LBB21_762:
	s_and_b32 vcc_lo, exec_lo, s11
	s_cbranch_vccz .LBB21_765
; %bb.763:
	s_cmp_eq_u32 s8, 29
	s_mov_b32 s4, -1
	s_cbranch_scc0 .LBB21_765
; %bb.764:
	v_trunc_f32_e32 v4, v27
	s_mov_b32 s4, 0
	s_mov_b32 s10, -1
	v_mul_f32_e32 v5, 0x2f800000, v4
	v_floor_f32_e32 v5, v5
	v_fmamk_f32 v4, v5, 0xcf800000, v4
	v_cvt_u32_f32_e32 v5, v5
	v_cvt_u32_f32_e32 v4, v4
	global_store_dwordx2 v[1:2], v[4:5], off
.LBB21_765:
	s_mov_b32 s11, 0
.LBB21_766:
	s_and_b32 vcc_lo, exec_lo, s11
	s_cbranch_vccz .LBB21_782
; %bb.767:
	s_cmp_lt_i32 s8, 27
	s_mov_b32 s10, -1
	s_cbranch_scc1 .LBB21_773
; %bb.768:
	v_cvt_u32_f32_e32 v4, v27
	s_cmp_gt_i32 s8, 27
	s_cbranch_scc0 .LBB21_770
; %bb.769:
	s_mov_b32 s10, 0
	global_store_dword v[1:2], v4, off
.LBB21_770:
	s_andn2_b32 vcc_lo, exec_lo, s10
	s_cbranch_vccnz .LBB21_772
; %bb.771:
	global_store_short v[1:2], v4, off
.LBB21_772:
	s_mov_b32 s10, 0
.LBB21_773:
	s_andn2_b32 vcc_lo, exec_lo, s10
	s_cbranch_vccnz .LBB21_781
; %bb.774:
	v_and_b32_e32 v4, 0x7fffffff, v27
	v_mov_b32_e32 v5, 0x80
	s_mov_b32 s10, exec_lo
	v_cmpx_gt_u32_e32 0x43800000, v4
	s_cbranch_execz .LBB21_780
; %bb.775:
	v_cmp_lt_u32_e32 vcc_lo, 0x3bffffff, v4
	s_mov_b32 s11, 0
                                        ; implicit-def: $vgpr4
	s_and_saveexec_b32 s12, vcc_lo
	s_xor_b32 s12, exec_lo, s12
	s_cbranch_execz .LBB21_999
; %bb.776:
	v_bfe_u32 v4, v27, 20, 1
	s_mov_b32 s11, exec_lo
	v_add3_u32 v4, v27, v4, 0x487ffff
	v_lshrrev_b32_e32 v4, 20, v4
	s_andn2_saveexec_b32 s12, s12
	s_cbranch_execnz .LBB21_1000
.LBB21_777:
	s_or_b32 exec_lo, exec_lo, s12
	v_mov_b32_e32 v5, 0
	s_and_saveexec_b32 s12, s11
.LBB21_778:
	v_lshrrev_b32_e32 v5, 24, v27
	v_and_or_b32 v5, 0x80, v5, v4
.LBB21_779:
	s_or_b32 exec_lo, exec_lo, s12
.LBB21_780:
	s_or_b32 exec_lo, exec_lo, s10
	global_store_byte v[1:2], v5, off
.LBB21_781:
	s_mov_b32 s10, -1
.LBB21_782:
	s_mov_b32 s11, 0
.LBB21_783:
	s_and_b32 vcc_lo, exec_lo, s11
	s_cbranch_vccz .LBB21_823
; %bb.784:
	s_cmp_gt_i32 s8, 22
	s_mov_b32 s9, -1
	s_cbranch_scc0 .LBB21_816
; %bb.785:
	s_cmp_lt_i32 s8, 24
	s_cbranch_scc1 .LBB21_805
; %bb.786:
	s_cmp_gt_i32 s8, 24
	s_cbranch_scc0 .LBB21_794
; %bb.787:
	v_and_b32_e32 v4, 0x7fffffff, v27
	v_mov_b32_e32 v5, 0x80
	s_mov_b32 s9, exec_lo
	v_cmpx_gt_u32_e32 0x47800000, v4
	s_cbranch_execz .LBB21_793
; %bb.788:
	v_cmp_lt_u32_e32 vcc_lo, 0x37ffffff, v4
	s_mov_b32 s10, 0
                                        ; implicit-def: $vgpr4
	s_and_saveexec_b32 s11, vcc_lo
	s_xor_b32 s11, exec_lo, s11
	s_cbranch_execz .LBB21_1002
; %bb.789:
	v_bfe_u32 v4, v27, 21, 1
	s_mov_b32 s10, exec_lo
	v_add3_u32 v4, v27, v4, 0x88fffff
	v_lshrrev_b32_e32 v4, 21, v4
	s_andn2_saveexec_b32 s11, s11
	s_cbranch_execnz .LBB21_1003
.LBB21_790:
	s_or_b32 exec_lo, exec_lo, s11
	v_mov_b32_e32 v5, 0
	s_and_saveexec_b32 s11, s10
.LBB21_791:
	v_lshrrev_b32_e32 v5, 24, v27
	v_and_or_b32 v5, 0x80, v5, v4
.LBB21_792:
	s_or_b32 exec_lo, exec_lo, s11
.LBB21_793:
	s_or_b32 exec_lo, exec_lo, s9
	s_mov_b32 s9, 0
	global_store_byte v[1:2], v5, off
.LBB21_794:
	s_and_b32 vcc_lo, exec_lo, s9
	s_cbranch_vccz .LBB21_804
; %bb.795:
	v_and_b32_e32 v5, 0x7fffffff, v27
	s_mov_b32 s9, exec_lo
                                        ; implicit-def: $vgpr4
	v_cmpx_gt_u32_e32 0x43f00000, v5
	s_xor_b32 s9, exec_lo, s9
	s_cbranch_execz .LBB21_801
; %bb.796:
	s_mov_b32 s10, exec_lo
                                        ; implicit-def: $vgpr4
	v_cmpx_lt_u32_e32 0x3c7fffff, v5
	s_xor_b32 s10, exec_lo, s10
; %bb.797:
	v_bfe_u32 v4, v27, 20, 1
	v_add3_u32 v4, v27, v4, 0x407ffff
	v_and_b32_e32 v5, 0xff00000, v4
	v_lshrrev_b32_e32 v4, 20, v4
	v_cmp_ne_u32_e32 vcc_lo, 0x7f00000, v5
	v_cndmask_b32_e32 v4, 0x7e, v4, vcc_lo
; %bb.798:
	s_andn2_saveexec_b32 s10, s10
; %bb.799:
	v_add_f32_e64 v4, 0x46800000, |v27|
; %bb.800:
	s_or_b32 exec_lo, exec_lo, s10
                                        ; implicit-def: $vgpr5
.LBB21_801:
	s_andn2_saveexec_b32 s9, s9
; %bb.802:
	v_mov_b32_e32 v4, 0x7f
	v_cmp_lt_u32_e32 vcc_lo, 0x7f800000, v5
	v_cndmask_b32_e32 v4, 0x7e, v4, vcc_lo
; %bb.803:
	s_or_b32 exec_lo, exec_lo, s9
	v_lshrrev_b32_e32 v5, 24, v27
	v_and_or_b32 v4, 0x80, v5, v4
	global_store_byte v[1:2], v4, off
.LBB21_804:
	s_mov_b32 s9, 0
.LBB21_805:
	s_andn2_b32 vcc_lo, exec_lo, s9
	s_cbranch_vccnz .LBB21_815
; %bb.806:
	v_and_b32_e32 v5, 0x7fffffff, v27
	s_mov_b32 s9, exec_lo
                                        ; implicit-def: $vgpr4
	v_cmpx_gt_u32_e32 0x47800000, v5
	s_xor_b32 s9, exec_lo, s9
	s_cbranch_execz .LBB21_812
; %bb.807:
	s_mov_b32 s10, exec_lo
                                        ; implicit-def: $vgpr4
	v_cmpx_lt_u32_e32 0x387fffff, v5
	s_xor_b32 s10, exec_lo, s10
; %bb.808:
	v_bfe_u32 v4, v27, 21, 1
	v_add3_u32 v4, v27, v4, 0x80fffff
	v_lshrrev_b32_e32 v4, 21, v4
; %bb.809:
	s_andn2_saveexec_b32 s10, s10
; %bb.810:
	v_add_f32_e64 v4, 0x43000000, |v27|
; %bb.811:
	s_or_b32 exec_lo, exec_lo, s10
                                        ; implicit-def: $vgpr5
.LBB21_812:
	s_andn2_saveexec_b32 s9, s9
; %bb.813:
	v_mov_b32_e32 v4, 0x7f
	v_cmp_lt_u32_e32 vcc_lo, 0x7f800000, v5
	v_cndmask_b32_e32 v4, 0x7c, v4, vcc_lo
; %bb.814:
	s_or_b32 exec_lo, exec_lo, s9
	v_lshrrev_b32_e32 v5, 24, v27
	v_and_or_b32 v4, 0x80, v5, v4
	global_store_byte v[1:2], v4, off
.LBB21_815:
	s_mov_b32 s9, 0
	s_mov_b32 s10, -1
.LBB21_816:
	s_andn2_b32 vcc_lo, exec_lo, s9
	s_mov_b32 s9, 0
	s_cbranch_vccnz .LBB21_823
; %bb.817:
	s_cmp_gt_i32 s8, 14
	s_mov_b32 s9, -1
	s_cbranch_scc0 .LBB21_821
; %bb.818:
	s_cmp_eq_u32 s8, 15
	s_mov_b32 s4, -1
	s_cbranch_scc0 .LBB21_820
; %bb.819:
	v_bfe_u32 v4, v27, 16, 1
	v_cmp_o_f32_e32 vcc_lo, v27, v27
	v_mov_b32_e32 v5, 0x7fc0
	s_mov_b32 s4, 0
	s_mov_b32 s10, -1
	v_add3_u32 v4, v27, v4, 0x7fff
	v_cndmask_b32_sdwa v4, v5, v4, vcc_lo dst_sel:DWORD dst_unused:UNUSED_PAD src0_sel:DWORD src1_sel:WORD_1
	global_store_short v[1:2], v4, off
.LBB21_820:
	s_mov_b32 s9, 0
.LBB21_821:
	s_and_b32 vcc_lo, exec_lo, s9
	s_mov_b32 s9, 0
	s_cbranch_vccz .LBB21_823
; %bb.822:
	s_cmp_lg_u32 s8, 11
	s_mov_b32 s9, -1
	s_cselect_b32 s4, -1, 0
.LBB21_823:
	s_and_b32 vcc_lo, exec_lo, s4
	s_cbranch_vccnz .LBB21_1001
; %bb.824:
	s_andn2_b32 vcc_lo, exec_lo, s9
	s_cbranch_vccnz .LBB21_826
.LBB21_825:
	v_cmp_neq_f32_e32 vcc_lo, 0, v27
	s_mov_b32 s10, -1
	v_cndmask_b32_e64 v4, 0, 1, vcc_lo
	global_store_byte v[1:2], v4, off
.LBB21_826:
.LBB21_827:
	s_andn2_b32 vcc_lo, exec_lo, s10
	s_cbranch_vccnz .LBB21_943
.LBB21_828:
	v_add_nc_u32_e32 v1, s7, v3
	s_cmp_lt_i32 s5, 11
	v_ashrrev_i32_e32 v3, 31, v1
	v_add_co_u32 v2, vcc_lo, s16, v1
	v_add_co_ci_u32_e64 v3, null, s17, v3, vcc_lo
	s_cbranch_scc1 .LBB21_988
; %bb.829:
	s_and_b32 s7, 0xffff, s5
	s_mov_b32 s9, -1
	s_mov_b32 s8, 0
	s_cmp_gt_i32 s7, 25
	s_mov_b32 s4, 0
	s_cbranch_scc0 .LBB21_862
; %bb.830:
	s_cmp_gt_i32 s7, 28
	s_cbranch_scc0 .LBB21_846
; %bb.831:
	s_cmp_gt_i32 s7, 43
	;; [unrolled: 3-line block ×3, first 2 shown]
	s_cbranch_scc0 .LBB21_836
; %bb.833:
	s_cmp_eq_u32 s7, 46
	s_mov_b32 s4, -1
	s_cbranch_scc0 .LBB21_835
; %bb.834:
	v_bfe_u32 v1, v0, 16, 1
	v_cmp_o_f32_e32 vcc_lo, v0, v0
	v_mov_b32_e32 v4, 0x7fc0
	s_mov_b32 s4, 0
	v_add3_u32 v1, v0, v1, 0x7fff
	v_cndmask_b32_sdwa v1, v4, v1, vcc_lo dst_sel:DWORD dst_unused:UNUSED_PAD src0_sel:DWORD src1_sel:WORD_1
	global_store_dword v[2:3], v1, off
.LBB21_835:
	s_mov_b32 s9, 0
.LBB21_836:
	s_and_b32 vcc_lo, exec_lo, s9
	s_cbranch_vccz .LBB21_841
; %bb.837:
	s_cmp_eq_u32 s7, 44
	s_mov_b32 s4, -1
	s_cbranch_scc0 .LBB21_841
; %bb.838:
	v_bfe_u32 v4, v0, 23, 8
	v_mov_b32_e32 v1, 0xff
	s_mov_b32 s9, exec_lo
	v_cmpx_ne_u32_e32 0xff, v4
	s_cbranch_execz .LBB21_840
; %bb.839:
	v_and_b32_e32 v1, 0x400000, v0
	v_and_or_b32 v4, 0x3fffff, v0, v4
	v_cmp_ne_u32_e32 vcc_lo, 0, v1
	v_cmp_ne_u32_e64 s4, 0, v4
	v_lshrrev_b32_e32 v1, 23, v0
	s_and_b32 s4, vcc_lo, s4
	v_cndmask_b32_e64 v4, 0, 1, s4
	v_add_nc_u32_e32 v1, v1, v4
.LBB21_840:
	s_or_b32 exec_lo, exec_lo, s9
	s_mov_b32 s4, 0
	global_store_byte v[2:3], v1, off
.LBB21_841:
	s_mov_b32 s9, 0
.LBB21_842:
	s_and_b32 vcc_lo, exec_lo, s9
	s_cbranch_vccz .LBB21_845
; %bb.843:
	s_cmp_eq_u32 s7, 29
	s_mov_b32 s4, -1
	s_cbranch_scc0 .LBB21_845
; %bb.844:
	v_trunc_f32_e32 v1, v0
	s_mov_b32 s4, 0
	v_mul_f32_e32 v4, 0x2f800000, v1
	v_floor_f32_e32 v4, v4
	v_fmamk_f32 v1, v4, 0xcf800000, v1
	v_cvt_u32_f32_e32 v5, v4
	v_cvt_u32_f32_e32 v4, v1
	global_store_dwordx2 v[2:3], v[4:5], off
.LBB21_845:
	s_mov_b32 s9, 0
.LBB21_846:
	s_and_b32 vcc_lo, exec_lo, s9
	s_cbranch_vccz .LBB21_861
; %bb.847:
	s_cmp_lt_i32 s7, 27
	s_mov_b32 s9, -1
	s_cbranch_scc1 .LBB21_853
; %bb.848:
	v_cvt_u32_f32_e32 v1, v0
	s_cmp_gt_i32 s7, 27
	s_cbranch_scc0 .LBB21_850
; %bb.849:
	s_mov_b32 s9, 0
	global_store_dword v[2:3], v1, off
.LBB21_850:
	s_andn2_b32 vcc_lo, exec_lo, s9
	s_cbranch_vccnz .LBB21_852
; %bb.851:
	global_store_short v[2:3], v1, off
.LBB21_852:
	s_mov_b32 s9, 0
.LBB21_853:
	s_andn2_b32 vcc_lo, exec_lo, s9
	s_cbranch_vccnz .LBB21_861
; %bb.854:
	v_and_b32_e32 v1, 0x7fffffff, v0
	v_mov_b32_e32 v4, 0x80
	s_mov_b32 s9, exec_lo
	v_cmpx_gt_u32_e32 0x43800000, v1
	s_cbranch_execz .LBB21_860
; %bb.855:
	v_cmp_lt_u32_e32 vcc_lo, 0x3bffffff, v1
	s_mov_b32 s10, 0
                                        ; implicit-def: $vgpr1
	s_and_saveexec_b32 s11, vcc_lo
	s_xor_b32 s11, exec_lo, s11
	s_cbranch_execz .LBB21_1004
; %bb.856:
	v_bfe_u32 v1, v0, 20, 1
	s_mov_b32 s10, exec_lo
	v_add3_u32 v1, v0, v1, 0x487ffff
	v_lshrrev_b32_e32 v1, 20, v1
	s_andn2_saveexec_b32 s11, s11
	s_cbranch_execnz .LBB21_1005
.LBB21_857:
	s_or_b32 exec_lo, exec_lo, s11
	v_mov_b32_e32 v4, 0
	s_and_saveexec_b32 s11, s10
.LBB21_858:
	v_lshrrev_b32_e32 v4, 24, v0
	v_and_or_b32 v4, 0x80, v4, v1
.LBB21_859:
	s_or_b32 exec_lo, exec_lo, s11
.LBB21_860:
	s_or_b32 exec_lo, exec_lo, s9
	global_store_byte v[2:3], v4, off
.LBB21_861:
	s_mov_b32 s9, 0
.LBB21_862:
	s_and_b32 vcc_lo, exec_lo, s9
	s_cbranch_vccz .LBB21_902
; %bb.863:
	s_cmp_gt_i32 s7, 22
	s_mov_b32 s8, -1
	s_cbranch_scc0 .LBB21_895
; %bb.864:
	s_cmp_lt_i32 s7, 24
	s_cbranch_scc1 .LBB21_884
; %bb.865:
	s_cmp_gt_i32 s7, 24
	s_cbranch_scc0 .LBB21_873
; %bb.866:
	v_and_b32_e32 v1, 0x7fffffff, v0
	v_mov_b32_e32 v4, 0x80
	s_mov_b32 s8, exec_lo
	v_cmpx_gt_u32_e32 0x47800000, v1
	s_cbranch_execz .LBB21_872
; %bb.867:
	v_cmp_lt_u32_e32 vcc_lo, 0x37ffffff, v1
	s_mov_b32 s9, 0
                                        ; implicit-def: $vgpr1
	s_and_saveexec_b32 s10, vcc_lo
	s_xor_b32 s10, exec_lo, s10
	s_cbranch_execz .LBB21_1009
; %bb.868:
	v_bfe_u32 v1, v0, 21, 1
	s_mov_b32 s9, exec_lo
	v_add3_u32 v1, v0, v1, 0x88fffff
	v_lshrrev_b32_e32 v1, 21, v1
	s_andn2_saveexec_b32 s10, s10
	s_cbranch_execnz .LBB21_1010
.LBB21_869:
	s_or_b32 exec_lo, exec_lo, s10
	v_mov_b32_e32 v4, 0
	s_and_saveexec_b32 s10, s9
.LBB21_870:
	v_lshrrev_b32_e32 v4, 24, v0
	v_and_or_b32 v4, 0x80, v4, v1
.LBB21_871:
	s_or_b32 exec_lo, exec_lo, s10
.LBB21_872:
	s_or_b32 exec_lo, exec_lo, s8
	s_mov_b32 s8, 0
	global_store_byte v[2:3], v4, off
.LBB21_873:
	s_and_b32 vcc_lo, exec_lo, s8
	s_cbranch_vccz .LBB21_883
; %bb.874:
	v_and_b32_e32 v4, 0x7fffffff, v0
	s_mov_b32 s8, exec_lo
                                        ; implicit-def: $vgpr1
	v_cmpx_gt_u32_e32 0x43f00000, v4
	s_xor_b32 s8, exec_lo, s8
	s_cbranch_execz .LBB21_880
; %bb.875:
	s_mov_b32 s9, exec_lo
                                        ; implicit-def: $vgpr1
	v_cmpx_lt_u32_e32 0x3c7fffff, v4
	s_xor_b32 s9, exec_lo, s9
; %bb.876:
	v_bfe_u32 v1, v0, 20, 1
	v_add3_u32 v1, v0, v1, 0x407ffff
	v_and_b32_e32 v4, 0xff00000, v1
	v_lshrrev_b32_e32 v1, 20, v1
	v_cmp_ne_u32_e32 vcc_lo, 0x7f00000, v4
	v_cndmask_b32_e32 v1, 0x7e, v1, vcc_lo
; %bb.877:
	s_andn2_saveexec_b32 s9, s9
; %bb.878:
	v_add_f32_e64 v1, 0x46800000, |v0|
; %bb.879:
	s_or_b32 exec_lo, exec_lo, s9
                                        ; implicit-def: $vgpr4
.LBB21_880:
	s_andn2_saveexec_b32 s8, s8
; %bb.881:
	v_mov_b32_e32 v1, 0x7f
	v_cmp_lt_u32_e32 vcc_lo, 0x7f800000, v4
	v_cndmask_b32_e32 v1, 0x7e, v1, vcc_lo
; %bb.882:
	s_or_b32 exec_lo, exec_lo, s8
	v_lshrrev_b32_e32 v4, 24, v0
	v_and_or_b32 v1, 0x80, v4, v1
	global_store_byte v[2:3], v1, off
.LBB21_883:
	s_mov_b32 s8, 0
.LBB21_884:
	s_andn2_b32 vcc_lo, exec_lo, s8
	s_cbranch_vccnz .LBB21_894
; %bb.885:
	v_and_b32_e32 v4, 0x7fffffff, v0
	s_mov_b32 s8, exec_lo
                                        ; implicit-def: $vgpr1
	v_cmpx_gt_u32_e32 0x47800000, v4
	s_xor_b32 s8, exec_lo, s8
	s_cbranch_execz .LBB21_891
; %bb.886:
	s_mov_b32 s9, exec_lo
                                        ; implicit-def: $vgpr1
	v_cmpx_lt_u32_e32 0x387fffff, v4
	s_xor_b32 s9, exec_lo, s9
; %bb.887:
	v_bfe_u32 v1, v0, 21, 1
	v_add3_u32 v1, v0, v1, 0x80fffff
	v_lshrrev_b32_e32 v1, 21, v1
; %bb.888:
	s_andn2_saveexec_b32 s9, s9
; %bb.889:
	v_add_f32_e64 v1, 0x43000000, |v0|
; %bb.890:
	s_or_b32 exec_lo, exec_lo, s9
                                        ; implicit-def: $vgpr4
.LBB21_891:
	s_andn2_saveexec_b32 s8, s8
; %bb.892:
	v_mov_b32_e32 v1, 0x7f
	v_cmp_lt_u32_e32 vcc_lo, 0x7f800000, v4
	v_cndmask_b32_e32 v1, 0x7c, v1, vcc_lo
; %bb.893:
	s_or_b32 exec_lo, exec_lo, s8
	v_lshrrev_b32_e32 v4, 24, v0
	v_and_or_b32 v1, 0x80, v4, v1
	global_store_byte v[2:3], v1, off
.LBB21_894:
	s_mov_b32 s8, 0
.LBB21_895:
	s_andn2_b32 vcc_lo, exec_lo, s8
	s_mov_b32 s8, 0
	s_cbranch_vccnz .LBB21_902
; %bb.896:
	s_cmp_gt_i32 s7, 14
	s_mov_b32 s8, -1
	s_cbranch_scc0 .LBB21_900
; %bb.897:
	s_cmp_eq_u32 s7, 15
	s_mov_b32 s4, -1
	s_cbranch_scc0 .LBB21_899
; %bb.898:
	v_bfe_u32 v1, v0, 16, 1
	v_cmp_o_f32_e32 vcc_lo, v0, v0
	v_mov_b32_e32 v4, 0x7fc0
	s_mov_b32 s4, 0
	v_add3_u32 v1, v0, v1, 0x7fff
	v_cndmask_b32_sdwa v1, v4, v1, vcc_lo dst_sel:DWORD dst_unused:UNUSED_PAD src0_sel:DWORD src1_sel:WORD_1
	global_store_short v[2:3], v1, off
.LBB21_899:
	s_mov_b32 s8, 0
.LBB21_900:
	s_and_b32 vcc_lo, exec_lo, s8
	s_mov_b32 s8, 0
	s_cbranch_vccz .LBB21_902
; %bb.901:
	s_cmp_lg_u32 s7, 11
	s_mov_b32 s8, -1
	s_cselect_b32 s4, -1, 0
.LBB21_902:
	s_and_b32 vcc_lo, exec_lo, s4
	s_cbranch_vccnz .LBB21_1006
.LBB21_903:
	s_mov_b32 s4, 0
	s_branch .LBB21_944
.LBB21_904:
	s_mov_b32 s10, 0
	s_cbranch_execz .LBB21_827
; %bb.905:
	s_and_b32 s4, 0xffff, s5
	s_mov_b32 s8, -1
	s_cmp_lt_i32 s4, 5
	s_cbranch_scc1 .LBB21_926
; %bb.906:
	s_cmp_lt_i32 s4, 8
	s_cbranch_scc1 .LBB21_916
; %bb.907:
	s_cmp_lt_i32 s4, 9
	s_cbranch_scc1 .LBB21_913
; %bb.908:
	s_cmp_gt_i32 s4, 9
	s_cbranch_scc0 .LBB21_910
; %bb.909:
	v_cvt_f64_f32_e32 v[4:5], v27
	v_mov_b32_e32 v6, 0
	s_mov_b32 s8, 0
	v_mov_b32_e32 v7, v6
	global_store_dwordx4 v[1:2], v[4:7], off
.LBB21_910:
	s_andn2_b32 vcc_lo, exec_lo, s8
	s_cbranch_vccnz .LBB21_912
; %bb.911:
	v_mov_b32_e32 v28, 0
	global_store_dwordx2 v[1:2], v[27:28], off
.LBB21_912:
	s_mov_b32 s8, 0
.LBB21_913:
	s_andn2_b32 vcc_lo, exec_lo, s8
	s_cbranch_vccnz .LBB21_915
; %bb.914:
	v_cvt_f16_f32_e32 v4, v27
	v_and_b32_e32 v4, 0xffff, v4
	global_store_dword v[1:2], v4, off
.LBB21_915:
	s_mov_b32 s8, 0
.LBB21_916:
	s_andn2_b32 vcc_lo, exec_lo, s8
	s_cbranch_vccnz .LBB21_925
; %bb.917:
	s_cmp_lt_i32 s4, 6
	s_mov_b32 s8, -1
	s_cbranch_scc1 .LBB21_923
; %bb.918:
	s_cmp_gt_i32 s4, 6
	s_cbranch_scc0 .LBB21_920
; %bb.919:
	v_cvt_f64_f32_e32 v[4:5], v27
	s_mov_b32 s8, 0
	global_store_dwordx2 v[1:2], v[4:5], off
.LBB21_920:
	s_andn2_b32 vcc_lo, exec_lo, s8
	s_cbranch_vccnz .LBB21_922
; %bb.921:
	global_store_dword v[1:2], v27, off
.LBB21_922:
	s_mov_b32 s8, 0
.LBB21_923:
	s_andn2_b32 vcc_lo, exec_lo, s8
	s_cbranch_vccnz .LBB21_925
; %bb.924:
	v_cvt_f16_f32_e32 v4, v27
	global_store_short v[1:2], v4, off
.LBB21_925:
	s_mov_b32 s8, 0
.LBB21_926:
	s_andn2_b32 vcc_lo, exec_lo, s8
	s_cbranch_vccnz .LBB21_942
; %bb.927:
	s_cmp_lt_i32 s4, 2
	s_mov_b32 s8, -1
	s_cbranch_scc1 .LBB21_937
; %bb.928:
	s_cmp_lt_i32 s4, 3
	s_cbranch_scc1 .LBB21_934
; %bb.929:
	s_cmp_gt_i32 s4, 3
	s_cbranch_scc0 .LBB21_931
; %bb.930:
	v_trunc_f32_e32 v4, v27
	s_mov_b32 s8, 0
	v_mul_f32_e64 v5, 0x2f800000, |v4|
	v_ashrrev_i32_e32 v7, 31, v4
	v_floor_f32_e32 v5, v5
	v_fma_f32 v6, 0xcf800000, v5, |v4|
	v_cvt_u32_f32_e32 v5, v5
	v_cvt_u32_f32_e32 v4, v6
	v_xor_b32_e32 v5, v5, v7
	v_xor_b32_e32 v4, v4, v7
	v_sub_co_u32 v4, vcc_lo, v4, v7
	v_sub_co_ci_u32_e64 v5, null, v5, v7, vcc_lo
	global_store_dwordx2 v[1:2], v[4:5], off
.LBB21_931:
	s_andn2_b32 vcc_lo, exec_lo, s8
	s_cbranch_vccnz .LBB21_933
; %bb.932:
	v_cvt_i32_f32_e32 v4, v27
	global_store_dword v[1:2], v4, off
.LBB21_933:
	s_mov_b32 s8, 0
.LBB21_934:
	s_andn2_b32 vcc_lo, exec_lo, s8
	s_cbranch_vccnz .LBB21_936
; %bb.935:
	v_cvt_i32_f32_e32 v4, v27
	global_store_short v[1:2], v4, off
.LBB21_936:
	s_mov_b32 s8, 0
.LBB21_937:
	s_andn2_b32 vcc_lo, exec_lo, s8
	s_cbranch_vccnz .LBB21_942
; %bb.938:
	s_cmp_gt_i32 s4, 0
	s_mov_b32 s4, -1
	s_cbranch_scc0 .LBB21_940
; %bb.939:
	v_cvt_i32_f32_e32 v4, v27
	s_mov_b32 s4, 0
	global_store_byte v[1:2], v4, off
.LBB21_940:
	s_andn2_b32 vcc_lo, exec_lo, s4
	s_cbranch_vccnz .LBB21_942
; %bb.941:
	v_trunc_f32_e32 v4, v27
	v_mul_f32_e64 v5, 0x2f800000, |v4|
	v_floor_f32_e32 v5, v5
	v_fma_f32 v5, 0xcf800000, v5, |v4|
	v_ashrrev_i32_e32 v4, 31, v4
	v_cvt_u32_f32_e32 v5, v5
	v_xor_b32_e32 v5, v5, v4
	v_sub_nc_u32_e32 v4, v5, v4
	global_store_byte v[1:2], v4, off
.LBB21_942:
	s_branch .LBB21_828
.LBB21_943:
	s_mov_b32 s4, 0
	s_mov_b32 s8, 0
                                        ; implicit-def: $sgpr5
                                        ; implicit-def: $vgpr2_vgpr3
.LBB21_944:
	s_andn2_b32 s7, s25, exec_lo
	s_and_b32 s6, s6, exec_lo
	s_and_b32 s4, s4, exec_lo
	;; [unrolled: 1-line block ×3, first 2 shown]
	s_or_b32 s25, s7, s6
.LBB21_945:
	s_or_b32 exec_lo, exec_lo, s24
	s_and_saveexec_b32 s6, s25
	s_cbranch_execz .LBB21_948
; %bb.946:
	; divergent unreachable
	s_or_b32 exec_lo, exec_lo, s6
	s_and_saveexec_b32 s6, s23
	s_xor_b32 s6, exec_lo, s6
	s_cbranch_execnz .LBB21_949
.LBB21_947:
	s_or_b32 exec_lo, exec_lo, s6
	s_and_saveexec_b32 s6, s4
	s_cbranch_execnz .LBB21_950
	s_branch .LBB21_987
.LBB21_948:
	s_or_b32 exec_lo, exec_lo, s6
	s_and_saveexec_b32 s6, s23
	s_xor_b32 s6, exec_lo, s6
	s_cbranch_execz .LBB21_947
.LBB21_949:
	v_cmp_neq_f32_e32 vcc_lo, 0, v0
	v_cndmask_b32_e64 v1, 0, 1, vcc_lo
	global_store_byte v[2:3], v1, off
	s_or_b32 exec_lo, exec_lo, s6
	s_and_saveexec_b32 s6, s4
	s_cbranch_execz .LBB21_987
.LBB21_950:
	s_sext_i32_i16 s6, s5
	s_mov_b32 s4, -1
	s_cmp_lt_i32 s6, 5
	s_cbranch_scc1 .LBB21_971
; %bb.951:
	s_cmp_lt_i32 s6, 8
	s_cbranch_scc1 .LBB21_961
; %bb.952:
	;; [unrolled: 3-line block ×3, first 2 shown]
	s_cmp_gt_i32 s6, 9
	s_cbranch_scc0 .LBB21_955
; %bb.954:
	v_cvt_f64_f32_e32 v[4:5], v0
	v_mov_b32_e32 v6, 0
	s_mov_b32 s4, 0
	v_mov_b32_e32 v7, v6
	global_store_dwordx4 v[2:3], v[4:7], off
.LBB21_955:
	s_andn2_b32 vcc_lo, exec_lo, s4
	s_cbranch_vccnz .LBB21_957
; %bb.956:
	v_mov_b32_e32 v1, 0
	global_store_dwordx2 v[2:3], v[0:1], off
.LBB21_957:
	s_mov_b32 s4, 0
.LBB21_958:
	s_andn2_b32 vcc_lo, exec_lo, s4
	s_cbranch_vccnz .LBB21_960
; %bb.959:
	v_cvt_f16_f32_e32 v1, v0
	v_and_b32_e32 v1, 0xffff, v1
	global_store_dword v[2:3], v1, off
.LBB21_960:
	s_mov_b32 s4, 0
.LBB21_961:
	s_andn2_b32 vcc_lo, exec_lo, s4
	s_cbranch_vccnz .LBB21_970
; %bb.962:
	s_sext_i32_i16 s6, s5
	s_mov_b32 s4, -1
	s_cmp_lt_i32 s6, 6
	s_cbranch_scc1 .LBB21_968
; %bb.963:
	s_cmp_gt_i32 s6, 6
	s_cbranch_scc0 .LBB21_965
; %bb.964:
	v_cvt_f64_f32_e32 v[4:5], v0
	s_mov_b32 s4, 0
	global_store_dwordx2 v[2:3], v[4:5], off
.LBB21_965:
	s_andn2_b32 vcc_lo, exec_lo, s4
	s_cbranch_vccnz .LBB21_967
; %bb.966:
	global_store_dword v[2:3], v0, off
.LBB21_967:
	s_mov_b32 s4, 0
.LBB21_968:
	s_andn2_b32 vcc_lo, exec_lo, s4
	s_cbranch_vccnz .LBB21_970
; %bb.969:
	v_cvt_f16_f32_e32 v1, v0
	global_store_short v[2:3], v1, off
.LBB21_970:
	s_mov_b32 s4, 0
.LBB21_971:
	s_andn2_b32 vcc_lo, exec_lo, s4
	s_cbranch_vccnz .LBB21_987
; %bb.972:
	s_sext_i32_i16 s6, s5
	s_mov_b32 s4, -1
	s_cmp_lt_i32 s6, 2
	s_cbranch_scc1 .LBB21_982
; %bb.973:
	s_cmp_lt_i32 s6, 3
	s_cbranch_scc1 .LBB21_979
; %bb.974:
	s_cmp_gt_i32 s6, 3
	s_cbranch_scc0 .LBB21_976
; %bb.975:
	v_trunc_f32_e32 v1, v0
	s_mov_b32 s4, 0
	v_mul_f32_e64 v4, 0x2f800000, |v1|
	v_floor_f32_e32 v4, v4
	v_fma_f32 v5, 0xcf800000, v4, |v1|
	v_ashrrev_i32_e32 v1, 31, v1
	v_cvt_u32_f32_e32 v4, v4
	v_cvt_u32_f32_e32 v5, v5
	v_xor_b32_e32 v6, v4, v1
	v_xor_b32_e32 v5, v5, v1
	v_sub_co_u32 v4, vcc_lo, v5, v1
	v_sub_co_ci_u32_e64 v5, null, v6, v1, vcc_lo
	global_store_dwordx2 v[2:3], v[4:5], off
.LBB21_976:
	s_andn2_b32 vcc_lo, exec_lo, s4
	s_cbranch_vccnz .LBB21_978
; %bb.977:
	v_cvt_i32_f32_e32 v1, v0
	global_store_dword v[2:3], v1, off
.LBB21_978:
	s_mov_b32 s4, 0
.LBB21_979:
	s_andn2_b32 vcc_lo, exec_lo, s4
	s_cbranch_vccnz .LBB21_981
; %bb.980:
	v_cvt_i32_f32_e32 v1, v0
	global_store_short v[2:3], v1, off
.LBB21_981:
	s_mov_b32 s4, 0
.LBB21_982:
	s_andn2_b32 vcc_lo, exec_lo, s4
	s_cbranch_vccnz .LBB21_987
; %bb.983:
	s_sext_i32_i16 s4, s5
	s_cmp_gt_i32 s4, 0
	s_mov_b32 s4, -1
	s_cbranch_scc0 .LBB21_985
; %bb.984:
	v_cvt_i32_f32_e32 v1, v0
	s_mov_b32 s4, 0
	global_store_byte v[2:3], v1, off
.LBB21_985:
	s_andn2_b32 vcc_lo, exec_lo, s4
	s_cbranch_vccnz .LBB21_987
; %bb.986:
	v_trunc_f32_e32 v0, v0
	v_mul_f32_e64 v1, 0x2f800000, |v0|
	v_floor_f32_e32 v1, v1
	v_fma_f32 v1, 0xcf800000, v1, |v0|
	v_ashrrev_i32_e32 v0, 31, v0
	v_cvt_u32_f32_e32 v1, v1
	v_xor_b32_e32 v1, v1, v0
	v_sub_nc_u32_e32 v0, v1, v0
	global_store_byte v[2:3], v0, off
	s_endpgm
.LBB21_987:
	s_endpgm
.LBB21_988:
	s_mov_b32 s8, 0
	s_mov_b32 s4, -1
	s_branch .LBB21_944
.LBB21_989:
	s_andn2_saveexec_b32 s10, s10
	s_cbranch_execz .LBB21_541
.LBB21_990:
	v_add_f32_e64 v4, 0x46000000, |v29|
	s_andn2_b32 s9, s9, exec_lo
	v_and_b32_e32 v4, 0xff, v4
	v_cmp_ne_u32_e32 vcc_lo, 0, v4
	s_and_b32 s11, vcc_lo, exec_lo
	s_or_b32 s9, s9, s11
	s_or_b32 exec_lo, exec_lo, s10
	v_mov_b32_e32 v5, 0
	s_and_saveexec_b32 s10, s9
	s_cbranch_execnz .LBB21_542
	s_branch .LBB21_543
.LBB21_991:
	s_or_b32 s6, s25, exec_lo
	s_trap 2
	s_cbranch_execz .LBB21_589
	s_branch .LBB21_590
.LBB21_992:
	s_andn2_saveexec_b32 s9, s9
	s_cbranch_execz .LBB21_554
.LBB21_993:
	v_add_f32_e64 v4, 0x42800000, |v29|
	s_andn2_b32 s8, s8, exec_lo
	v_and_b32_e32 v4, 0xff, v4
	v_cmp_ne_u32_e32 vcc_lo, 0, v4
	s_and_b32 s10, vcc_lo, exec_lo
	s_or_b32 s8, s8, s10
	s_or_b32 exec_lo, exec_lo, s9
	v_mov_b32_e32 v5, 0
	s_and_saveexec_b32 s9, s8
	s_cbranch_execnz .LBB21_555
	s_branch .LBB21_556
.LBB21_994:
	s_andn2_saveexec_b32 s12, s12
	s_cbranch_execz .LBB21_659
.LBB21_995:
	v_add_f32_e64 v4, 0x46000000, |v28|
	s_andn2_b32 s11, s11, exec_lo
	v_and_b32_e32 v4, 0xff, v4
	v_cmp_ne_u32_e32 vcc_lo, 0, v4
	s_and_b32 s13, vcc_lo, exec_lo
	s_or_b32 s11, s11, s13
	s_or_b32 exec_lo, exec_lo, s12
	v_mov_b32_e32 v5, 0
	s_and_saveexec_b32 s12, s11
	s_cbranch_execnz .LBB21_660
	s_branch .LBB21_661
.LBB21_996:
	s_or_b32 s6, s6, exec_lo
	s_trap 2
	s_cbranch_execz .LBB21_707
	s_branch .LBB21_708
.LBB21_997:
	s_andn2_saveexec_b32 s11, s11
	s_cbranch_execz .LBB21_672
.LBB21_998:
	v_add_f32_e64 v4, 0x42800000, |v28|
	s_andn2_b32 s10, s10, exec_lo
	v_and_b32_e32 v4, 0xff, v4
	v_cmp_ne_u32_e32 vcc_lo, 0, v4
	s_and_b32 s12, vcc_lo, exec_lo
	s_or_b32 s10, s10, s12
	s_or_b32 exec_lo, exec_lo, s11
	v_mov_b32_e32 v5, 0
	s_and_saveexec_b32 s11, s10
	s_cbranch_execnz .LBB21_673
	s_branch .LBB21_674
.LBB21_999:
	s_andn2_saveexec_b32 s12, s12
	s_cbranch_execz .LBB21_777
.LBB21_1000:
	v_add_f32_e64 v4, 0x46000000, |v27|
	s_andn2_b32 s11, s11, exec_lo
	v_and_b32_e32 v4, 0xff, v4
	v_cmp_ne_u32_e32 vcc_lo, 0, v4
	s_and_b32 s13, vcc_lo, exec_lo
	s_or_b32 s11, s11, s13
	s_or_b32 exec_lo, exec_lo, s12
	v_mov_b32_e32 v5, 0
	s_and_saveexec_b32 s12, s11
	s_cbranch_execnz .LBB21_778
	s_branch .LBB21_779
.LBB21_1001:
	s_or_b32 s6, s6, exec_lo
	s_trap 2
	s_cbranch_execz .LBB21_825
	s_branch .LBB21_826
.LBB21_1002:
	s_andn2_saveexec_b32 s11, s11
	s_cbranch_execz .LBB21_790
.LBB21_1003:
	v_add_f32_e64 v4, 0x42800000, |v27|
	s_andn2_b32 s10, s10, exec_lo
	v_and_b32_e32 v4, 0xff, v4
	v_cmp_ne_u32_e32 vcc_lo, 0, v4
	s_and_b32 s12, vcc_lo, exec_lo
	s_or_b32 s10, s10, s12
	s_or_b32 exec_lo, exec_lo, s11
	v_mov_b32_e32 v5, 0
	s_and_saveexec_b32 s11, s10
	s_cbranch_execnz .LBB21_791
	s_branch .LBB21_792
.LBB21_1004:
	s_andn2_saveexec_b32 s11, s11
	s_cbranch_execz .LBB21_857
.LBB21_1005:
	v_add_f32_e64 v1, 0x46000000, |v0|
	s_andn2_b32 s10, s10, exec_lo
	v_and_b32_e32 v1, 0xff, v1
	v_cmp_ne_u32_e32 vcc_lo, 0, v1
	s_and_b32 s12, vcc_lo, exec_lo
	s_or_b32 s10, s10, s12
	s_or_b32 exec_lo, exec_lo, s11
	v_mov_b32_e32 v4, 0
	s_and_saveexec_b32 s11, s10
	s_cbranch_execnz .LBB21_858
	s_branch .LBB21_859
.LBB21_1006:
	s_mov_b32 s8, 0
	s_or_b32 s6, s6, exec_lo
	s_trap 2
	s_branch .LBB21_903
.LBB21_1007:
	s_andn2_saveexec_b32 s9, s9
	s_cbranch_execz .LBB21_422
.LBB21_1008:
	v_add_f32_e64 v1, 0x46000000, |v0|
	s_andn2_b32 s8, s8, exec_lo
	v_and_b32_e32 v1, 0xff, v1
	v_cmp_ne_u32_e32 vcc_lo, 0, v1
	s_and_b32 s10, vcc_lo, exec_lo
	s_or_b32 s8, s8, s10
	s_or_b32 exec_lo, exec_lo, s9
	v_mov_b32_e32 v4, 0
	s_and_saveexec_b32 s9, s8
	s_cbranch_execnz .LBB21_423
	s_branch .LBB21_424
.LBB21_1009:
	s_andn2_saveexec_b32 s10, s10
	s_cbranch_execz .LBB21_869
.LBB21_1010:
	v_add_f32_e64 v1, 0x42800000, |v0|
	s_andn2_b32 s9, s9, exec_lo
	v_and_b32_e32 v1, 0xff, v1
	v_cmp_ne_u32_e32 vcc_lo, 0, v1
	s_and_b32 s11, vcc_lo, exec_lo
	s_or_b32 s9, s9, s11
	s_or_b32 exec_lo, exec_lo, s10
	v_mov_b32_e32 v4, 0
	s_and_saveexec_b32 s10, s9
	s_cbranch_execnz .LBB21_870
	s_branch .LBB21_871
.LBB21_1011:
	s_andn2_saveexec_b32 s10, s10
	s_cbranch_execz .LBB21_434
.LBB21_1012:
	v_add_f32_e64 v1, 0x42800000, |v0|
	s_andn2_b32 s9, s9, exec_lo
	v_and_b32_e32 v1, 0xff, v1
	v_cmp_ne_u32_e32 vcc_lo, 0, v1
	s_and_b32 s11, vcc_lo, exec_lo
	s_or_b32 s9, s9, s11
	s_or_b32 exec_lo, exec_lo, s10
	v_mov_b32_e32 v4, 0
	s_and_saveexec_b32 s10, s9
	s_cbranch_execnz .LBB21_435
	s_branch .LBB21_436
	.section	.rodata,"a",@progbits
	.p2align	6, 0x0
	.amdhsa_kernel _ZN2at6native32elementwise_kernel_manual_unrollILi128ELi4EZNS0_15gpu_kernel_implIZZZNS0_12_GLOBAL__N_119airy_ai_kernel_cudaERNS_18TensorIteratorBaseEENKUlvE_clEvENKUlvE0_clEvEUlfE_EEvS5_RKT_EUlibE_EEviT1_
		.amdhsa_group_segment_fixed_size 0
		.amdhsa_private_segment_fixed_size 0
		.amdhsa_kernarg_size 40
		.amdhsa_user_sgpr_count 6
		.amdhsa_user_sgpr_private_segment_buffer 1
		.amdhsa_user_sgpr_dispatch_ptr 0
		.amdhsa_user_sgpr_queue_ptr 0
		.amdhsa_user_sgpr_kernarg_segment_ptr 1
		.amdhsa_user_sgpr_dispatch_id 0
		.amdhsa_user_sgpr_flat_scratch_init 0
		.amdhsa_user_sgpr_private_segment_size 0
		.amdhsa_wavefront_size32 1
		.amdhsa_uses_dynamic_stack 0
		.amdhsa_system_sgpr_private_segment_wavefront_offset 0
		.amdhsa_system_sgpr_workgroup_id_x 1
		.amdhsa_system_sgpr_workgroup_id_y 0
		.amdhsa_system_sgpr_workgroup_id_z 0
		.amdhsa_system_sgpr_workgroup_info 0
		.amdhsa_system_vgpr_workitem_id 0
		.amdhsa_next_free_vgpr 34
		.amdhsa_next_free_sgpr 35
		.amdhsa_reserve_vcc 1
		.amdhsa_reserve_flat_scratch 0
		.amdhsa_float_round_mode_32 0
		.amdhsa_float_round_mode_16_64 0
		.amdhsa_float_denorm_mode_32 3
		.amdhsa_float_denorm_mode_16_64 3
		.amdhsa_dx10_clamp 1
		.amdhsa_ieee_mode 1
		.amdhsa_fp16_overflow 0
		.amdhsa_workgroup_processor_mode 1
		.amdhsa_memory_ordered 1
		.amdhsa_forward_progress 1
		.amdhsa_shared_vgpr_count 0
		.amdhsa_exception_fp_ieee_invalid_op 0
		.amdhsa_exception_fp_denorm_src 0
		.amdhsa_exception_fp_ieee_div_zero 0
		.amdhsa_exception_fp_ieee_overflow 0
		.amdhsa_exception_fp_ieee_underflow 0
		.amdhsa_exception_fp_ieee_inexact 0
		.amdhsa_exception_int_div_zero 0
	.end_amdhsa_kernel
	.section	.text._ZN2at6native32elementwise_kernel_manual_unrollILi128ELi4EZNS0_15gpu_kernel_implIZZZNS0_12_GLOBAL__N_119airy_ai_kernel_cudaERNS_18TensorIteratorBaseEENKUlvE_clEvENKUlvE0_clEvEUlfE_EEvS5_RKT_EUlibE_EEviT1_,"axG",@progbits,_ZN2at6native32elementwise_kernel_manual_unrollILi128ELi4EZNS0_15gpu_kernel_implIZZZNS0_12_GLOBAL__N_119airy_ai_kernel_cudaERNS_18TensorIteratorBaseEENKUlvE_clEvENKUlvE0_clEvEUlfE_EEvS5_RKT_EUlibE_EEviT1_,comdat
.Lfunc_end21:
	.size	_ZN2at6native32elementwise_kernel_manual_unrollILi128ELi4EZNS0_15gpu_kernel_implIZZZNS0_12_GLOBAL__N_119airy_ai_kernel_cudaERNS_18TensorIteratorBaseEENKUlvE_clEvENKUlvE0_clEvEUlfE_EEvS5_RKT_EUlibE_EEviT1_, .Lfunc_end21-_ZN2at6native32elementwise_kernel_manual_unrollILi128ELi4EZNS0_15gpu_kernel_implIZZZNS0_12_GLOBAL__N_119airy_ai_kernel_cudaERNS_18TensorIteratorBaseEENKUlvE_clEvENKUlvE0_clEvEUlfE_EEvS5_RKT_EUlibE_EEviT1_
                                        ; -- End function
	.set _ZN2at6native32elementwise_kernel_manual_unrollILi128ELi4EZNS0_15gpu_kernel_implIZZZNS0_12_GLOBAL__N_119airy_ai_kernel_cudaERNS_18TensorIteratorBaseEENKUlvE_clEvENKUlvE0_clEvEUlfE_EEvS5_RKT_EUlibE_EEviT1_.num_vgpr, max(34, .L_ZN2at6native6invokeIZZZNS0_12_GLOBAL__N_119airy_ai_kernel_cudaERNS_18TensorIteratorBaseEENKUlvE_clEvENKUlvE0_clEvEUlfE_i15function_traitsIS7_EEENT1_11result_typeERKT_PrKPcPKT0_PKN3c1010ScalarTypeEi.num_vgpr)
	.set _ZN2at6native32elementwise_kernel_manual_unrollILi128ELi4EZNS0_15gpu_kernel_implIZZZNS0_12_GLOBAL__N_119airy_ai_kernel_cudaERNS_18TensorIteratorBaseEENKUlvE_clEvENKUlvE0_clEvEUlfE_EEvS5_RKT_EUlibE_EEviT1_.num_agpr, max(0, .L_ZN2at6native6invokeIZZZNS0_12_GLOBAL__N_119airy_ai_kernel_cudaERNS_18TensorIteratorBaseEENKUlvE_clEvENKUlvE0_clEvEUlfE_i15function_traitsIS7_EEENT1_11result_typeERKT_PrKPcPKT0_PKN3c1010ScalarTypeEi.num_agpr)
	.set _ZN2at6native32elementwise_kernel_manual_unrollILi128ELi4EZNS0_15gpu_kernel_implIZZZNS0_12_GLOBAL__N_119airy_ai_kernel_cudaERNS_18TensorIteratorBaseEENKUlvE_clEvENKUlvE0_clEvEUlfE_EEvS5_RKT_EUlibE_EEviT1_.numbered_sgpr, max(35, .L_ZN2at6native6invokeIZZZNS0_12_GLOBAL__N_119airy_ai_kernel_cudaERNS_18TensorIteratorBaseEENKUlvE_clEvENKUlvE0_clEvEUlfE_i15function_traitsIS7_EEENT1_11result_typeERKT_PrKPcPKT0_PKN3c1010ScalarTypeEi.numbered_sgpr)
	.set _ZN2at6native32elementwise_kernel_manual_unrollILi128ELi4EZNS0_15gpu_kernel_implIZZZNS0_12_GLOBAL__N_119airy_ai_kernel_cudaERNS_18TensorIteratorBaseEENKUlvE_clEvENKUlvE0_clEvEUlfE_EEvS5_RKT_EUlibE_EEviT1_.num_named_barrier, max(0, .L_ZN2at6native6invokeIZZZNS0_12_GLOBAL__N_119airy_ai_kernel_cudaERNS_18TensorIteratorBaseEENKUlvE_clEvENKUlvE0_clEvEUlfE_i15function_traitsIS7_EEENT1_11result_typeERKT_PrKPcPKT0_PKN3c1010ScalarTypeEi.num_named_barrier)
	.set _ZN2at6native32elementwise_kernel_manual_unrollILi128ELi4EZNS0_15gpu_kernel_implIZZZNS0_12_GLOBAL__N_119airy_ai_kernel_cudaERNS_18TensorIteratorBaseEENKUlvE_clEvENKUlvE0_clEvEUlfE_EEvS5_RKT_EUlibE_EEviT1_.private_seg_size, 0+max(.L_ZN2at6native6invokeIZZZNS0_12_GLOBAL__N_119airy_ai_kernel_cudaERNS_18TensorIteratorBaseEENKUlvE_clEvENKUlvE0_clEvEUlfE_i15function_traitsIS7_EEENT1_11result_typeERKT_PrKPcPKT0_PKN3c1010ScalarTypeEi.private_seg_size)
	.set _ZN2at6native32elementwise_kernel_manual_unrollILi128ELi4EZNS0_15gpu_kernel_implIZZZNS0_12_GLOBAL__N_119airy_ai_kernel_cudaERNS_18TensorIteratorBaseEENKUlvE_clEvENKUlvE0_clEvEUlfE_EEvS5_RKT_EUlibE_EEviT1_.uses_vcc, or(1, .L_ZN2at6native6invokeIZZZNS0_12_GLOBAL__N_119airy_ai_kernel_cudaERNS_18TensorIteratorBaseEENKUlvE_clEvENKUlvE0_clEvEUlfE_i15function_traitsIS7_EEENT1_11result_typeERKT_PrKPcPKT0_PKN3c1010ScalarTypeEi.uses_vcc)
	.set _ZN2at6native32elementwise_kernel_manual_unrollILi128ELi4EZNS0_15gpu_kernel_implIZZZNS0_12_GLOBAL__N_119airy_ai_kernel_cudaERNS_18TensorIteratorBaseEENKUlvE_clEvENKUlvE0_clEvEUlfE_EEvS5_RKT_EUlibE_EEviT1_.uses_flat_scratch, or(0, .L_ZN2at6native6invokeIZZZNS0_12_GLOBAL__N_119airy_ai_kernel_cudaERNS_18TensorIteratorBaseEENKUlvE_clEvENKUlvE0_clEvEUlfE_i15function_traitsIS7_EEENT1_11result_typeERKT_PrKPcPKT0_PKN3c1010ScalarTypeEi.uses_flat_scratch)
	.set _ZN2at6native32elementwise_kernel_manual_unrollILi128ELi4EZNS0_15gpu_kernel_implIZZZNS0_12_GLOBAL__N_119airy_ai_kernel_cudaERNS_18TensorIteratorBaseEENKUlvE_clEvENKUlvE0_clEvEUlfE_EEvS5_RKT_EUlibE_EEviT1_.has_dyn_sized_stack, or(0, .L_ZN2at6native6invokeIZZZNS0_12_GLOBAL__N_119airy_ai_kernel_cudaERNS_18TensorIteratorBaseEENKUlvE_clEvENKUlvE0_clEvEUlfE_i15function_traitsIS7_EEENT1_11result_typeERKT_PrKPcPKT0_PKN3c1010ScalarTypeEi.has_dyn_sized_stack)
	.set _ZN2at6native32elementwise_kernel_manual_unrollILi128ELi4EZNS0_15gpu_kernel_implIZZZNS0_12_GLOBAL__N_119airy_ai_kernel_cudaERNS_18TensorIteratorBaseEENKUlvE_clEvENKUlvE0_clEvEUlfE_EEvS5_RKT_EUlibE_EEviT1_.has_recursion, or(0, .L_ZN2at6native6invokeIZZZNS0_12_GLOBAL__N_119airy_ai_kernel_cudaERNS_18TensorIteratorBaseEENKUlvE_clEvENKUlvE0_clEvEUlfE_i15function_traitsIS7_EEENT1_11result_typeERKT_PrKPcPKT0_PKN3c1010ScalarTypeEi.has_recursion)
	.set _ZN2at6native32elementwise_kernel_manual_unrollILi128ELi4EZNS0_15gpu_kernel_implIZZZNS0_12_GLOBAL__N_119airy_ai_kernel_cudaERNS_18TensorIteratorBaseEENKUlvE_clEvENKUlvE0_clEvEUlfE_EEvS5_RKT_EUlibE_EEviT1_.has_indirect_call, or(0, .L_ZN2at6native6invokeIZZZNS0_12_GLOBAL__N_119airy_ai_kernel_cudaERNS_18TensorIteratorBaseEENKUlvE_clEvENKUlvE0_clEvEUlfE_i15function_traitsIS7_EEENT1_11result_typeERKT_PrKPcPKT0_PKN3c1010ScalarTypeEi.has_indirect_call)
	.section	.AMDGPU.csdata,"",@progbits
; Kernel info:
; codeLenInByte = 16296
; TotalNumSgprs: 37
; NumVgprs: 34
; ScratchSize: 0
; MemoryBound: 0
; FloatMode: 240
; IeeeMode: 1
; LDSByteSize: 0 bytes/workgroup (compile time only)
; SGPRBlocks: 0
; VGPRBlocks: 4
; NumSGPRsForWavesPerEU: 37
; NumVGPRsForWavesPerEU: 34
; Occupancy: 16
; WaveLimiterHint : 0
; COMPUTE_PGM_RSRC2:SCRATCH_EN: 0
; COMPUTE_PGM_RSRC2:USER_SGPR: 6
; COMPUTE_PGM_RSRC2:TRAP_HANDLER: 0
; COMPUTE_PGM_RSRC2:TGID_X_EN: 1
; COMPUTE_PGM_RSRC2:TGID_Y_EN: 0
; COMPUTE_PGM_RSRC2:TGID_Z_EN: 0
; COMPUTE_PGM_RSRC2:TIDIG_COMP_CNT: 0
	.text
	.p2align	2                               ; -- Begin function _ZN2at6native6invokeIZZZNS0_12_GLOBAL__N_119airy_ai_kernel_cudaERNS_18TensorIteratorBaseEENKUlvE_clEvENKUlvE0_clEvEUlfE_j15function_traitsIS7_EEENT1_11result_typeERKT_PrKPcPKT0_PKN3c1010ScalarTypeEi
	.type	_ZN2at6native6invokeIZZZNS0_12_GLOBAL__N_119airy_ai_kernel_cudaERNS_18TensorIteratorBaseEENKUlvE_clEvENKUlvE0_clEvEUlfE_j15function_traitsIS7_EEENT1_11result_typeERKT_PrKPcPKT0_PKN3c1010ScalarTypeEi,@function
_ZN2at6native6invokeIZZZNS0_12_GLOBAL__N_119airy_ai_kernel_cudaERNS_18TensorIteratorBaseEENKUlvE_clEvENKUlvE0_clEvEUlfE_j15function_traitsIS7_EEENT1_11result_typeERKT_PrKPcPKT0_PKN3c1010ScalarTypeEi: ; @_ZN2at6native6invokeIZZZNS0_12_GLOBAL__N_119airy_ai_kernel_cudaERNS_18TensorIteratorBaseEENKUlvE_clEvENKUlvE0_clEvEUlfE_j15function_traitsIS7_EEENT1_11result_typeERKT_PrKPcPKT0_PKN3c1010ScalarTypeEi
; %bb.0:
	s_waitcnt vmcnt(0) expcnt(0) lgkmcnt(0)
	v_mov_b32_e32 v4, 10
	v_add_co_u32 v0, vcc_lo, v0, v2
	v_add_co_ci_u32_e64 v1, null, 0, v1, vcc_lo
	v_cmp_gt_i16_sdwa s4, v3, v4 src0_sel:BYTE_0 src1_sel:DWORD
	s_mov_b32 s5, 0
                                        ; implicit-def: $vgpr2
	s_and_saveexec_b32 s6, s4
	s_xor_b32 s4, exec_lo, s6
	s_cbranch_execz .LBB22_53
; %bb.1:
	v_mov_b32_e32 v2, 25
	s_mov_b32 s8, 0
	s_mov_b32 s7, 0
	v_cmp_gt_i16_sdwa s6, v3, v2 src0_sel:BYTE_0 src1_sel:DWORD
                                        ; implicit-def: $vgpr2
	s_and_saveexec_b32 s9, s6
	s_xor_b32 s6, exec_lo, s9
	s_cbranch_execz .LBB22_96
; %bb.2:
	v_mov_b32_e32 v2, 28
	s_mov_b32 s9, 0
	v_cmp_gt_i16_sdwa s7, v3, v2 src0_sel:BYTE_0 src1_sel:DWORD
                                        ; implicit-def: $vgpr2
	s_and_saveexec_b32 s10, s7
	s_xor_b32 s7, exec_lo, s10
	s_cbranch_execz .LBB22_18
; %bb.3:
	v_mov_b32_e32 v2, 43
	s_mov_b32 s10, 0
	s_mov_b32 s11, 0
	v_cmp_gt_i16_sdwa s8, v3, v2 src0_sel:BYTE_0 src1_sel:DWORD
                                        ; implicit-def: $vgpr2
	s_and_saveexec_b32 s9, s8
	s_xor_b32 s8, exec_lo, s9
	s_cbranch_execz .LBB22_13
; %bb.4:
	v_mov_b32_e32 v2, 45
	s_mov_b32 s9, 0
	v_cmp_gt_i16_sdwa s11, v3, v2 src0_sel:BYTE_0 src1_sel:DWORD
                                        ; implicit-def: $vgpr2
	s_and_saveexec_b32 s12, s11
	s_xor_b32 s11, exec_lo, s12
	s_cbranch_execz .LBB22_8
; %bb.5:
	v_mov_b32_e32 v2, 46
	s_mov_b32 s12, -1
	v_cmp_eq_u16_sdwa s13, v3, v2 src0_sel:BYTE_0 src1_sel:DWORD
                                        ; implicit-def: $vgpr2
	s_and_saveexec_b32 s10, s13
	s_cbranch_execz .LBB22_7
; %bb.6:
	flat_load_dword v2, v[0:1]
	s_mov_b32 s9, exec_lo
	s_xor_b32 s12, exec_lo, -1
	s_waitcnt vmcnt(0) lgkmcnt(0)
	v_lshlrev_b32_e32 v2, 16, v2
.LBB22_7:
	s_or_b32 exec_lo, exec_lo, s10
	s_and_b32 s10, s9, exec_lo
	s_and_b32 s9, s12, exec_lo
                                        ; implicit-def: $vgpr3
.LBB22_8:
	s_andn2_saveexec_b32 s11, s11
	s_cbranch_execz .LBB22_12
; %bb.9:
	v_mov_b32_e32 v2, 44
	s_mov_b32 s12, -1
	s_mov_b32 s14, s10
	v_cmp_eq_u16_sdwa s15, v3, v2 src0_sel:BYTE_0 src1_sel:DWORD
                                        ; implicit-def: $vgpr2
	s_and_saveexec_b32 s13, s15
	s_cbranch_execz .LBB22_11
; %bb.10:
	flat_load_ubyte v2, v[0:1]
	s_or_b32 s14, s10, exec_lo
	s_xor_b32 s12, exec_lo, -1
	s_waitcnt vmcnt(0) lgkmcnt(0)
	v_lshlrev_b32_e32 v3, 23, v2
	v_cmp_ne_u32_e32 vcc_lo, 0xff, v2
	v_cndmask_b32_e32 v3, 0x7f800001, v3, vcc_lo
	v_cmp_ne_u32_e32 vcc_lo, 0, v2
	v_cndmask_b32_e32 v2, 0x400000, v3, vcc_lo
.LBB22_11:
	s_or_b32 exec_lo, exec_lo, s13
	s_andn2_b32 s10, s10, exec_lo
	s_and_b32 s13, s14, exec_lo
	s_andn2_b32 s9, s9, exec_lo
	s_and_b32 s12, s12, exec_lo
	s_or_b32 s10, s10, s13
	s_or_b32 s9, s9, s12
.LBB22_12:
	s_or_b32 exec_lo, exec_lo, s11
	s_and_b32 s11, s10, exec_lo
	s_and_b32 s10, s9, exec_lo
                                        ; implicit-def: $vgpr3
.LBB22_13:
	s_andn2_saveexec_b32 s8, s8
	s_cbranch_execz .LBB22_17
; %bb.14:
	v_mov_b32_e32 v2, 29
	s_mov_b32 s9, -1
	s_mov_b32 s13, s11
	v_cmp_eq_u16_sdwa s14, v3, v2 src0_sel:BYTE_0 src1_sel:DWORD
                                        ; implicit-def: $vgpr2
	s_and_saveexec_b32 s12, s14
	s_cbranch_execz .LBB22_16
; %bb.15:
	flat_load_dwordx2 v[2:3], v[0:1]
	s_or_b32 s13, s11, exec_lo
	s_xor_b32 s9, exec_lo, -1
	s_waitcnt vmcnt(0) lgkmcnt(0)
	v_ffbh_u32_e32 v4, v3
	v_min_u32_e32 v4, 32, v4
	v_lshlrev_b64 v[2:3], v4, v[2:3]
	v_min_u32_e32 v2, 1, v2
	v_or_b32_e32 v2, v3, v2
	v_sub_nc_u32_e32 v3, 32, v4
	v_cvt_f32_u32_e32 v2, v2
	v_ldexp_f32 v2, v2, v3
.LBB22_16:
	s_or_b32 exec_lo, exec_lo, s12
	s_andn2_b32 s11, s11, exec_lo
	s_and_b32 s12, s13, exec_lo
	s_andn2_b32 s10, s10, exec_lo
	s_and_b32 s9, s9, exec_lo
	s_or_b32 s11, s11, s12
	s_or_b32 s10, s10, s9
.LBB22_17:
	s_or_b32 exec_lo, exec_lo, s8
	s_and_b32 s9, s11, exec_lo
	s_and_b32 s8, s10, exec_lo
                                        ; implicit-def: $vgpr3
.LBB22_18:
	s_andn2_saveexec_b32 s7, s7
	s_cbranch_execz .LBB22_34
; %bb.19:
	v_mov_b32_e32 v2, 26
	v_cmp_gt_i16_sdwa s10, v3, v2 src0_sel:BYTE_0 src1_sel:DWORD
                                        ; implicit-def: $vgpr2
	s_and_saveexec_b32 s11, s10
	s_xor_b32 s10, exec_lo, s11
	s_cbranch_execz .LBB22_25
; %bb.20:
	v_mov_b32_e32 v2, 27
	v_cmp_gt_i16_sdwa s11, v3, v2 src0_sel:BYTE_0 src1_sel:DWORD
                                        ; implicit-def: $vgpr2
	s_and_saveexec_b32 s12, s11
	s_xor_b32 s11, exec_lo, s12
	s_cbranch_execz .LBB22_22
; %bb.21:
	flat_load_dword v2, v[0:1]
	s_waitcnt vmcnt(0) lgkmcnt(0)
	v_cvt_f32_u32_e32 v2, v2
.LBB22_22:
	s_andn2_saveexec_b32 s11, s11
	s_cbranch_execz .LBB22_24
; %bb.23:
	flat_load_ushort v2, v[0:1]
	s_waitcnt vmcnt(0) lgkmcnt(0)
	v_cvt_f32_u32_e32 v2, v2
.LBB22_24:
	s_or_b32 exec_lo, exec_lo, s11
.LBB22_25:
	s_andn2_saveexec_b32 s10, s10
	s_cbranch_execz .LBB22_33
; %bb.26:
	flat_load_ubyte v3, v[0:1]
	s_mov_b32 s11, 0
	s_mov_b32 s12, exec_lo
	s_waitcnt vmcnt(0) lgkmcnt(0)
	v_cmpx_lt_i16_e32 0x7f, v3
	s_xor_b32 s12, exec_lo, s12
	s_cbranch_execz .LBB22_123
; %bb.27:
	s_mov_b32 s11, -1
	s_mov_b32 s13, exec_lo
	v_cmpx_eq_u16_e32 0x80, v3
; %bb.28:
	s_xor_b32 s11, exec_lo, -1
; %bb.29:
	s_or_b32 exec_lo, exec_lo, s13
	s_and_b32 s11, s11, exec_lo
	s_or_saveexec_b32 s12, s12
	v_mov_b32_e32 v2, 0x7f800001
	s_xor_b32 exec_lo, exec_lo, s12
	s_cbranch_execnz .LBB22_124
.LBB22_30:
	s_or_b32 exec_lo, exec_lo, s12
	s_and_saveexec_b32 s12, s11
	s_cbranch_execz .LBB22_32
.LBB22_31:
	v_and_b32_e32 v2, 0xffff, v3
	v_lshlrev_b32_e32 v3, 24, v3
	v_and_b32_e32 v4, 7, v2
	v_bfe_u32 v7, v2, 3, 4
	v_and_b32_e32 v3, 0x80000000, v3
	v_ffbh_u32_e32 v5, v4
	v_cmp_eq_u32_e32 vcc_lo, 0, v7
	v_min_u32_e32 v5, 32, v5
	v_subrev_nc_u32_e32 v6, 28, v5
	v_sub_nc_u32_e32 v5, 29, v5
	v_lshlrev_b32_e32 v2, v6, v2
	v_cndmask_b32_e32 v5, v7, v5, vcc_lo
	v_and_b32_e32 v2, 7, v2
	v_cndmask_b32_e32 v2, v4, v2, vcc_lo
	v_lshl_add_u32 v4, v5, 23, 0x3b800000
	v_lshlrev_b32_e32 v2, 20, v2
	v_or3_b32 v2, v3, v4, v2
.LBB22_32:
	s_or_b32 exec_lo, exec_lo, s12
.LBB22_33:
	s_or_b32 exec_lo, exec_lo, s10
	s_or_b32 s9, s9, exec_lo
.LBB22_34:
	s_or_b32 exec_lo, exec_lo, s7
	s_and_b32 s7, s9, exec_lo
	s_and_b32 s8, s8, exec_lo
                                        ; implicit-def: $vgpr3
	s_andn2_saveexec_b32 s6, s6
	s_cbranch_execnz .LBB22_97
.LBB22_35:
	s_or_b32 exec_lo, exec_lo, s6
	s_and_saveexec_b32 s6, s8
	s_cbranch_execnz .LBB22_122
.LBB22_36:
	s_or_b32 exec_lo, exec_lo, s6
	s_and_saveexec_b32 s6, s5
	s_xor_b32 s5, exec_lo, s6
	s_cbranch_execz .LBB22_38
.LBB22_37:
	flat_load_ubyte v0, v[0:1]
	s_or_b32 s7, s7, exec_lo
	s_waitcnt vmcnt(0) lgkmcnt(0)
	v_cmp_ne_u16_e32 vcc_lo, 0, v0
	v_cndmask_b32_e64 v2, 0, 1.0, vcc_lo
.LBB22_38:
	s_or_b32 exec_lo, exec_lo, s5
	s_and_b32 s5, s7, exec_lo
                                        ; implicit-def: $vgpr3
                                        ; implicit-def: $vgpr0_vgpr1
	s_andn2_saveexec_b32 s4, s4
	s_cbranch_execnz .LBB22_54
.LBB22_39:
	s_or_b32 exec_lo, exec_lo, s4
                                        ; implicit-def: $vgpr0
	s_and_saveexec_b32 s7, s5
	s_cbranch_execz .LBB22_95
.LBB22_40:
	v_mov_b32_e32 v0, 0x7fc00000
	s_mov_b32 s8, exec_lo
	s_waitcnt vmcnt(0) lgkmcnt(0)
	v_cmpx_neq_f32_e64 0x7f800000, |v2|
	s_cbranch_execz .LBB22_134
; %bb.41:
	v_mov_b32_e32 v0, 0
	s_mov_b32 s9, exec_lo
	v_cmpx_nlt_f32_e32 0x42cfc8b4, v2
	s_cbranch_execz .LBB22_133
; %bb.42:
                                        ; implicit-def: $vgpr0
	s_mov_b32 s4, exec_lo
	v_cmpx_ngt_f32_e32 0xc005c28f, v2
	s_xor_b32 s6, exec_lo, s4
	s_cbranch_execz .LBB22_50
; %bb.43:
	v_cmp_nle_f32_e64 s10, 0x4005c28f, v2
	v_mov_b32_e32 v0, 0
	s_mov_b32 s11, exec_lo
	s_mov_b32 s4, s10
	v_cmpx_le_f32_e32 0x4005c28f, v2
	s_cbranch_execz .LBB22_45
; %bb.44:
	v_mul_f32_e32 v0, 0x4f800000, v2
	v_cmp_gt_f32_e32 vcc_lo, 0xf800000, v2
	v_cndmask_b32_e32 v0, v2, v0, vcc_lo
	v_sqrt_f32_e32 v1, v0
	v_add_nc_u32_e32 v3, -1, v1
	v_add_nc_u32_e32 v4, 1, v1
	v_fma_f32 v5, -v3, v1, v0
	v_fma_f32 v6, -v4, v1, v0
	v_cmp_ge_f32_e64 s4, 0, v5
	v_cndmask_b32_e64 v1, v1, v3, s4
	v_cmp_lt_f32_e64 s4, 0, v6
	v_cndmask_b32_e64 v1, v1, v4, s4
	v_mul_f32_e32 v3, 0x37800000, v1
	v_cndmask_b32_e32 v1, v1, v3, vcc_lo
	v_cmp_class_f32_e64 vcc_lo, v0, 0x260
	v_add_f32_e32 v3, v2, v2
	v_cndmask_b32_e32 v0, v1, v0, vcc_lo
	v_mul_f32_e32 v1, v3, v0
	v_div_scale_f32 v3, null, 0x40400000, 0x40400000, v1
	v_div_scale_f32 v6, vcc_lo, v1, 0x40400000, v1
	v_rcp_f32_e32 v4, v3
	v_fma_f32 v5, -v3, v4, 1.0
	v_fmac_f32_e32 v4, v5, v4
	v_mul_f32_e32 v5, v6, v4
	v_fma_f32 v7, -v3, v5, v6
	v_fmac_f32_e32 v5, v7, v4
	v_fma_f32 v3, -v3, v5, v6
	v_div_fmas_f32 v3, v3, v4, v5
	v_div_fixup_f32 v1, v3, 0x40400000, v1
	v_div_scale_f32 v3, null, v1, v1, 1.0
	v_div_scale_f32 v6, vcc_lo, 1.0, v1, 1.0
	v_mul_f32_e32 v10, 0x3fb8aa3b, v1
	v_rcp_f32_e32 v4, v3
	v_fma_f32 v13, 0x3fb8aa3b, v1, -v10
	v_rndne_f32_e32 v14, v10
	v_sub_f32_e32 v10, v10, v14
	v_fma_f32 v5, -v3, v4, 1.0
	v_fmac_f32_e32 v4, v5, v4
	v_mul_f32_e32 v5, v6, v4
	v_fma_f32 v7, -v3, v5, v6
	v_fmac_f32_e32 v5, v7, v4
	v_fma_f32 v3, -v3, v5, v6
	v_mul_f32_e32 v6, 0x4f800000, v0
	v_div_fmas_f32 v3, v3, v4, v5
	v_cmp_gt_f32_e32 vcc_lo, 0xf800000, v0
	v_div_fixup_f32 v3, v3, v1, 1.0
	v_cndmask_b32_e32 v0, v0, v6, vcc_lo
	v_fmaak_f32 v4, 0, v3, 0x3f114de0
	v_fmaak_f32 v5, 0, v3, 0x3eb16d71
	v_sqrt_f32_e32 v6, v0
	v_fmaak_f32 v4, v3, v4, 0x416c19a0
	v_fmaak_f32 v5, v3, v5, 0x41401f1c
	;; [unrolled: 1-line block ×4, first 2 shown]
	v_add_nc_u32_e32 v7, -1, v6
	v_add_nc_u32_e32 v8, 1, v6
	v_fmaak_f32 v4, v3, v4, 0x4331516e
	v_fmaak_f32 v5, v3, v5, 0x432816d7
	v_fma_f32 v11, -v7, v6, v0
	v_fma_f32 v12, -v8, v6, v0
	v_fmaak_f32 v4, v3, v4, 0x43243c15
	v_fmaak_f32 v5, v3, v5, 0x431fc1a3
	v_cmp_ge_f32_e64 s4, 0, v11
	v_fmamk_f32 v11, v1, 0x32a5705f, v13
	v_cmp_lt_f32_e64 s5, 0, v12
	v_fmaak_f32 v4, v3, v4, 0x428ef4a7
	v_fmaak_f32 v5, v3, v5, 0x428d127a
	v_cndmask_b32_e64 v6, v6, v7, s4
	v_cvt_i32_f32_e32 v12, v14
	v_fmaak_f32 v4, v3, v4, 0x416188dd
	v_fmaak_f32 v5, v3, v5, 0x41606c6b
	v_cndmask_b32_e64 v6, v6, v8, s5
	v_fma_f32 v4, v3, v4, 1.0
	v_fma_f32 v3, v3, v5, 1.0
	v_div_scale_f32 v5, null, v4, v4, v3
	v_div_scale_f32 v13, s4, v3, v4, v3
	v_rcp_f32_e32 v9, v5
	v_fma_f32 v7, -v5, v9, 1.0
	v_fmac_f32_e32 v9, v7, v9
	v_add_f32_e32 v7, v10, v11
	v_mul_f32_e32 v10, 0x37800000, v6
	v_mul_f32_e32 v8, v13, v9
	v_exp_f32_e32 v7, v7
	v_cndmask_b32_e32 v6, v6, v10, vcc_lo
	v_cmp_class_f32_e64 vcc_lo, v0, 0x260
	v_fma_f32 v11, -v5, v8, v13
	v_cndmask_b32_e32 v0, v6, v0, vcc_lo
	v_cmp_ngt_f32_e32 vcc_lo, 0xc2ce8ed0, v1
	v_fmac_f32_e32 v8, v11, v9
	v_ldexp_f32 v7, v7, v12
	v_add_f32_e32 v0, v0, v0
	v_fma_f32 v5, -v5, v8, v13
	v_cndmask_b32_e32 v6, 0, v7, vcc_lo
	s_mov_b32 vcc_lo, s4
	s_andn2_b32 s4, s10, exec_lo
	v_div_fmas_f32 v5, v5, v9, v8
	v_cmp_nlt_f32_e32 vcc_lo, 0x42b17218, v1
	v_div_fixup_f32 v3, v5, v4, v3
	v_cndmask_b32_e32 v1, 0x7f800000, v6, vcc_lo
	v_mul_f32_e32 v0, v0, v1
	v_mul_f32_e32 v1, 0x3f106ebb, v3
	v_div_scale_f32 v3, null, v0, v0, v1
	v_div_scale_f32 v6, vcc_lo, v1, v0, v1
	v_rcp_f32_e32 v4, v3
	v_fma_f32 v5, -v3, v4, 1.0
	v_fmac_f32_e32 v4, v5, v4
	v_mul_f32_e32 v5, v6, v4
	v_fma_f32 v7, -v3, v5, v6
	v_fmac_f32_e32 v5, v7, v4
	v_fma_f32 v3, -v3, v5, v6
	v_div_fmas_f32 v3, v3, v4, v5
	v_cmp_nlt_f32_e32 vcc_lo, 0x41052018, v2
	v_div_fixup_f32 v0, v3, v0, v1
	s_and_b32 s5, vcc_lo, exec_lo
	s_or_b32 s4, s4, s5
.LBB22_45:
	s_or_b32 exec_lo, exec_lo, s11
	s_and_saveexec_b32 s5, s4
	s_cbranch_execz .LBB22_49
; %bb.46:
	v_mul_f32_e32 v3, v2, v2
	v_mov_b32_e32 v5, 1.0
	v_mov_b32_e32 v6, 1.0
	v_mov_b32_e32 v1, v2
	s_mov_b32 s11, 0
	v_mul_f32_e32 v4, v2, v3
	v_mov_b32_e32 v3, 1.0
.LBB22_47:                              ; =>This Inner Loop Header: Depth=1
	v_mul_f32_e32 v5, v4, v5
	v_add_f32_e32 v6, 1.0, v6
	v_mul_f32_e32 v2, v4, v2
	v_div_scale_f32 v7, null, v6, v6, v5
	v_div_scale_f32 v10, vcc_lo, v5, v6, v5
	v_add_f32_e32 v9, 1.0, v6
	v_rcp_f32_e32 v8, v7
	v_div_scale_f32 v11, null, v9, v9, v2
	v_fma_f32 v12, -v7, v8, 1.0
	v_fmac_f32_e32 v8, v12, v8
	v_mul_f32_e32 v12, v10, v8
	v_fma_f32 v13, -v7, v12, v10
	v_fmac_f32_e32 v12, v13, v8
	v_fma_f32 v7, -v7, v12, v10
	v_div_fmas_f32 v7, v7, v8, v12
	v_div_scale_f32 v10, vcc_lo, v2, v9, v2
	v_div_fixup_f32 v5, v7, v6, v5
	v_rcp_f32_e32 v7, v11
	v_div_scale_f32 v6, null, v9, v9, v5
	v_div_scale_f32 v13, s4, v5, v9, v5
	v_rcp_f32_e32 v8, v6
	v_fma_f32 v12, -v11, v7, 1.0
	v_fmac_f32_e32 v7, v12, v7
	v_fma_f32 v12, -v6, v8, 1.0
	v_fmac_f32_e32 v8, v12, v8
	v_mul_f32_e32 v12, v10, v7
	v_mul_f32_e32 v14, v13, v8
	v_fma_f32 v15, -v11, v12, v10
	v_fma_f32 v16, -v6, v14, v13
	v_fmac_f32_e32 v12, v15, v7
	v_fmac_f32_e32 v14, v16, v8
	v_fma_f32 v10, -v11, v12, v10
	v_fma_f32 v6, -v6, v14, v13
	v_div_fmas_f32 v7, v10, v7, v12
	s_mov_b32 vcc_lo, s4
	v_div_fmas_f32 v8, v6, v8, v14
	v_add_f32_e32 v6, 1.0, v9
	v_div_fixup_f32 v2, v7, v9, v2
	v_div_fixup_f32 v5, v8, v9, v5
	v_div_scale_f32 v7, null, v6, v6, v2
	v_div_scale_f32 v11, vcc_lo, v2, v6, v2
	v_add_f32_e32 v3, v3, v5
	v_rcp_f32_e32 v9, v7
	v_div_scale_f32 v8, null, v3, v3, v5
	v_rcp_f32_e32 v10, v8
	v_fma_f32 v12, -v7, v9, 1.0
	v_fmac_f32_e32 v9, v12, v9
	v_div_scale_f32 v12, s4, v5, v3, v5
	v_fma_f32 v13, -v8, v10, 1.0
	v_fmac_f32_e32 v10, v13, v10
	v_mul_f32_e32 v13, v11, v9
	v_mul_f32_e32 v14, v12, v10
	v_fma_f32 v15, -v7, v13, v11
	v_fma_f32 v16, -v8, v14, v12
	v_fmac_f32_e32 v13, v15, v9
	v_fmac_f32_e32 v14, v16, v10
	v_fma_f32 v7, -v7, v13, v11
	v_fma_f32 v8, -v8, v14, v12
	v_div_fmas_f32 v7, v7, v9, v13
	s_mov_b32 vcc_lo, s4
	v_div_fmas_f32 v8, v8, v10, v14
	v_div_fixup_f32 v2, v7, v6, v2
	v_div_fixup_f32 v8, v8, v3, v5
	v_add_f32_e32 v1, v1, v2
	v_cmp_nlt_f32_e64 s4, 0x34000000, |v8|
	s_or_b32 s11, s4, s11
	s_andn2_b32 exec_lo, exec_lo, s11
	s_cbranch_execnz .LBB22_47
; %bb.48:
	s_or_b32 exec_lo, exec_lo, s11
	v_mul_f32_e32 v1, 0xbe8483fa, v1
	v_fmamk_f32 v1, v3, 0x3eb5c63d, v1
	v_cndmask_b32_e64 v0, v0, v1, s10
.LBB22_49:
	s_or_b32 exec_lo, exec_lo, s5
                                        ; implicit-def: $vgpr2
.LBB22_50:
	s_andn2_saveexec_b32 s10, s6
	s_cbranch_execz .LBB22_132
; %bb.51:
	v_mul_f32_e32 v0, 0xcf800000, v2
	v_cmp_lt_f32_e32 vcc_lo, 0x8f800000, v2
	v_cndmask_b32_e64 v0, -v2, v0, vcc_lo
	v_mul_f32_e32 v2, -2.0, v2
	v_sqrt_f32_e32 v1, v0
	v_add_nc_u32_e32 v3, -1, v1
	v_add_nc_u32_e32 v4, 1, v1
	v_fma_f32 v5, -v3, v1, v0
	v_fma_f32 v6, -v4, v1, v0
	v_cmp_ge_f32_e64 s4, 0, v5
	v_cndmask_b32_e64 v1, v1, v3, s4
	v_cmp_lt_f32_e64 s4, 0, v6
	v_cndmask_b32_e64 v1, v1, v4, s4
	v_mul_f32_e32 v3, 0x37800000, v1
	v_cndmask_b32_e32 v1, v1, v3, vcc_lo
	v_cmp_class_f32_e64 vcc_lo, v0, 0x260
	v_cndmask_b32_e32 v1, v1, v0, vcc_lo
	v_mul_f32_e32 v0, v2, v1
	v_div_scale_f32 v2, null, 0x40400000, 0x40400000, v0
	v_rcp_f32_e32 v3, v2
	v_fma_f32 v4, -v2, v3, 1.0
	v_fmac_f32_e32 v3, v4, v3
	v_div_scale_f32 v4, vcc_lo, v0, 0x40400000, v0
	v_mul_f32_e32 v5, v4, v3
	v_fma_f32 v6, -v2, v5, v4
	v_fmac_f32_e32 v5, v6, v3
                                        ; implicit-def: $vgpr6
	v_fma_f32 v2, -v2, v5, v4
	v_div_fmas_f32 v2, v2, v3, v5
                                        ; implicit-def: $vgpr3
	v_div_fixup_f32 v2, v2, 0x40400000, v0
	v_add_f32_e32 v0, 0x3f490fdb, v2
	v_and_b32_e32 v4, 0x7fffffff, v0
	v_cmp_ngt_f32_e64 s6, 0x48000000, |v0|
	v_lshrrev_b32_e32 v7, 23, v4
	s_and_saveexec_b32 s4, s6
	s_xor_b32 s11, exec_lo, s4
	s_cbranch_execz .LBB22_125
; %bb.52:
	s_mov_b32 s4, 0x7fffff
	v_mov_b32_e32 v9, 0
	v_and_or_b32 v3, v4, s4, 0x800000
	v_mad_u64_u32 v[5:6], null, 0xfe5163ab, v3, 0
	v_mov_b32_e32 v8, v6
	v_add_nc_u32_e32 v6, 0xffffff88, v7
	v_mad_u64_u32 v[10:11], null, 0x3c439041, v3, v[8:9]
	v_cmp_lt_u32_e32 vcc_lo, 63, v6
	v_cndmask_b32_e64 v15, 0, 0xffffffc0, vcc_lo
	v_mov_b32_e32 v8, v11
	v_add_nc_u32_e32 v6, v15, v6
	v_mad_u64_u32 v[11:12], null, 0xdb629599, v3, v[8:9]
	v_cmp_lt_u32_e64 s4, 31, v6
	v_mov_b32_e32 v8, v12
	v_cndmask_b32_e64 v16, 0, 0xffffffe0, s4
	v_cndmask_b32_e32 v5, v11, v5, vcc_lo
	v_mad_u64_u32 v[12:13], null, 0xf534ddc0, v3, v[8:9]
	v_add_nc_u32_e32 v6, v16, v6
	v_cmp_lt_u32_e64 s5, 31, v6
	v_mov_b32_e32 v8, v13
	v_mad_u64_u32 v[13:14], null, 0xfc2757d1, v3, v[8:9]
	v_mov_b32_e32 v8, v14
	v_mad_u64_u32 v[14:15], null, 0x4e441529, v3, v[8:9]
	v_mov_b32_e32 v8, v15
	v_cndmask_b32_e32 v15, v14, v12, vcc_lo
	v_mad_u64_u32 v[8:9], null, 0xa2f9836e, v3, v[8:9]
	v_cndmask_b32_e64 v3, 0, 0xffffffe0, s5
	v_add_nc_u32_e32 v3, v3, v6
	v_cndmask_b32_e32 v8, v8, v13, vcc_lo
	v_cndmask_b32_e32 v9, v9, v14, vcc_lo
	;; [unrolled: 1-line block ×4, first 2 shown]
	v_sub_nc_u32_e32 v12, 32, v3
	v_cndmask_b32_e64 v10, v8, v15, s4
	v_cndmask_b32_e64 v8, v9, v8, s4
	;; [unrolled: 1-line block ×4, first 2 shown]
	v_cmp_eq_u32_e32 vcc_lo, 0, v3
	v_cndmask_b32_e64 v5, v6, v5, s4
	v_cndmask_b32_e64 v8, v8, v10, s5
	;; [unrolled: 1-line block ×5, first 2 shown]
	v_alignbit_b32 v14, v8, v10, v12
	v_alignbit_b32 v11, v10, v9, v12
	;; [unrolled: 1-line block ×3, first 2 shown]
	v_cndmask_b32_e32 v3, v14, v8, vcc_lo
	v_cndmask_b32_e32 v6, v11, v10, vcc_lo
	;; [unrolled: 1-line block ×3, first 2 shown]
	v_bfe_u32 v8, v3, 29, 1
	v_alignbit_b32 v10, v3, v6, 30
	v_alignbit_b32 v6, v6, v9, 30
	;; [unrolled: 1-line block ×3, first 2 shown]
	v_sub_nc_u32_e32 v11, 0, v8
	v_xor_b32_e32 v10, v10, v11
	v_xor_b32_e32 v6, v6, v11
	;; [unrolled: 1-line block ×3, first 2 shown]
	v_lshrrev_b32_e32 v11, 29, v3
	v_ffbh_u32_e32 v12, v10
	v_min_u32_e32 v12, 32, v12
	v_sub_nc_u32_e32 v9, 31, v12
	v_lshlrev_b32_e32 v13, 23, v12
	v_alignbit_b32 v10, v10, v6, v9
	v_alignbit_b32 v5, v6, v5, v9
	v_lshlrev_b32_e32 v6, 31, v11
	v_alignbit_b32 v9, v10, v5, 9
	v_or_b32_e32 v11, 0.5, v6
	v_lshrrev_b32_e32 v10, 9, v10
	v_or_b32_e32 v6, 0x33000000, v6
	v_ffbh_u32_e32 v14, v9
	v_sub_nc_u32_e32 v11, v11, v13
	v_min_u32_e32 v13, 32, v14
	v_or_b32_e32 v10, v10, v11
	v_not_b32_e32 v11, v13
	v_mul_f32_e32 v14, 0x3fc90fda, v10
	v_add_lshl_u32 v12, v13, v12, 23
	v_alignbit_b32 v5, v9, v5, v11
	v_fma_f32 v9, 0x3fc90fda, v10, -v14
	v_sub_nc_u32_e32 v6, v6, v12
	v_lshrrev_b32_e32 v5, 9, v5
	v_fmamk_f32 v9, v10, 0x33a22168, v9
	v_or_b32_e32 v5, v6, v5
	v_fmac_f32_e32 v9, 0x3fc90fda, v5
	v_lshrrev_b32_e32 v5, 30, v3
	v_add_f32_e32 v3, v14, v9
	v_add_nc_u32_e32 v6, v8, v5
	s_or_saveexec_b32 s4, s11
	v_mul_f32_e64 v9, 0x3f22f983, |v0|
	s_xor_b32 exec_lo, exec_lo, s4
	s_branch .LBB22_126
.LBB22_53:
	s_andn2_saveexec_b32 s4, s4
	s_cbranch_execz .LBB22_39
.LBB22_54:
	v_mov_b32_e32 v2, 4
	v_cmp_gt_i16_sdwa s6, v3, v2 src0_sel:BYTE_0 src1_sel:DWORD
                                        ; implicit-def: $vgpr2
	s_and_saveexec_b32 s7, s6
	s_xor_b32 s6, exec_lo, s7
	s_cbranch_execz .LBB22_76
; %bb.55:
	v_mov_b32_e32 v2, 7
	v_cmp_gt_i16_sdwa s7, v3, v2 src0_sel:BYTE_0 src1_sel:DWORD
                                        ; implicit-def: $vgpr2
	s_and_saveexec_b32 s8, s7
	s_xor_b32 s7, exec_lo, s8
	s_cbranch_execz .LBB22_65
; %bb.56:
	;; [unrolled: 7-line block ×4, first 2 shown]
	flat_load_dwordx2 v[0:1], v[0:1]
	s_waitcnt vmcnt(0) lgkmcnt(0)
	v_cvt_f32_f64_e32 v2, v[0:1]
                                        ; implicit-def: $vgpr0_vgpr1
.LBB22_59:
	s_andn2_saveexec_b32 s9, s9
	s_cbranch_execz .LBB22_61
; %bb.60:
	flat_load_dword v2, v[0:1]
.LBB22_61:
	s_or_b32 exec_lo, exec_lo, s9
                                        ; implicit-def: $vgpr0_vgpr1
.LBB22_62:
	s_andn2_saveexec_b32 s8, s8
	s_cbranch_execz .LBB22_64
; %bb.63:
	flat_load_dword v0, v[0:1]
	s_waitcnt vmcnt(0) lgkmcnt(0)
	v_cvt_f32_f16_e32 v2, v0
.LBB22_64:
	s_or_b32 exec_lo, exec_lo, s8
                                        ; implicit-def: $vgpr0_vgpr1
                                        ; implicit-def: $vgpr3
.LBB22_65:
	s_andn2_saveexec_b32 s7, s7
	s_cbranch_execz .LBB22_75
; %bb.66:
	s_waitcnt vmcnt(0) lgkmcnt(0)
	v_mov_b32_e32 v2, 5
	v_cmp_gt_i16_sdwa s8, v3, v2 src0_sel:BYTE_0 src1_sel:DWORD
                                        ; implicit-def: $vgpr2
	s_and_saveexec_b32 s9, s8
	s_xor_b32 s8, exec_lo, s9
	s_cbranch_execz .LBB22_72
; %bb.67:
	v_mov_b32_e32 v2, 6
	v_cmp_gt_i16_sdwa s9, v3, v2 src0_sel:BYTE_0 src1_sel:DWORD
                                        ; implicit-def: $vgpr2
	s_and_saveexec_b32 s10, s9
	s_xor_b32 s9, exec_lo, s10
	s_cbranch_execz .LBB22_69
; %bb.68:
	flat_load_dwordx2 v[0:1], v[0:1]
	s_waitcnt vmcnt(0) lgkmcnt(0)
	v_cvt_f32_f64_e32 v2, v[0:1]
                                        ; implicit-def: $vgpr0_vgpr1
.LBB22_69:
	s_andn2_saveexec_b32 s9, s9
	s_cbranch_execz .LBB22_71
; %bb.70:
	flat_load_dword v2, v[0:1]
.LBB22_71:
	s_or_b32 exec_lo, exec_lo, s9
                                        ; implicit-def: $vgpr0_vgpr1
.LBB22_72:
	s_andn2_saveexec_b32 s8, s8
	s_cbranch_execz .LBB22_74
; %bb.73:
	flat_load_ushort v0, v[0:1]
	s_waitcnt vmcnt(0) lgkmcnt(0)
	v_cvt_f32_f16_e32 v2, v0
.LBB22_74:
	s_or_b32 exec_lo, exec_lo, s8
.LBB22_75:
	s_or_b32 exec_lo, exec_lo, s7
                                        ; implicit-def: $vgpr3
                                        ; implicit-def: $vgpr0_vgpr1
.LBB22_76:
	s_andn2_saveexec_b32 s6, s6
	s_cbranch_execz .LBB22_94
; %bb.77:
	s_waitcnt vmcnt(0) lgkmcnt(0)
	v_mov_b32_e32 v2, 1
	v_cmp_gt_i16_sdwa s7, v3, v2 src0_sel:BYTE_0 src1_sel:DWORD
                                        ; implicit-def: $vgpr2
	s_and_saveexec_b32 s8, s7
	s_xor_b32 s7, exec_lo, s8
	s_cbranch_execz .LBB22_87
; %bb.78:
	v_mov_b32_e32 v2, 2
	v_cmp_gt_i16_sdwa s8, v3, v2 src0_sel:BYTE_0 src1_sel:DWORD
                                        ; implicit-def: $vgpr2
	s_and_saveexec_b32 s9, s8
	s_xor_b32 s8, exec_lo, s9
	s_cbranch_execz .LBB22_84
; %bb.79:
	;; [unrolled: 7-line block ×3, first 2 shown]
	flat_load_dwordx2 v[0:1], v[0:1]
	s_waitcnt vmcnt(0) lgkmcnt(0)
	v_xor_b32_e32 v2, v0, v1
	v_ffbh_i32_e32 v3, v1
	v_ashrrev_i32_e32 v2, 31, v2
	v_add_nc_u32_e32 v3, -1, v3
	v_add_nc_u32_e32 v2, 32, v2
	v_min_u32_e32 v2, v3, v2
	v_lshlrev_b64 v[0:1], v2, v[0:1]
	v_min_u32_e32 v0, 1, v0
	v_or_b32_e32 v0, v1, v0
	v_sub_nc_u32_e32 v1, 32, v2
	v_cvt_f32_i32_e32 v0, v0
	v_ldexp_f32 v2, v0, v1
                                        ; implicit-def: $vgpr0_vgpr1
.LBB22_81:
	s_andn2_saveexec_b32 s9, s9
	s_cbranch_execz .LBB22_83
; %bb.82:
	flat_load_dword v0, v[0:1]
	s_waitcnt vmcnt(0) lgkmcnt(0)
	v_cvt_f32_i32_e32 v2, v0
.LBB22_83:
	s_or_b32 exec_lo, exec_lo, s9
                                        ; implicit-def: $vgpr0_vgpr1
.LBB22_84:
	s_andn2_saveexec_b32 s8, s8
	s_cbranch_execz .LBB22_86
; %bb.85:
	flat_load_sshort v0, v[0:1]
	s_waitcnt vmcnt(0) lgkmcnt(0)
	v_cvt_f32_i32_e32 v2, v0
.LBB22_86:
	s_or_b32 exec_lo, exec_lo, s8
                                        ; implicit-def: $vgpr0_vgpr1
                                        ; implicit-def: $vgpr3
.LBB22_87:
	s_andn2_saveexec_b32 s7, s7
	s_cbranch_execz .LBB22_93
; %bb.88:
	v_mov_b32_e32 v2, 0
	v_cmp_gt_i16_sdwa s8, v3, v2 src0_sel:BYTE_0 src1_sel:DWORD
                                        ; implicit-def: $vgpr2
	s_and_saveexec_b32 s9, s8
	s_xor_b32 s8, exec_lo, s9
	s_cbranch_execz .LBB22_90
; %bb.89:
	flat_load_sbyte v0, v[0:1]
	s_waitcnt vmcnt(0) lgkmcnt(0)
	v_cvt_f32_i32_e32 v2, v0
                                        ; implicit-def: $vgpr0_vgpr1
.LBB22_90:
	s_andn2_saveexec_b32 s8, s8
	s_cbranch_execz .LBB22_92
; %bb.91:
	flat_load_ubyte v0, v[0:1]
	s_waitcnt vmcnt(0) lgkmcnt(0)
	v_cvt_f32_ubyte0_e32 v2, v0
.LBB22_92:
	s_or_b32 exec_lo, exec_lo, s8
.LBB22_93:
	s_or_b32 exec_lo, exec_lo, s7
.LBB22_94:
	s_or_b32 exec_lo, exec_lo, s6
	s_or_b32 s5, s5, exec_lo
	s_or_b32 exec_lo, exec_lo, s4
                                        ; implicit-def: $vgpr0
	s_and_saveexec_b32 s7, s5
	s_cbranch_execnz .LBB22_40
.LBB22_95:
	s_or_b32 exec_lo, exec_lo, s7
	s_waitcnt vmcnt(0) lgkmcnt(0)
	s_setpc_b64 s[30:31]
.LBB22_96:
	s_andn2_saveexec_b32 s6, s6
	s_cbranch_execz .LBB22_35
.LBB22_97:
	v_mov_b32_e32 v2, 22
	s_mov_b32 s9, s7
	v_cmp_gt_i16_sdwa s5, v3, v2 src0_sel:BYTE_0 src1_sel:DWORD
                                        ; implicit-def: $vgpr2
	s_and_saveexec_b32 s10, s5
	s_xor_b32 s5, exec_lo, s10
	s_cbranch_execz .LBB22_113
; %bb.98:
	v_mov_b32_e32 v2, 23
	v_cmp_gt_i16_sdwa s9, v3, v2 src0_sel:BYTE_0 src1_sel:DWORD
                                        ; implicit-def: $vgpr2
	s_and_saveexec_b32 s10, s9
	s_xor_b32 s9, exec_lo, s10
	s_cbranch_execz .LBB22_110
; %bb.99:
	v_mov_b32_e32 v2, 24
	v_cmp_gt_i16_sdwa s10, v3, v2 src0_sel:BYTE_0 src1_sel:DWORD
                                        ; implicit-def: $vgpr2
	s_and_saveexec_b32 s11, s10
	s_xor_b32 s10, exec_lo, s11
	s_cbranch_execz .LBB22_107
; %bb.100:
	flat_load_ubyte v3, v[0:1]
	s_mov_b32 s11, 0
	s_mov_b32 s12, exec_lo
	s_waitcnt vmcnt(0) lgkmcnt(0)
	v_cmpx_lt_i16_e32 0x7f, v3
	s_xor_b32 s12, exec_lo, s12
	s_cbranch_execz .LBB22_135
; %bb.101:
	s_mov_b32 s11, -1
	s_mov_b32 s13, exec_lo
	v_cmpx_eq_u16_e32 0x80, v3
; %bb.102:
	s_xor_b32 s11, exec_lo, -1
; %bb.103:
	s_or_b32 exec_lo, exec_lo, s13
	s_and_b32 s11, s11, exec_lo
	s_or_saveexec_b32 s12, s12
	v_mov_b32_e32 v2, 0x7f800001
	s_xor_b32 exec_lo, exec_lo, s12
	s_cbranch_execnz .LBB22_136
.LBB22_104:
	s_or_b32 exec_lo, exec_lo, s12
	s_and_saveexec_b32 s12, s11
	s_cbranch_execz .LBB22_106
.LBB22_105:
	v_and_b32_e32 v2, 0xffff, v3
	v_lshlrev_b32_e32 v3, 24, v3
	v_and_b32_e32 v4, 3, v2
	v_bfe_u32 v7, v2, 2, 5
	v_and_b32_e32 v3, 0x80000000, v3
	v_ffbh_u32_e32 v5, v4
	v_cmp_eq_u32_e32 vcc_lo, 0, v7
	v_min_u32_e32 v5, 32, v5
	v_subrev_nc_u32_e32 v6, 29, v5
	v_sub_nc_u32_e32 v5, 30, v5
	v_lshlrev_b32_e32 v2, v6, v2
	v_cndmask_b32_e32 v5, v7, v5, vcc_lo
	v_and_b32_e32 v2, 3, v2
	v_cndmask_b32_e32 v2, v4, v2, vcc_lo
	v_lshl_add_u32 v4, v5, 23, 0x37800000
	v_lshlrev_b32_e32 v2, 21, v2
	v_or3_b32 v2, v3, v4, v2
.LBB22_106:
	s_or_b32 exec_lo, exec_lo, s12
.LBB22_107:
	s_andn2_saveexec_b32 s10, s10
	s_cbranch_execz .LBB22_109
; %bb.108:
	flat_load_ubyte v2, v[0:1]
	s_waitcnt vmcnt(0) lgkmcnt(0)
	v_lshlrev_b32_e32 v2, 24, v2
	v_and_b32_e32 v3, 0x7f000000, v2
	v_ffbh_u32_e32 v4, v3
	v_add_nc_u32_e32 v6, 0x1000000, v3
	v_cmp_ne_u32_e32 vcc_lo, 0, v3
	v_min_u32_e32 v4, 32, v4
	v_sub_nc_u32_e64 v4, v4, 4 clamp
	v_lshlrev_b32_e32 v5, v4, v3
	v_lshlrev_b32_e32 v4, 23, v4
	v_lshrrev_b32_e32 v5, 4, v5
	v_sub_nc_u32_e32 v4, v5, v4
	v_ashrrev_i32_e32 v5, 8, v6
	v_add_nc_u32_e32 v4, 0x3c000000, v4
	v_and_or_b32 v4, 0x7f800000, v5, v4
	v_cndmask_b32_e32 v3, 0, v4, vcc_lo
	v_and_or_b32 v2, 0x80000000, v2, v3
.LBB22_109:
	s_or_b32 exec_lo, exec_lo, s10
.LBB22_110:
	s_andn2_saveexec_b32 s9, s9
	s_cbranch_execz .LBB22_112
; %bb.111:
	flat_load_ubyte v2, v[0:1]
	s_waitcnt vmcnt(0) lgkmcnt(0)
	v_lshlrev_b32_e32 v3, 25, v2
	v_lshlrev_b16 v2, 8, v2
	v_lshrrev_b32_e32 v4, 4, v3
	v_and_or_b32 v5, 0x7f00, v2, 0.5
	v_cmp_gt_u32_e32 vcc_lo, 0x8000000, v3
	v_bfe_i32 v2, v2, 0, 16
	v_or_b32_e32 v4, 0x70000000, v4
	v_add_f32_e32 v5, -0.5, v5
	v_mul_f32_e32 v4, 0x7800000, v4
	v_cndmask_b32_e32 v3, v4, v5, vcc_lo
	v_and_or_b32 v2, 0x80000000, v2, v3
.LBB22_112:
	s_or_b32 exec_lo, exec_lo, s9
	s_or_b32 s9, s7, exec_lo
                                        ; implicit-def: $vgpr3
.LBB22_113:
	s_or_saveexec_b32 s5, s5
	s_mov_b32 s10, 0
	s_mov_b32 s11, s8
	s_xor_b32 exec_lo, exec_lo, s5
	s_cbranch_execz .LBB22_121
; %bb.114:
	v_mov_b32_e32 v2, 14
	s_mov_b32 s10, s8
	s_mov_b32 s11, s9
	v_cmp_gt_i16_sdwa s12, v3, v2 src0_sel:BYTE_0 src1_sel:DWORD
                                        ; implicit-def: $vgpr2
	s_and_saveexec_b32 s13, s12
	s_xor_b32 s12, exec_lo, s13
	s_cbranch_execz .LBB22_118
; %bb.115:
	v_mov_b32_e32 v2, 15
	s_mov_b32 s10, -1
	s_mov_b32 s11, s9
	v_cmp_eq_u16_sdwa s14, v3, v2 src0_sel:BYTE_0 src1_sel:DWORD
                                        ; implicit-def: $vgpr2
	s_and_saveexec_b32 s13, s14
	s_cbranch_execz .LBB22_117
; %bb.116:
	flat_load_ushort v2, v[0:1]
	s_or_b32 s11, s9, exec_lo
	s_xor_b32 s10, exec_lo, -1
	s_waitcnt vmcnt(0) lgkmcnt(0)
	v_lshlrev_b32_e32 v2, 16, v2
.LBB22_117:
	s_or_b32 exec_lo, exec_lo, s13
	s_andn2_b32 s13, s9, exec_lo
	s_and_b32 s11, s11, exec_lo
	s_andn2_b32 s14, s8, exec_lo
	s_and_b32 s10, s10, exec_lo
	s_or_b32 s11, s13, s11
	s_or_b32 s10, s14, s10
                                        ; implicit-def: $vgpr3
.LBB22_118:
	s_or_saveexec_b32 s12, s12
	s_mov_b32 s13, 0
	s_xor_b32 exec_lo, exec_lo, s12
; %bb.119:
	v_mov_b32_e32 v4, 11
	s_andn2_b32 s10, s10, exec_lo
	s_mov_b32 s13, exec_lo
	v_cmp_ne_u16_sdwa s14, v3, v4 src0_sel:BYTE_0 src1_sel:DWORD
	s_and_b32 s14, s14, exec_lo
	s_or_b32 s10, s10, s14
; %bb.120:
	s_or_b32 exec_lo, exec_lo, s12
	s_andn2_b32 s9, s9, exec_lo
	s_and_b32 s11, s11, exec_lo
	s_and_b32 s12, s10, exec_lo
	s_or_b32 s9, s9, s11
	s_andn2_b32 s11, s8, exec_lo
	s_and_b32 s10, s13, exec_lo
	s_or_b32 s11, s11, s12
.LBB22_121:
	s_or_b32 exec_lo, exec_lo, s5
	s_andn2_b32 s5, s7, exec_lo
	s_and_b32 s7, s9, exec_lo
	s_andn2_b32 s8, s8, exec_lo
	s_and_b32 s9, s11, exec_lo
	s_or_b32 s7, s5, s7
	s_and_b32 s5, s10, exec_lo
	s_or_b32 s8, s8, s9
	s_or_b32 exec_lo, exec_lo, s6
	s_and_saveexec_b32 s6, s8
	s_cbranch_execz .LBB22_36
.LBB22_122:
	s_trap 2
	; divergent unreachable
	s_andn2_b32 s5, s5, exec_lo
	s_or_b32 exec_lo, exec_lo, s6
	s_and_saveexec_b32 s6, s5
	s_xor_b32 s5, exec_lo, s6
	s_cbranch_execnz .LBB22_37
	s_branch .LBB22_38
.LBB22_123:
	s_or_saveexec_b32 s12, s12
	v_mov_b32_e32 v2, 0x7f800001
	s_xor_b32 exec_lo, exec_lo, s12
	s_cbranch_execz .LBB22_30
.LBB22_124:
	v_cmp_ne_u16_e32 vcc_lo, 0, v3
	v_mov_b32_e32 v2, 0
	s_andn2_b32 s11, s11, exec_lo
	s_and_b32 s13, vcc_lo, exec_lo
	s_or_b32 s11, s11, s13
	s_or_b32 exec_lo, exec_lo, s12
	s_and_saveexec_b32 s12, s11
	s_cbranch_execnz .LBB22_31
	s_branch .LBB22_32
.LBB22_125:
	s_or_saveexec_b32 s4, s11
	v_mul_f32_e64 v9, 0x3f22f983, |v0|
	s_xor_b32 exec_lo, exec_lo, s4
.LBB22_126:
	v_rndne_f32_e32 v5, v9
	v_fma_f32 v3, 0xbfc90fda, v5, |v0|
	v_cvt_i32_f32_e32 v6, v5
	v_fmamk_f32 v3, v5, 0xb3a22168, v3
	v_fmamk_f32 v3, v5, 0xa7c234c4, v3
; %bb.127:
	s_or_b32 exec_lo, exec_lo, s4
                                        ; implicit-def: $vgpr8
                                        ; implicit-def: $vgpr5
	s_and_saveexec_b32 s4, s6
	s_xor_b32 s6, exec_lo, s4
	s_cbranch_execz .LBB22_129
; %bb.128:
	s_mov_b32 s4, 0x7fffff
	v_mov_b32_e32 v10, 0
	v_and_or_b32 v5, v4, s4, 0x800000
	v_add_nc_u32_e32 v7, 0xffffff88, v7
	v_mad_u64_u32 v[8:9], null, 0xfe5163ab, v5, 0
	v_cmp_lt_u32_e32 vcc_lo, 63, v7
	v_cndmask_b32_e64 v16, 0, 0xffffffc0, vcc_lo
	v_mad_u64_u32 v[11:12], null, 0x3c439041, v5, v[9:10]
	v_add_nc_u32_e32 v7, v16, v7
	v_mov_b32_e32 v9, v12
	v_cmp_lt_u32_e64 s4, 31, v7
	v_mad_u64_u32 v[12:13], null, 0xdb629599, v5, v[9:10]
	v_cndmask_b32_e64 v17, 0, 0xffffffe0, s4
	v_add_nc_u32_e32 v7, v17, v7
	v_mov_b32_e32 v9, v13
	v_cndmask_b32_e32 v8, v12, v8, vcc_lo
	v_cmp_lt_u32_e64 s5, 31, v7
	v_mad_u64_u32 v[13:14], null, 0xf534ddc0, v5, v[9:10]
	v_mov_b32_e32 v9, v14
	v_mad_u64_u32 v[14:15], null, 0xfc2757d1, v5, v[9:10]
	v_mov_b32_e32 v9, v15
	;; [unrolled: 2-line block ×3, first 2 shown]
	v_cndmask_b32_e32 v16, v15, v13, vcc_lo
	v_mad_u64_u32 v[9:10], null, 0xa2f9836e, v5, v[9:10]
	v_cndmask_b32_e64 v5, 0, 0xffffffe0, s5
	v_add_nc_u32_e32 v5, v5, v7
	v_cndmask_b32_e32 v9, v9, v14, vcc_lo
	v_cndmask_b32_e32 v10, v10, v15, vcc_lo
	;; [unrolled: 1-line block ×4, first 2 shown]
	v_sub_nc_u32_e32 v13, 32, v5
	v_cndmask_b32_e64 v11, v9, v16, s4
	v_cndmask_b32_e64 v9, v10, v9, s4
	;; [unrolled: 1-line block ×4, first 2 shown]
	v_cmp_eq_u32_e32 vcc_lo, 0, v5
	v_cndmask_b32_e64 v7, v7, v8, s4
	v_cndmask_b32_e64 v9, v9, v11, s5
	v_cndmask_b32_e64 v11, v11, v10, s5
	v_cndmask_b32_e64 v10, v10, v14, s5
	v_cndmask_b32_e64 v7, v14, v7, s5
	v_alignbit_b32 v15, v9, v11, v13
	v_alignbit_b32 v12, v11, v10, v13
	;; [unrolled: 1-line block ×3, first 2 shown]
	v_cndmask_b32_e32 v5, v15, v9, vcc_lo
	v_cndmask_b32_e32 v8, v12, v11, vcc_lo
	;; [unrolled: 1-line block ×3, first 2 shown]
	v_bfe_u32 v9, v5, 29, 1
	v_alignbit_b32 v11, v5, v8, 30
	v_alignbit_b32 v8, v8, v10, 30
	;; [unrolled: 1-line block ×3, first 2 shown]
	v_sub_nc_u32_e32 v12, 0, v9
	v_xor_b32_e32 v11, v11, v12
	v_xor_b32_e32 v8, v8, v12
	;; [unrolled: 1-line block ×3, first 2 shown]
	v_lshrrev_b32_e32 v12, 29, v5
	v_ffbh_u32_e32 v13, v11
	v_min_u32_e32 v13, 32, v13
	v_sub_nc_u32_e32 v10, 31, v13
	v_lshlrev_b32_e32 v14, 23, v13
	v_alignbit_b32 v11, v11, v8, v10
	v_alignbit_b32 v7, v8, v7, v10
	v_lshlrev_b32_e32 v8, 31, v12
	v_alignbit_b32 v10, v11, v7, 9
	v_or_b32_e32 v12, 0.5, v8
	v_lshrrev_b32_e32 v11, 9, v11
	v_or_b32_e32 v8, 0x33000000, v8
	v_ffbh_u32_e32 v15, v10
	v_sub_nc_u32_e32 v12, v12, v14
	v_min_u32_e32 v14, 32, v15
	v_or_b32_e32 v11, v11, v12
	v_not_b32_e32 v12, v14
	v_mul_f32_e32 v15, 0x3fc90fda, v11
	v_add_lshl_u32 v13, v14, v13, 23
	v_alignbit_b32 v7, v10, v7, v12
	v_fma_f32 v10, 0x3fc90fda, v11, -v15
	v_sub_nc_u32_e32 v8, v8, v13
	v_lshrrev_b32_e32 v7, 9, v7
	v_fmamk_f32 v10, v11, 0x33a22168, v10
	v_or_b32_e32 v7, v8, v7
	v_fmac_f32_e32 v10, 0x3fc90fda, v7
	v_lshrrev_b32_e32 v7, 30, v5
	v_add_f32_e32 v5, v15, v10
	v_add_nc_u32_e32 v8, v9, v7
                                        ; implicit-def: $vgpr9
	s_andn2_saveexec_b32 s4, s6
	s_cbranch_execnz .LBB22_130
	s_branch .LBB22_131
.LBB22_129:
	s_andn2_saveexec_b32 s4, s6
.LBB22_130:
	v_rndne_f32_e32 v7, v9
	v_fma_f32 v5, 0xbfc90fda, v7, |v0|
	v_cvt_i32_f32_e32 v8, v7
	v_fmamk_f32 v5, v7, 0xb3a22168, v5
	v_fmamk_f32 v5, v7, 0xa7c234c4, v5
.LBB22_131:
	s_or_b32 exec_lo, exec_lo, s4
	v_div_scale_f32 v7, null, v2, v2, 1.0
	v_div_scale_f32 v11, vcc_lo, 1.0, v2, 1.0
	v_mul_f32_e32 v14, 0x4f800000, v1
	v_rcp_f32_e32 v9, v7
	v_mul_f32_e32 v13, v3, v3
	s_mov_b32 s4, 0xb94c1982
	s_mov_b32 s5, 0x37d75334
	v_and_b32_e32 v15, 1, v8
	v_xor_b32_e32 v4, v4, v0
	v_lshlrev_b32_e32 v8, 30, v8
	v_fma_f32 v10, -v7, v9, 1.0
	v_and_b32_e32 v8, 0x80000000, v8
	v_fmac_f32_e32 v9, v10, v9
	v_mul_f32_e32 v10, v11, v9
	v_fma_f32 v12, -v7, v10, v11
	v_fmac_f32_e32 v10, v12, v9
	v_and_b32_e32 v12, 1, v6
	v_lshlrev_b32_e32 v6, 30, v6
	v_fma_f32 v7, -v7, v10, v11
	v_mul_f32_e32 v11, v5, v5
	v_cmp_eq_u32_e64 s6, 0, v12
	v_and_b32_e32 v6, 0x80000000, v6
	v_div_fmas_f32 v7, v7, v9, v10
	v_cmp_gt_f32_e32 vcc_lo, 0xf800000, v1
	v_fmaak_f32 v9, s4, v13, 0x3c0881c4
	v_fmaak_f32 v10, s5, v13, 0xbab64f3b
	v_div_fixup_f32 v2, v7, v2, 1.0
	v_cndmask_b32_e32 v1, v1, v14, vcc_lo
	v_fmaak_f32 v7, s4, v11, 0x3c0881c4
	v_fmaak_f32 v14, s5, v11, 0xbab64f3b
	;; [unrolled: 1-line block ×3, first 2 shown]
	v_mul_f32_e32 v16, v2, v2
	v_sqrt_f32_e32 v17, v1
	v_fmaak_f32 v10, v13, v10, 0x3d2aabf7
	v_fmaak_f32 v7, v11, v7, 0xbe2aaa9d
	;; [unrolled: 1-line block ×7, first 2 shown]
	v_mul_f32_e32 v9, v13, v9
	v_fmaak_f32 v18, v16, v18, 0x3ec83ea8
	v_fmaak_f32 v19, v16, v19, 0xbf205f75
	;; [unrolled: 1-line block ×4, first 2 shown]
	v_add_nc_u32_e32 v22, -1, v17
	v_fmaak_f32 v18, v16, v18, 0x3f886c1a
	v_fmaak_f32 v19, v16, v19, 0xbf3172ce
	;; [unrolled: 1-line block ×4, first 2 shown]
	v_add_nc_u32_e32 v23, 1, v17
	v_fmaak_f32 v18, v16, v18, 0x3f706d65
	v_fmaak_f32 v19, v16, v19, 0xbe8f3f52
	v_fma_f32 v24, -v22, v17, v1
	v_fmaak_f32 v20, v16, v20, 0x4112fe41
	v_fmaak_f32 v21, v16, v21, 0x40af4271
	;; [unrolled: 1-line block ×4, first 2 shown]
	v_fma_f32 v25, -v23, v17, v1
	v_cmp_ge_f32_e64 s4, 0, v24
	v_fmaak_f32 v20, v16, v20, 0x3fbcd65a
	v_fmaak_f32 v18, v16, v18, 0x3d81d209
	;; [unrolled: 1-line block ×4, first 2 shown]
	v_cndmask_b32_e64 v17, v17, v22, s4
	v_cmp_lt_f32_e64 s4, 0, v25
	v_fmaak_f32 v18, v16, v18, 0x3bbff4d0
	v_fmaak_f32 v20, v16, v20, 0x3deced66
	;; [unrolled: 1-line block ×4, first 2 shown]
	v_cndmask_b32_e64 v17, v17, v23, s4
	v_fmaak_f32 v18, v16, v18, 0x39944bb3
	v_fmaak_f32 v20, v16, v20, 0x3b904657
	;; [unrolled: 1-line block ×4, first 2 shown]
	v_mul_f32_e32 v22, 0x37800000, v17
	v_fmaak_f32 v18, v16, v18, 0x36ea79eb
	v_fmaak_f32 v20, v16, v20, 0x389e46bd
	;; [unrolled: 1-line block ×4, first 2 shown]
	v_cndmask_b32_e32 v17, v17, v22, vcc_lo
	v_fmaak_f32 v18, v16, v18, 0x33ae5496
	v_cmp_class_f32_e64 vcc_lo, v1, 0x260
	v_fmaak_f32 v20, v16, v20, 0x34f295ce
	v_fmaak_f32 v21, v16, v21, 0x359d422f
	v_mul_f32_e32 v19, v16, v19
	v_fmaak_f32 v18, v16, v18, 0x2fbbc524
	v_cndmask_b32_e32 v1, v17, v1, vcc_lo
	v_fmaak_f32 v10, v13, v10, 0xbf000004
	v_fmaak_f32 v16, v16, v21, 0x31a8fe3a
	v_div_scale_f32 v17, null, v20, v20, v19
	v_mul_f32_e32 v2, v2, v18
	v_div_scale_f32 v18, null, v1, v1, 0x3f106ebb
	v_rcp_f32_e32 v21, v17
	v_mul_f32_e32 v7, v11, v7
	v_div_scale_f32 v22, null, v16, v16, v2
	v_rcp_f32_e32 v23, v18
	v_fmaak_f32 v14, v11, v14, 0xbf000004
	v_fmac_f32_e32 v3, v3, v9
	v_fma_f32 v9, v13, v10, 1.0
	v_rcp_f32_e32 v10, v22
	v_fmac_f32_e32 v5, v5, v7
	v_fma_f32 v7, v11, v14, 1.0
	v_fma_f32 v11, -v17, v21, 1.0
	v_div_scale_f32 v24, vcc_lo, v19, v20, v19
	v_fma_f32 v14, -v18, v23, 1.0
	v_div_scale_f32 v13, s4, 0x3f106ebb, v1, 0x3f106ebb
	v_fmac_f32_e32 v21, v11, v21
	v_fma_f32 v11, -v22, v10, 1.0
	v_fmac_f32_e32 v23, v14, v23
	v_div_scale_f32 v14, s5, v2, v16, v2
	v_mul_f32_e32 v25, v24, v21
	v_fmac_f32_e32 v10, v11, v10
	v_mul_f32_e32 v11, v13, v23
	v_cndmask_b32_e64 v3, v9, v3, s6
	v_cmp_eq_u32_e64 s6, 0, v15
	v_fma_f32 v9, -v17, v25, v24
	v_mul_f32_e32 v12, v14, v10
	v_fma_f32 v26, -v18, v11, v13
	v_xor3_b32 v3, v4, v6, v3
	v_cndmask_b32_e64 v5, -v5, v7, s6
	v_fmac_f32_e32 v25, v9, v21
	v_fma_f32 v7, -v22, v12, v14
	v_fmac_f32_e32 v11, v26, v23
	v_cmp_class_f32_e64 s6, v0, 0x1f8
	v_xor_b32_e32 v5, v8, v5
	v_fma_f32 v0, -v17, v25, v24
	v_fmac_f32_e32 v12, v7, v10
	v_fma_f32 v4, -v18, v11, v13
	v_cndmask_b32_e64 v3, 0x7fc00000, v3, s6
	v_cndmask_b32_e64 v5, 0x7fc00000, v5, s6
	v_div_fmas_f32 v0, v0, v21, v25
	v_fma_f32 v6, -v22, v12, v14
	s_mov_b32 vcc_lo, s4
	v_div_fmas_f32 v4, v4, v23, v11
	s_mov_b32 vcc_lo, s5
	v_div_fixup_f32 v0, v0, v20, v19
	v_div_fmas_f32 v6, v6, v10, v12
	v_div_fixup_f32 v1, v4, v1, 0x3f106ebb
	v_add_f32_e32 v0, 1.0, v0
	v_div_fixup_f32 v2, v6, v16, v2
	v_mul_f32_e32 v2, v2, v5
	v_fma_f32 v0, v0, v3, -v2
	v_mul_f32_e32 v0, v1, v0
.LBB22_132:
	s_or_b32 exec_lo, exec_lo, s10
.LBB22_133:
	s_or_b32 exec_lo, exec_lo, s9
.LBB22_134:
	s_or_b32 exec_lo, exec_lo, s8
	s_or_b32 exec_lo, exec_lo, s7
	s_setpc_b64 s[30:31]
.LBB22_135:
	s_or_saveexec_b32 s12, s12
	v_mov_b32_e32 v2, 0x7f800001
	s_xor_b32 exec_lo, exec_lo, s12
	s_cbranch_execz .LBB22_104
.LBB22_136:
	v_cmp_ne_u16_e32 vcc_lo, 0, v3
	v_mov_b32_e32 v2, 0
	s_andn2_b32 s11, s11, exec_lo
	s_and_b32 s13, vcc_lo, exec_lo
	s_or_b32 s11, s11, s13
	s_or_b32 exec_lo, exec_lo, s12
	s_and_saveexec_b32 s12, s11
	s_cbranch_execnz .LBB22_105
	s_branch .LBB22_106
.Lfunc_end22:
	.size	_ZN2at6native6invokeIZZZNS0_12_GLOBAL__N_119airy_ai_kernel_cudaERNS_18TensorIteratorBaseEENKUlvE_clEvENKUlvE0_clEvEUlfE_j15function_traitsIS7_EEENT1_11result_typeERKT_PrKPcPKT0_PKN3c1010ScalarTypeEi, .Lfunc_end22-_ZN2at6native6invokeIZZZNS0_12_GLOBAL__N_119airy_ai_kernel_cudaERNS_18TensorIteratorBaseEENKUlvE_clEvENKUlvE0_clEvEUlfE_j15function_traitsIS7_EEENT1_11result_typeERKT_PrKPcPKT0_PKN3c1010ScalarTypeEi
                                        ; -- End function
	.set .L_ZN2at6native6invokeIZZZNS0_12_GLOBAL__N_119airy_ai_kernel_cudaERNS_18TensorIteratorBaseEENKUlvE_clEvENKUlvE0_clEvEUlfE_j15function_traitsIS7_EEENT1_11result_typeERKT_PrKPcPKT0_PKN3c1010ScalarTypeEi.num_vgpr, 27
	.set .L_ZN2at6native6invokeIZZZNS0_12_GLOBAL__N_119airy_ai_kernel_cudaERNS_18TensorIteratorBaseEENKUlvE_clEvENKUlvE0_clEvEUlfE_j15function_traitsIS7_EEENT1_11result_typeERKT_PrKPcPKT0_PKN3c1010ScalarTypeEi.num_agpr, 0
	.set .L_ZN2at6native6invokeIZZZNS0_12_GLOBAL__N_119airy_ai_kernel_cudaERNS_18TensorIteratorBaseEENKUlvE_clEvENKUlvE0_clEvEUlfE_j15function_traitsIS7_EEENT1_11result_typeERKT_PrKPcPKT0_PKN3c1010ScalarTypeEi.numbered_sgpr, 32
	.set .L_ZN2at6native6invokeIZZZNS0_12_GLOBAL__N_119airy_ai_kernel_cudaERNS_18TensorIteratorBaseEENKUlvE_clEvENKUlvE0_clEvEUlfE_j15function_traitsIS7_EEENT1_11result_typeERKT_PrKPcPKT0_PKN3c1010ScalarTypeEi.num_named_barrier, 0
	.set .L_ZN2at6native6invokeIZZZNS0_12_GLOBAL__N_119airy_ai_kernel_cudaERNS_18TensorIteratorBaseEENKUlvE_clEvENKUlvE0_clEvEUlfE_j15function_traitsIS7_EEENT1_11result_typeERKT_PrKPcPKT0_PKN3c1010ScalarTypeEi.private_seg_size, 0
	.set .L_ZN2at6native6invokeIZZZNS0_12_GLOBAL__N_119airy_ai_kernel_cudaERNS_18TensorIteratorBaseEENKUlvE_clEvENKUlvE0_clEvEUlfE_j15function_traitsIS7_EEENT1_11result_typeERKT_PrKPcPKT0_PKN3c1010ScalarTypeEi.uses_vcc, 1
	.set .L_ZN2at6native6invokeIZZZNS0_12_GLOBAL__N_119airy_ai_kernel_cudaERNS_18TensorIteratorBaseEENKUlvE_clEvENKUlvE0_clEvEUlfE_j15function_traitsIS7_EEENT1_11result_typeERKT_PrKPcPKT0_PKN3c1010ScalarTypeEi.uses_flat_scratch, 0
	.set .L_ZN2at6native6invokeIZZZNS0_12_GLOBAL__N_119airy_ai_kernel_cudaERNS_18TensorIteratorBaseEENKUlvE_clEvENKUlvE0_clEvEUlfE_j15function_traitsIS7_EEENT1_11result_typeERKT_PrKPcPKT0_PKN3c1010ScalarTypeEi.has_dyn_sized_stack, 0
	.set .L_ZN2at6native6invokeIZZZNS0_12_GLOBAL__N_119airy_ai_kernel_cudaERNS_18TensorIteratorBaseEENKUlvE_clEvENKUlvE0_clEvEUlfE_j15function_traitsIS7_EEENT1_11result_typeERKT_PrKPcPKT0_PKN3c1010ScalarTypeEi.has_recursion, 0
	.set .L_ZN2at6native6invokeIZZZNS0_12_GLOBAL__N_119airy_ai_kernel_cudaERNS_18TensorIteratorBaseEENKUlvE_clEvENKUlvE0_clEvEUlfE_j15function_traitsIS7_EEENT1_11result_typeERKT_PrKPcPKT0_PKN3c1010ScalarTypeEi.has_indirect_call, 0
	.section	.AMDGPU.csdata,"",@progbits
; Function info:
; codeLenInByte = 6336
; TotalNumSgprs: 34
; NumVgprs: 27
; ScratchSize: 0
; MemoryBound: 1
	.section	.text._ZN2at6native32elementwise_kernel_manual_unrollILi128ELi4EZNS0_15gpu_kernel_implIZZZNS0_12_GLOBAL__N_119airy_ai_kernel_cudaERNS_18TensorIteratorBaseEENKUlvE_clEvENKUlvE0_clEvEUlfE_EEvS5_RKT_EUlibE0_EEviT1_,"axG",@progbits,_ZN2at6native32elementwise_kernel_manual_unrollILi128ELi4EZNS0_15gpu_kernel_implIZZZNS0_12_GLOBAL__N_119airy_ai_kernel_cudaERNS_18TensorIteratorBaseEENKUlvE_clEvENKUlvE0_clEvEUlfE_EEvS5_RKT_EUlibE0_EEviT1_,comdat
	.globl	_ZN2at6native32elementwise_kernel_manual_unrollILi128ELi4EZNS0_15gpu_kernel_implIZZZNS0_12_GLOBAL__N_119airy_ai_kernel_cudaERNS_18TensorIteratorBaseEENKUlvE_clEvENKUlvE0_clEvEUlfE_EEvS5_RKT_EUlibE0_EEviT1_ ; -- Begin function _ZN2at6native32elementwise_kernel_manual_unrollILi128ELi4EZNS0_15gpu_kernel_implIZZZNS0_12_GLOBAL__N_119airy_ai_kernel_cudaERNS_18TensorIteratorBaseEENKUlvE_clEvENKUlvE0_clEvEUlfE_EEvS5_RKT_EUlibE0_EEviT1_
	.p2align	8
	.type	_ZN2at6native32elementwise_kernel_manual_unrollILi128ELi4EZNS0_15gpu_kernel_implIZZZNS0_12_GLOBAL__N_119airy_ai_kernel_cudaERNS_18TensorIteratorBaseEENKUlvE_clEvENKUlvE0_clEvEUlfE_EEvS5_RKT_EUlibE0_EEviT1_,@function
_ZN2at6native32elementwise_kernel_manual_unrollILi128ELi4EZNS0_15gpu_kernel_implIZZZNS0_12_GLOBAL__N_119airy_ai_kernel_cudaERNS_18TensorIteratorBaseEENKUlvE_clEvENKUlvE0_clEvEUlfE_EEvS5_RKT_EUlibE0_EEviT1_: ; @_ZN2at6native32elementwise_kernel_manual_unrollILi128ELi4EZNS0_15gpu_kernel_implIZZZNS0_12_GLOBAL__N_119airy_ai_kernel_cudaERNS_18TensorIteratorBaseEENKUlvE_clEvENKUlvE0_clEvEUlfE_EEvS5_RKT_EUlibE0_EEviT1_
; %bb.0:
	s_clause 0x1
	s_load_dword s33, s[4:5], 0x8
	s_load_dword s46, s[4:5], 0x0
	v_lshl_or_b32 v30, s6, 9, v0
	s_add_u32 s0, s0, s7
	s_mov_b64 s[16:17], s[4:5]
	s_addc_u32 s1, s1, 0
	s_add_u32 s18, s16, 8
	s_addc_u32 s19, s17, 0
	v_or_b32_e32 v1, 0x180, v30
	s_mov_b32 s4, -1
	s_mov_b32 s41, 0
	s_mov_b32 s20, 0
	;; [unrolled: 1-line block ×3, first 2 shown]
	s_mov_b32 s5, exec_lo
	s_waitcnt lgkmcnt(0)
	s_add_i32 s40, s33, -1
	s_cmp_gt_u32 s40, 1
	s_cselect_b32 s42, -1, 0
	v_cmpx_le_i32_e64 s46, v1
	s_xor_b32 s43, exec_lo, s5
	s_cbranch_execz .LBB23_570
; %bb.1:
	v_mov_b32_e32 v0, 0
	s_clause 0x3
	s_load_dwordx4 s[36:39], s[18:19], 0x4
	s_load_dwordx2 s[28:29], s[18:19], 0x14
	s_load_dwordx4 s[24:27], s[18:19], 0xc4
	s_load_dwordx4 s[20:23], s[18:19], 0x148
	v_mov_b32_e32 v1, 8
	s_cmp_lg_u32 s33, 0
	s_mov_b32 s51, 0
	global_load_ushort v0, v0, s[18:19] offset:345
	s_cselect_b32 s48, -1, 0
	s_add_u32 s34, s18, 0xc4
	s_addc_u32 s35, s19, 0
	s_min_u32 s47, s40, 15
	s_cmp_gt_u32 s33, 1
	s_mov_b32 s49, 0
	s_cselect_b32 s45, -1, 0
	s_mov_b32 s50, exec_lo
	s_waitcnt vmcnt(0)
	v_readfirstlane_b32 s44, v0
	v_lshrrev_b32_sdwa v27, v1, v0 dst_sel:DWORD dst_unused:UNUSED_PAD src0_sel:DWORD src1_sel:WORD_0
	v_cmpx_gt_i32_e64 s46, v30
	s_cbranch_execz .LBB23_138
; %bb.2:
	s_andn2_b32 vcc_lo, exec_lo, s42
	s_cbranch_vccnz .LBB23_7
; %bb.3:
	s_andn2_b32 vcc_lo, exec_lo, s48
	s_cbranch_vccnz .LBB23_8
; %bb.4:
	s_add_i32 s9, s47, 1
	s_cmp_eq_u32 s40, 2
	s_cbranch_scc1 .LBB23_9
; %bb.5:
	v_mov_b32_e32 v2, 0
	v_mov_b32_e32 v28, 0
	;; [unrolled: 1-line block ×3, first 2 shown]
	s_and_b32 s8, s9, 28
	s_mov_b32 s10, 0
	s_mov_b64 s[4:5], s[18:19]
	s_mov_b64 s[6:7], s[34:35]
.LBB23_6:                               ; =>This Inner Loop Header: Depth=1
	s_clause 0x1
	s_load_dwordx8 s[52:59], s[4:5], 0x4
	s_load_dwordx4 s[12:15], s[4:5], 0x24
	s_load_dwordx8 s[60:67], s[6:7], 0x0
	s_add_u32 s4, s4, 48
	s_addc_u32 s5, s5, 0
	s_add_i32 s10, s10, 4
	s_add_u32 s6, s6, 32
	s_addc_u32 s7, s7, 0
	s_cmp_lg_u32 s8, s10
	s_waitcnt lgkmcnt(0)
	v_mul_hi_u32 v1, s53, v0
	v_add_nc_u32_e32 v1, v0, v1
	v_lshrrev_b32_e32 v1, s54, v1
	v_mul_hi_u32 v3, s56, v1
	v_mul_lo_u32 v5, v1, s52
	v_add_nc_u32_e32 v3, v1, v3
	v_sub_nc_u32_e32 v0, v0, v5
	v_lshrrev_b32_e32 v3, s57, v3
	v_mul_lo_u32 v5, v0, s60
	v_mul_lo_u32 v7, v0, s61
	v_mul_hi_u32 v4, s59, v3
	v_add_nc_u32_e32 v4, v3, v4
	v_lshrrev_b32_e32 v4, s12, v4
	v_mul_hi_u32 v6, s14, v4
	v_mul_lo_u32 v8, v4, s58
	v_add_nc_u32_e32 v0, v4, v6
	v_mul_lo_u32 v6, v3, s55
	v_sub_nc_u32_e32 v3, v3, v8
	v_lshrrev_b32_e32 v0, s15, v0
	v_mul_lo_u32 v8, v3, s64
	v_mul_lo_u32 v3, v3, s65
	v_sub_nc_u32_e32 v1, v1, v6
	v_mul_lo_u32 v9, v0, s13
	v_mul_lo_u32 v6, v1, s62
	;; [unrolled: 1-line block ×3, first 2 shown]
	v_sub_nc_u32_e32 v4, v4, v9
	v_add3_u32 v5, v5, v28, v6
	v_mul_lo_u32 v9, v4, s66
	v_mul_lo_u32 v4, v4, s67
	v_add3_u32 v1, v7, v2, v1
	v_add3_u32 v28, v8, v5, v9
	;; [unrolled: 1-line block ×3, first 2 shown]
	s_cbranch_scc1 .LBB23_6
	s_branch .LBB23_10
.LBB23_7:
                                        ; implicit-def: $vgpr28
                                        ; implicit-def: $vgpr2
	s_andn2_b32 vcc_lo, exec_lo, s4
	s_cbranch_vccz .LBB23_14
	s_branch .LBB23_16
.LBB23_8:
	v_mov_b32_e32 v28, 0
	v_mov_b32_e32 v2, 0
	s_branch .LBB23_13
.LBB23_9:
	v_mov_b32_e32 v28, 0
	v_mov_b32_e32 v2, 0
	;; [unrolled: 1-line block ×3, first 2 shown]
	s_mov_b32 s8, 0
.LBB23_10:
	s_and_b32 s9, s9, 3
	s_cmp_eq_u32 s9, 0
	s_cbranch_scc1 .LBB23_13
; %bb.11:
	s_lshl_b32 s4, s8, 3
	s_mul_i32 s6, s8, 12
	s_add_u32 s4, s18, s4
	s_addc_u32 s5, s19, 0
	s_add_u32 s4, s4, 0xc4
	s_addc_u32 s5, s5, 0
	;; [unrolled: 2-line block ×3, first 2 shown]
	.p2align	6
.LBB23_12:                              ; =>This Inner Loop Header: Depth=1
	s_clause 0x1
	s_load_dwordx2 s[10:11], s[6:7], 0x4
	s_load_dword s8, s[6:7], 0xc
	s_load_dwordx2 s[12:13], s[4:5], 0x0
	s_add_u32 s6, s6, 12
	s_addc_u32 s7, s7, 0
	s_add_u32 s4, s4, 8
	s_addc_u32 s5, s5, 0
	s_add_i32 s9, s9, -1
	s_cmp_lg_u32 s9, 0
	s_waitcnt lgkmcnt(0)
	v_mul_hi_u32 v1, s11, v0
	v_add_nc_u32_e32 v1, v0, v1
	v_lshrrev_b32_e32 v1, s8, v1
	v_mul_lo_u32 v3, v1, s10
	v_sub_nc_u32_e32 v0, v0, v3
	v_mad_u64_u32 v[28:29], null, v0, s12, v[28:29]
	v_mad_u64_u32 v[2:3], null, v0, s13, v[2:3]
	v_mov_b32_e32 v0, v1
	s_cbranch_scc1 .LBB23_12
.LBB23_13:
	s_cbranch_execnz .LBB23_16
.LBB23_14:
	s_waitcnt lgkmcnt(0)
	v_mul_hi_u32 v0, s37, v30
	s_andn2_b32 vcc_lo, exec_lo, s45
	v_add_nc_u32_e32 v0, v30, v0
	v_lshrrev_b32_e32 v0, s38, v0
	v_mul_lo_u32 v1, v0, s36
	v_sub_nc_u32_e32 v1, v30, v1
	v_mul_lo_u32 v28, v1, s24
	v_mul_lo_u32 v2, v1, s25
	s_cbranch_vccnz .LBB23_16
; %bb.15:
	v_mul_hi_u32 v1, s28, v0
	v_add_nc_u32_e32 v1, v0, v1
	v_lshrrev_b32_e32 v1, s29, v1
	v_mul_lo_u32 v1, v1, s39
	v_sub_nc_u32_e32 v0, v0, v1
	v_mad_u64_u32 v[28:29], null, v0, s26, v[28:29]
	v_mad_u64_u32 v[2:3], null, v0, s27, v[2:3]
.LBB23_16:
	s_waitcnt lgkmcnt(0)
	v_mov_b32_e32 v0, s22
	v_mov_b32_e32 v1, s23
	;; [unrolled: 1-line block ×3, first 2 shown]
	s_getpc_b64 s[4:5]
	s_add_u32 s4, s4, _ZN2at6native6invokeIZZZNS0_12_GLOBAL__N_119airy_ai_kernel_cudaERNS_18TensorIteratorBaseEENKUlvE_clEvENKUlvE0_clEvEUlfE_j15function_traitsIS7_EEENT1_11result_typeERKT_PrKPcPKT0_PKN3c1010ScalarTypeEi@rel32@lo+4
	s_addc_u32 s5, s5, _ZN2at6native6invokeIZZZNS0_12_GLOBAL__N_119airy_ai_kernel_cudaERNS_18TensorIteratorBaseEENKUlvE_clEvENKUlvE0_clEvEUlfE_j15function_traitsIS7_EEENT1_11result_typeERKT_PrKPcPKT0_PKN3c1010ScalarTypeEi@rel32@hi+12
	s_swappc_b64 s[30:31], s[4:5]
	v_add_co_u32 v2, s4, s20, v28
	v_add_co_ci_u32_e64 v3, null, s21, 0, s4
	s_and_b32 s5, s44, 0xff
	s_cmp_lt_i32 s5, 11
	s_cbranch_scc1 .LBB23_23
; %bb.17:
	s_and_b32 s6, 0xffff, s5
	s_cmp_gt_i32 s6, 25
	s_cbranch_scc0 .LBB23_26
; %bb.18:
	s_cmp_gt_i32 s6, 28
	s_cbranch_scc0 .LBB23_27
; %bb.19:
	;; [unrolled: 3-line block ×4, first 2 shown]
	s_mov_b32 s8, 0
	s_mov_b32 s4, -1
	s_cmp_eq_u32 s6, 46
	s_mov_b32 s7, 0
	s_cbranch_scc0 .LBB23_30
; %bb.22:
	v_bfe_u32 v1, v0, 16, 1
	v_cmp_o_f32_e32 vcc_lo, v0, v0
	v_mov_b32_e32 v4, 0x7fc0
	s_mov_b32 s7, -1
	s_mov_b32 s4, 0
	v_add3_u32 v1, v0, v1, 0x7fff
	v_cndmask_b32_sdwa v1, v4, v1, vcc_lo dst_sel:DWORD dst_unused:UNUSED_PAD src0_sel:DWORD src1_sel:WORD_1
	global_store_dword v[2:3], v1, off
	s_branch .LBB23_30
.LBB23_23:
	s_mov_b32 s4, 0
	s_mov_b32 s7, 0
	s_cbranch_execnz .LBB23_98
.LBB23_24:
	s_andn2_b32 vcc_lo, exec_lo, s7
	s_cbranch_vccnz .LBB23_136
.LBB23_25:
	v_add_nc_u32_e32 v30, 0x80, v30
	s_mov_b32 s5, -1
	s_branch .LBB23_137
.LBB23_26:
	s_mov_b32 s4, 0
	s_mov_b32 s7, 0
	s_cbranch_execnz .LBB23_57
	s_branch .LBB23_97
.LBB23_27:
	s_mov_b32 s8, -1
	s_mov_b32 s4, 0
	s_mov_b32 s7, 0
	s_branch .LBB23_40
.LBB23_28:
	s_mov_b32 s8, -1
	s_mov_b32 s4, 0
	s_mov_b32 s7, 0
	s_branch .LBB23_36
.LBB23_29:
	s_mov_b32 s8, -1
	s_mov_b32 s4, 0
	s_mov_b32 s7, 0
.LBB23_30:
	s_and_b32 vcc_lo, exec_lo, s8
	s_cbranch_vccz .LBB23_35
; %bb.31:
	s_cmp_eq_u32 s6, 44
	s_mov_b32 s4, -1
	s_cbranch_scc0 .LBB23_35
; %bb.32:
	v_bfe_u32 v4, v0, 23, 8
	v_mov_b32_e32 v1, 0xff
	s_mov_b32 s7, exec_lo
	v_cmpx_ne_u32_e32 0xff, v4
	s_cbranch_execz .LBB23_34
; %bb.33:
	v_and_b32_e32 v1, 0x400000, v0
	v_and_or_b32 v4, 0x3fffff, v0, v4
	v_cmp_ne_u32_e32 vcc_lo, 0, v1
	v_cmp_ne_u32_e64 s4, 0, v4
	v_lshrrev_b32_e32 v1, 23, v0
	s_and_b32 s4, vcc_lo, s4
	v_cndmask_b32_e64 v4, 0, 1, s4
	v_add_nc_u32_e32 v1, v1, v4
.LBB23_34:
	s_or_b32 exec_lo, exec_lo, s7
	s_mov_b32 s7, -1
	s_mov_b32 s4, 0
	global_store_byte v[2:3], v1, off
.LBB23_35:
	s_mov_b32 s8, 0
.LBB23_36:
	s_and_b32 vcc_lo, exec_lo, s8
	s_cbranch_vccz .LBB23_39
; %bb.37:
	s_cmp_eq_u32 s6, 29
	s_mov_b32 s4, -1
	s_cbranch_scc0 .LBB23_39
; %bb.38:
	v_trunc_f32_e32 v1, v0
	s_mov_b32 s7, -1
	s_mov_b32 s4, 0
	s_mov_b32 s8, 0
	v_mul_f32_e32 v4, 0x2f800000, v1
	v_floor_f32_e32 v4, v4
	v_fmamk_f32 v1, v4, 0xcf800000, v1
	v_cvt_u32_f32_e32 v5, v4
	v_cvt_u32_f32_e32 v4, v1
	global_store_dwordx2 v[2:3], v[4:5], off
	s_branch .LBB23_40
.LBB23_39:
	s_mov_b32 s8, 0
.LBB23_40:
	s_and_b32 vcc_lo, exec_lo, s8
	s_cbranch_vccz .LBB23_56
; %bb.41:
	s_cmp_lt_i32 s6, 27
	s_mov_b32 s7, -1
	s_cbranch_scc1 .LBB23_47
; %bb.42:
	s_cmp_gt_i32 s6, 27
	s_cbranch_scc0 .LBB23_44
; %bb.43:
	v_cvt_u32_f32_e32 v1, v0
	s_mov_b32 s7, 0
	global_store_dword v[2:3], v1, off
.LBB23_44:
	s_andn2_b32 vcc_lo, exec_lo, s7
	s_cbranch_vccnz .LBB23_46
; %bb.45:
	v_cvt_u32_f32_e32 v1, v0
	global_store_short v[2:3], v1, off
.LBB23_46:
	s_mov_b32 s7, 0
.LBB23_47:
	s_andn2_b32 vcc_lo, exec_lo, s7
	s_cbranch_vccnz .LBB23_55
; %bb.48:
	v_and_b32_e32 v1, 0x7fffffff, v0
	v_mov_b32_e32 v4, 0x80
	s_mov_b32 s7, exec_lo
	v_cmpx_gt_u32_e32 0x43800000, v1
	s_cbranch_execz .LBB23_54
; %bb.49:
	v_cmp_lt_u32_e32 vcc_lo, 0x3bffffff, v1
	s_mov_b32 s8, 0
                                        ; implicit-def: $vgpr1
	s_and_saveexec_b32 s9, vcc_lo
	s_xor_b32 s9, exec_lo, s9
	s_cbranch_execz .LBB23_169
; %bb.50:
	v_bfe_u32 v1, v0, 20, 1
	s_mov_b32 s8, exec_lo
	v_add3_u32 v1, v0, v1, 0x487ffff
	v_lshrrev_b32_e32 v1, 20, v1
	s_andn2_saveexec_b32 s9, s9
	s_cbranch_execnz .LBB23_170
.LBB23_51:
	s_or_b32 exec_lo, exec_lo, s9
	v_mov_b32_e32 v4, 0
	s_and_saveexec_b32 s9, s8
.LBB23_52:
	v_lshrrev_b32_e32 v4, 24, v0
	v_and_or_b32 v4, 0x80, v4, v1
.LBB23_53:
	s_or_b32 exec_lo, exec_lo, s9
.LBB23_54:
	s_or_b32 exec_lo, exec_lo, s7
	global_store_byte v[2:3], v4, off
.LBB23_55:
	s_mov_b32 s7, -1
.LBB23_56:
	s_branch .LBB23_97
.LBB23_57:
	s_cmp_gt_i32 s6, 22
	s_mov_b32 s8, -1
	s_cbranch_scc0 .LBB23_89
; %bb.58:
	s_cmp_lt_i32 s6, 24
	s_mov_b32 s7, -1
	s_cbranch_scc1 .LBB23_78
; %bb.59:
	s_cmp_gt_i32 s6, 24
	s_cbranch_scc0 .LBB23_67
; %bb.60:
	v_and_b32_e32 v1, 0x7fffffff, v0
	v_mov_b32_e32 v4, 0x80
	s_mov_b32 s7, exec_lo
	v_cmpx_gt_u32_e32 0x47800000, v1
	s_cbranch_execz .LBB23_66
; %bb.61:
	v_cmp_lt_u32_e32 vcc_lo, 0x37ffffff, v1
	s_mov_b32 s8, 0
                                        ; implicit-def: $vgpr1
	s_and_saveexec_b32 s9, vcc_lo
	s_xor_b32 s9, exec_lo, s9
	s_cbranch_execz .LBB23_172
; %bb.62:
	v_bfe_u32 v1, v0, 21, 1
	s_mov_b32 s8, exec_lo
	v_add3_u32 v1, v0, v1, 0x88fffff
	v_lshrrev_b32_e32 v1, 21, v1
	s_andn2_saveexec_b32 s9, s9
	s_cbranch_execnz .LBB23_173
.LBB23_63:
	s_or_b32 exec_lo, exec_lo, s9
	v_mov_b32_e32 v4, 0
	s_and_saveexec_b32 s9, s8
.LBB23_64:
	v_lshrrev_b32_e32 v4, 24, v0
	v_and_or_b32 v4, 0x80, v4, v1
.LBB23_65:
	s_or_b32 exec_lo, exec_lo, s9
.LBB23_66:
	s_or_b32 exec_lo, exec_lo, s7
	s_mov_b32 s7, 0
	global_store_byte v[2:3], v4, off
.LBB23_67:
	s_and_b32 vcc_lo, exec_lo, s7
	s_cbranch_vccz .LBB23_77
; %bb.68:
	v_and_b32_e32 v4, 0x7fffffff, v0
	s_mov_b32 s7, exec_lo
                                        ; implicit-def: $vgpr1
	v_cmpx_gt_u32_e32 0x43f00000, v4
	s_xor_b32 s7, exec_lo, s7
	s_cbranch_execz .LBB23_74
; %bb.69:
	s_mov_b32 s8, exec_lo
                                        ; implicit-def: $vgpr1
	v_cmpx_lt_u32_e32 0x3c7fffff, v4
	s_xor_b32 s8, exec_lo, s8
; %bb.70:
	v_bfe_u32 v1, v0, 20, 1
	v_add3_u32 v1, v0, v1, 0x407ffff
	v_and_b32_e32 v4, 0xff00000, v1
	v_lshrrev_b32_e32 v1, 20, v1
	v_cmp_ne_u32_e32 vcc_lo, 0x7f00000, v4
	v_cndmask_b32_e32 v1, 0x7e, v1, vcc_lo
; %bb.71:
	s_andn2_saveexec_b32 s8, s8
; %bb.72:
	v_add_f32_e64 v1, 0x46800000, |v0|
; %bb.73:
	s_or_b32 exec_lo, exec_lo, s8
                                        ; implicit-def: $vgpr4
.LBB23_74:
	s_andn2_saveexec_b32 s7, s7
; %bb.75:
	v_mov_b32_e32 v1, 0x7f
	v_cmp_lt_u32_e32 vcc_lo, 0x7f800000, v4
	v_cndmask_b32_e32 v1, 0x7e, v1, vcc_lo
; %bb.76:
	s_or_b32 exec_lo, exec_lo, s7
	v_lshrrev_b32_e32 v4, 24, v0
	v_and_or_b32 v1, 0x80, v4, v1
	global_store_byte v[2:3], v1, off
.LBB23_77:
	s_mov_b32 s7, 0
.LBB23_78:
	s_andn2_b32 vcc_lo, exec_lo, s7
	s_cbranch_vccnz .LBB23_88
; %bb.79:
	v_and_b32_e32 v4, 0x7fffffff, v0
	s_mov_b32 s7, exec_lo
                                        ; implicit-def: $vgpr1
	v_cmpx_gt_u32_e32 0x47800000, v4
	s_xor_b32 s7, exec_lo, s7
	s_cbranch_execz .LBB23_85
; %bb.80:
	s_mov_b32 s8, exec_lo
                                        ; implicit-def: $vgpr1
	v_cmpx_lt_u32_e32 0x387fffff, v4
	s_xor_b32 s8, exec_lo, s8
; %bb.81:
	v_bfe_u32 v1, v0, 21, 1
	v_add3_u32 v1, v0, v1, 0x80fffff
	v_lshrrev_b32_e32 v1, 21, v1
; %bb.82:
	s_andn2_saveexec_b32 s8, s8
; %bb.83:
	v_add_f32_e64 v1, 0x43000000, |v0|
; %bb.84:
	s_or_b32 exec_lo, exec_lo, s8
                                        ; implicit-def: $vgpr4
.LBB23_85:
	s_andn2_saveexec_b32 s7, s7
; %bb.86:
	v_mov_b32_e32 v1, 0x7f
	v_cmp_lt_u32_e32 vcc_lo, 0x7f800000, v4
	v_cndmask_b32_e32 v1, 0x7c, v1, vcc_lo
; %bb.87:
	s_or_b32 exec_lo, exec_lo, s7
	v_lshrrev_b32_e32 v4, 24, v0
	v_and_or_b32 v1, 0x80, v4, v1
	global_store_byte v[2:3], v1, off
.LBB23_88:
	s_mov_b32 s8, 0
	s_mov_b32 s7, -1
.LBB23_89:
	s_andn2_b32 vcc_lo, exec_lo, s8
	s_cbranch_vccnz .LBB23_97
; %bb.90:
	s_cmp_gt_i32 s6, 14
	s_mov_b32 s8, -1
	s_cbranch_scc0 .LBB23_94
; %bb.91:
	s_cmp_eq_u32 s6, 15
	s_mov_b32 s4, -1
	s_cbranch_scc0 .LBB23_93
; %bb.92:
	v_bfe_u32 v1, v0, 16, 1
	v_cmp_o_f32_e32 vcc_lo, v0, v0
	v_mov_b32_e32 v4, 0x7fc0
	s_mov_b32 s7, -1
	s_mov_b32 s4, 0
	v_add3_u32 v1, v0, v1, 0x7fff
	v_cndmask_b32_sdwa v1, v4, v1, vcc_lo dst_sel:DWORD dst_unused:UNUSED_PAD src0_sel:DWORD src1_sel:WORD_1
	global_store_short v[2:3], v1, off
.LBB23_93:
	s_mov_b32 s8, 0
.LBB23_94:
	s_and_b32 vcc_lo, exec_lo, s8
	s_cbranch_vccz .LBB23_97
; %bb.95:
	s_cmp_eq_u32 s6, 11
	s_mov_b32 s4, -1
	s_cbranch_scc0 .LBB23_97
; %bb.96:
	v_cmp_neq_f32_e32 vcc_lo, 0, v0
	s_mov_b32 s4, 0
	s_mov_b32 s7, -1
	v_cndmask_b32_e64 v1, 0, 1, vcc_lo
	global_store_byte v[2:3], v1, off
.LBB23_97:
	s_branch .LBB23_24
.LBB23_98:
	s_and_b32 s5, 0xffff, s5
	s_mov_b32 s6, -1
	s_cmp_lt_i32 s5, 5
	s_cbranch_scc1 .LBB23_119
; %bb.99:
	s_cmp_lt_i32 s5, 8
	s_cbranch_scc1 .LBB23_109
; %bb.100:
	;; [unrolled: 3-line block ×3, first 2 shown]
	s_cmp_gt_i32 s5, 9
	s_cbranch_scc0 .LBB23_103
; %bb.102:
	v_cvt_f64_f32_e32 v[4:5], v0
	v_mov_b32_e32 v6, 0
	s_mov_b32 s6, 0
	v_mov_b32_e32 v7, v6
	global_store_dwordx4 v[2:3], v[4:7], off
.LBB23_103:
	s_andn2_b32 vcc_lo, exec_lo, s6
	s_cbranch_vccnz .LBB23_105
; %bb.104:
	v_mov_b32_e32 v1, 0
	global_store_dwordx2 v[2:3], v[0:1], off
.LBB23_105:
	s_mov_b32 s6, 0
.LBB23_106:
	s_andn2_b32 vcc_lo, exec_lo, s6
	s_cbranch_vccnz .LBB23_108
; %bb.107:
	v_cvt_f16_f32_e32 v1, v0
	v_and_b32_e32 v1, 0xffff, v1
	global_store_dword v[2:3], v1, off
.LBB23_108:
	s_mov_b32 s6, 0
.LBB23_109:
	s_andn2_b32 vcc_lo, exec_lo, s6
	s_cbranch_vccnz .LBB23_118
; %bb.110:
	s_cmp_lt_i32 s5, 6
	s_mov_b32 s6, -1
	s_cbranch_scc1 .LBB23_116
; %bb.111:
	s_cmp_gt_i32 s5, 6
	s_cbranch_scc0 .LBB23_113
; %bb.112:
	v_cvt_f64_f32_e32 v[4:5], v0
	s_mov_b32 s6, 0
	global_store_dwordx2 v[2:3], v[4:5], off
.LBB23_113:
	s_andn2_b32 vcc_lo, exec_lo, s6
	s_cbranch_vccnz .LBB23_115
; %bb.114:
	global_store_dword v[2:3], v0, off
.LBB23_115:
	s_mov_b32 s6, 0
.LBB23_116:
	s_andn2_b32 vcc_lo, exec_lo, s6
	s_cbranch_vccnz .LBB23_118
; %bb.117:
	v_cvt_f16_f32_e32 v1, v0
	global_store_short v[2:3], v1, off
.LBB23_118:
	s_mov_b32 s6, 0
.LBB23_119:
	s_andn2_b32 vcc_lo, exec_lo, s6
	s_cbranch_vccnz .LBB23_135
; %bb.120:
	s_cmp_lt_i32 s5, 2
	s_mov_b32 s6, -1
	s_cbranch_scc1 .LBB23_130
; %bb.121:
	s_cmp_lt_i32 s5, 3
	s_cbranch_scc1 .LBB23_127
; %bb.122:
	s_cmp_gt_i32 s5, 3
	s_cbranch_scc0 .LBB23_124
; %bb.123:
	v_trunc_f32_e32 v1, v0
	s_mov_b32 s6, 0
	v_mul_f32_e64 v4, 0x2f800000, |v1|
	v_floor_f32_e32 v4, v4
	v_fma_f32 v5, 0xcf800000, v4, |v1|
	v_ashrrev_i32_e32 v1, 31, v1
	v_cvt_u32_f32_e32 v4, v4
	v_cvt_u32_f32_e32 v5, v5
	v_xor_b32_e32 v6, v4, v1
	v_xor_b32_e32 v5, v5, v1
	v_sub_co_u32 v4, vcc_lo, v5, v1
	v_sub_co_ci_u32_e64 v5, null, v6, v1, vcc_lo
	global_store_dwordx2 v[2:3], v[4:5], off
.LBB23_124:
	s_andn2_b32 vcc_lo, exec_lo, s6
	s_cbranch_vccnz .LBB23_126
; %bb.125:
	v_cvt_i32_f32_e32 v1, v0
	global_store_dword v[2:3], v1, off
.LBB23_126:
	s_mov_b32 s6, 0
.LBB23_127:
	s_andn2_b32 vcc_lo, exec_lo, s6
	s_cbranch_vccnz .LBB23_129
; %bb.128:
	v_cvt_i32_f32_e32 v1, v0
	global_store_short v[2:3], v1, off
.LBB23_129:
	s_mov_b32 s6, 0
.LBB23_130:
	s_andn2_b32 vcc_lo, exec_lo, s6
	s_cbranch_vccnz .LBB23_135
; %bb.131:
	s_cmp_gt_i32 s5, 0
	s_mov_b32 s5, -1
	s_cbranch_scc0 .LBB23_133
; %bb.132:
	v_cvt_i32_f32_e32 v1, v0
	s_mov_b32 s5, 0
	global_store_byte v[2:3], v1, off
.LBB23_133:
	s_andn2_b32 vcc_lo, exec_lo, s5
	s_cbranch_vccnz .LBB23_135
; %bb.134:
	v_trunc_f32_e32 v0, v0
	v_mul_f32_e64 v1, 0x2f800000, |v0|
	v_floor_f32_e32 v1, v1
	v_fma_f32 v1, 0xcf800000, v1, |v0|
	v_ashrrev_i32_e32 v0, 31, v0
	v_cvt_u32_f32_e32 v1, v1
	v_xor_b32_e32 v1, v1, v0
	v_sub_nc_u32_e32 v0, v1, v0
	global_store_byte v[2:3], v0, off
.LBB23_135:
	s_branch .LBB23_25
.LBB23_136:
	s_mov_b32 s5, 0
                                        ; implicit-def: $vgpr30
.LBB23_137:
	s_and_b32 s49, s4, exec_lo
	s_orn2_b32 s4, s5, exec_lo
.LBB23_138:
	s_or_b32 exec_lo, exec_lo, s50
	s_mov_b32 s6, 0
                                        ; implicit-def: $sgpr5
                                        ; implicit-def: $vgpr2_vgpr3
                                        ; implicit-def: $vgpr0
	s_and_saveexec_b32 s50, s4
	s_cbranch_execz .LBB23_145
; %bb.139:
	s_mov_b32 s7, -1
	s_mov_b32 s51, s49
	s_mov_b32 s52, exec_lo
	v_cmpx_gt_i32_e64 s46, v30
	s_cbranch_execz .LBB23_284
; %bb.140:
	s_andn2_b32 vcc_lo, exec_lo, s42
	s_cbranch_vccnz .LBB23_148
; %bb.141:
	s_andn2_b32 vcc_lo, exec_lo, s48
	s_cbranch_vccnz .LBB23_149
; %bb.142:
	s_add_i32 s9, s47, 1
	s_cmp_eq_u32 s40, 2
	s_cbranch_scc1 .LBB23_150
; %bb.143:
	v_mov_b32_e32 v2, 0
	v_mov_b32_e32 v28, 0
	;; [unrolled: 1-line block ×3, first 2 shown]
	s_and_b32 s8, s9, 28
	s_mov_b32 s10, 0
	s_mov_b64 s[4:5], s[18:19]
	s_mov_b64 s[6:7], s[34:35]
.LBB23_144:                             ; =>This Inner Loop Header: Depth=1
	s_clause 0x1
	s_load_dwordx8 s[56:63], s[4:5], 0x4
	s_load_dwordx4 s[12:15], s[4:5], 0x24
	s_load_dwordx8 s[64:71], s[6:7], 0x0
	s_add_u32 s4, s4, 48
	s_addc_u32 s5, s5, 0
	s_add_i32 s10, s10, 4
	s_add_u32 s6, s6, 32
	s_addc_u32 s7, s7, 0
	s_cmp_eq_u32 s8, s10
	s_waitcnt lgkmcnt(0)
	v_mul_hi_u32 v1, s57, v0
	v_add_nc_u32_e32 v1, v0, v1
	v_lshrrev_b32_e32 v1, s58, v1
	v_mul_hi_u32 v3, s60, v1
	v_mul_lo_u32 v5, v1, s56
	v_add_nc_u32_e32 v3, v1, v3
	v_sub_nc_u32_e32 v0, v0, v5
	v_lshrrev_b32_e32 v3, s61, v3
	v_mul_lo_u32 v5, v0, s64
	v_mul_lo_u32 v7, v0, s65
	v_mul_hi_u32 v4, s63, v3
	v_add_nc_u32_e32 v4, v3, v4
	v_lshrrev_b32_e32 v4, s12, v4
	v_mul_hi_u32 v6, s14, v4
	v_mul_lo_u32 v8, v4, s62
	v_add_nc_u32_e32 v0, v4, v6
	v_mul_lo_u32 v6, v3, s59
	v_sub_nc_u32_e32 v3, v3, v8
	v_lshrrev_b32_e32 v0, s15, v0
	v_mul_lo_u32 v8, v3, s68
	v_mul_lo_u32 v3, v3, s69
	v_sub_nc_u32_e32 v1, v1, v6
	v_mul_lo_u32 v9, v0, s13
	v_mul_lo_u32 v6, v1, s66
	;; [unrolled: 1-line block ×3, first 2 shown]
	v_sub_nc_u32_e32 v4, v4, v9
	v_add3_u32 v5, v5, v28, v6
	v_mul_lo_u32 v9, v4, s70
	v_mul_lo_u32 v4, v4, s71
	v_add3_u32 v1, v7, v2, v1
	v_add3_u32 v28, v8, v5, v9
	;; [unrolled: 1-line block ×3, first 2 shown]
	s_cbranch_scc0 .LBB23_144
	s_branch .LBB23_151
.LBB23_145:
	s_or_b32 exec_lo, exec_lo, s50
	s_mov_b32 s4, 0
	s_and_saveexec_b32 s7, s49
	s_cbranch_execnz .LBB23_530
.LBB23_146:
	s_or_b32 exec_lo, exec_lo, s7
	s_and_saveexec_b32 s7, s51
	s_xor_b32 s7, exec_lo, s7
	s_cbranch_execz .LBB23_531
.LBB23_147:
	v_cmp_neq_f32_e32 vcc_lo, 0, v0
	v_cndmask_b32_e64 v1, 0, 1, vcc_lo
	global_store_byte v[2:3], v1, off
	s_or_b32 exec_lo, exec_lo, s7
	s_and_saveexec_b32 s7, s6
	s_xor_b32 s6, exec_lo, s7
	s_cbranch_execz .LBB23_569
	s_branch .LBB23_532
.LBB23_148:
                                        ; implicit-def: $vgpr28
                                        ; implicit-def: $vgpr2
	s_branch .LBB23_155
.LBB23_149:
	v_mov_b32_e32 v28, 0
	v_mov_b32_e32 v2, 0
	s_branch .LBB23_154
.LBB23_150:
	v_mov_b32_e32 v28, 0
	v_mov_b32_e32 v2, 0
	;; [unrolled: 1-line block ×3, first 2 shown]
	s_mov_b32 s8, 0
.LBB23_151:
	s_and_b32 s9, s9, 3
	s_cmp_eq_u32 s9, 0
	s_cbranch_scc1 .LBB23_154
; %bb.152:
	s_lshl_b32 s4, s8, 3
	s_mul_i32 s6, s8, 12
	s_add_u32 s4, s18, s4
	s_addc_u32 s5, s19, 0
	s_add_u32 s4, s4, 0xc4
	s_addc_u32 s5, s5, 0
	;; [unrolled: 2-line block ×3, first 2 shown]
	.p2align	6
.LBB23_153:                             ; =>This Inner Loop Header: Depth=1
	s_clause 0x1
	s_load_dwordx2 s[10:11], s[6:7], 0x4
	s_load_dword s8, s[6:7], 0xc
	s_load_dwordx2 s[12:13], s[4:5], 0x0
	s_add_u32 s6, s6, 12
	s_addc_u32 s7, s7, 0
	s_add_u32 s4, s4, 8
	s_addc_u32 s5, s5, 0
	s_add_i32 s9, s9, -1
	s_cmp_lg_u32 s9, 0
	s_waitcnt lgkmcnt(0)
	v_mul_hi_u32 v1, s11, v0
	v_add_nc_u32_e32 v1, v0, v1
	v_lshrrev_b32_e32 v1, s8, v1
	v_mul_lo_u32 v3, v1, s10
	v_sub_nc_u32_e32 v0, v0, v3
	v_mad_u64_u32 v[28:29], null, v0, s12, v[28:29]
	v_mad_u64_u32 v[2:3], null, v0, s13, v[2:3]
	v_mov_b32_e32 v0, v1
	s_cbranch_scc1 .LBB23_153
.LBB23_154:
	s_cbranch_execnz .LBB23_157
.LBB23_155:
	s_waitcnt lgkmcnt(0)
	v_mul_hi_u32 v0, s37, v30
	s_andn2_b32 vcc_lo, exec_lo, s45
	v_add_nc_u32_e32 v0, v30, v0
	v_lshrrev_b32_e32 v0, s38, v0
	v_mul_lo_u32 v1, v0, s36
	v_sub_nc_u32_e32 v1, v30, v1
	v_mul_lo_u32 v28, v1, s24
	v_mul_lo_u32 v2, v1, s25
	s_cbranch_vccnz .LBB23_157
; %bb.156:
	v_mul_hi_u32 v1, s28, v0
	v_add_nc_u32_e32 v1, v0, v1
	v_lshrrev_b32_e32 v1, s29, v1
	v_mul_lo_u32 v1, v1, s39
	v_sub_nc_u32_e32 v0, v0, v1
	v_mad_u64_u32 v[28:29], null, v0, s26, v[28:29]
	v_mad_u64_u32 v[2:3], null, v0, s27, v[2:3]
.LBB23_157:
	s_waitcnt lgkmcnt(0)
	v_mov_b32_e32 v0, s22
	v_mov_b32_e32 v1, s23
	;; [unrolled: 1-line block ×3, first 2 shown]
	s_getpc_b64 s[4:5]
	s_add_u32 s4, s4, _ZN2at6native6invokeIZZZNS0_12_GLOBAL__N_119airy_ai_kernel_cudaERNS_18TensorIteratorBaseEENKUlvE_clEvENKUlvE0_clEvEUlfE_j15function_traitsIS7_EEENT1_11result_typeERKT_PrKPcPKT0_PKN3c1010ScalarTypeEi@rel32@lo+4
	s_addc_u32 s5, s5, _ZN2at6native6invokeIZZZNS0_12_GLOBAL__N_119airy_ai_kernel_cudaERNS_18TensorIteratorBaseEENKUlvE_clEvENKUlvE0_clEvEUlfE_j15function_traitsIS7_EEENT1_11result_typeERKT_PrKPcPKT0_PKN3c1010ScalarTypeEi@rel32@hi+12
	s_swappc_b64 s[30:31], s[4:5]
	v_add_co_u32 v2, s4, s20, v28
	v_add_co_ci_u32_e64 v3, null, s21, 0, s4
	s_and_b32 s5, s44, 0xff
	s_cmp_lt_i32 s5, 11
	s_cbranch_scc1 .LBB23_164
; %bb.158:
	s_and_b32 s6, 0xffff, s5
	s_cmp_gt_i32 s6, 25
	s_cbranch_scc0 .LBB23_167
; %bb.159:
	s_cmp_gt_i32 s6, 28
	s_cbranch_scc0 .LBB23_168
; %bb.160:
	;; [unrolled: 3-line block ×4, first 2 shown]
	s_mov_b32 s8, 0
	s_mov_b32 s4, -1
	s_cmp_eq_u32 s6, 46
	s_mov_b32 s7, 0
	s_cbranch_scc0 .LBB23_175
; %bb.163:
	v_bfe_u32 v1, v0, 16, 1
	v_cmp_o_f32_e32 vcc_lo, v0, v0
	v_mov_b32_e32 v4, 0x7fc0
	s_mov_b32 s7, -1
	s_mov_b32 s4, 0
	v_add3_u32 v1, v0, v1, 0x7fff
	v_cndmask_b32_sdwa v1, v4, v1, vcc_lo dst_sel:DWORD dst_unused:UNUSED_PAD src0_sel:DWORD src1_sel:WORD_1
	global_store_dword v[2:3], v1, off
	s_branch .LBB23_175
.LBB23_164:
	s_mov_b32 s7, 0
	s_mov_b32 s4, s49
	s_cbranch_execnz .LBB23_244
.LBB23_165:
	s_andn2_b32 vcc_lo, exec_lo, s7
	s_cbranch_vccnz .LBB23_282
.LBB23_166:
	v_add_nc_u32_e32 v30, 0x80, v30
	s_mov_b32 s5, -1
	s_branch .LBB23_283
.LBB23_167:
	s_mov_b32 s8, -1
	s_mov_b32 s7, 0
	s_mov_b32 s4, s49
	s_branch .LBB23_202
.LBB23_168:
	s_mov_b32 s8, -1
	s_mov_b32 s7, 0
	s_mov_b32 s4, s49
	s_branch .LBB23_185
.LBB23_169:
	s_andn2_saveexec_b32 s9, s9
	s_cbranch_execz .LBB23_51
.LBB23_170:
	v_add_f32_e64 v1, 0x46000000, |v0|
	s_andn2_b32 s8, s8, exec_lo
	v_and_b32_e32 v1, 0xff, v1
	v_cmp_ne_u32_e32 vcc_lo, 0, v1
	s_and_b32 s10, vcc_lo, exec_lo
	s_or_b32 s8, s8, s10
	s_or_b32 exec_lo, exec_lo, s9
	v_mov_b32_e32 v4, 0
	s_and_saveexec_b32 s9, s8
	s_cbranch_execnz .LBB23_52
	s_branch .LBB23_53
.LBB23_171:
	s_mov_b32 s8, -1
	s_mov_b32 s7, 0
	s_mov_b32 s4, s49
	s_branch .LBB23_181
.LBB23_172:
	s_andn2_saveexec_b32 s9, s9
	s_cbranch_execz .LBB23_63
.LBB23_173:
	v_add_f32_e64 v1, 0x42800000, |v0|
	s_andn2_b32 s8, s8, exec_lo
	v_and_b32_e32 v1, 0xff, v1
	v_cmp_ne_u32_e32 vcc_lo, 0, v1
	s_and_b32 s10, vcc_lo, exec_lo
	s_or_b32 s8, s8, s10
	s_or_b32 exec_lo, exec_lo, s9
	v_mov_b32_e32 v4, 0
	s_and_saveexec_b32 s9, s8
	s_cbranch_execnz .LBB23_64
	s_branch .LBB23_65
.LBB23_174:
	s_mov_b32 s8, -1
	s_mov_b32 s7, 0
	s_mov_b32 s4, s49
.LBB23_175:
	s_and_b32 vcc_lo, exec_lo, s8
	s_cbranch_vccz .LBB23_180
; %bb.176:
	s_cmp_eq_u32 s6, 44
	s_mov_b32 s4, -1
	s_cbranch_scc0 .LBB23_180
; %bb.177:
	v_bfe_u32 v4, v0, 23, 8
	v_mov_b32_e32 v1, 0xff
	s_mov_b32 s7, exec_lo
	v_cmpx_ne_u32_e32 0xff, v4
	s_cbranch_execz .LBB23_179
; %bb.178:
	v_and_b32_e32 v1, 0x400000, v0
	v_and_or_b32 v4, 0x3fffff, v0, v4
	v_cmp_ne_u32_e32 vcc_lo, 0, v1
	v_cmp_ne_u32_e64 s4, 0, v4
	v_lshrrev_b32_e32 v1, 23, v0
	s_and_b32 s4, vcc_lo, s4
	v_cndmask_b32_e64 v4, 0, 1, s4
	v_add_nc_u32_e32 v1, v1, v4
.LBB23_179:
	s_or_b32 exec_lo, exec_lo, s7
	s_mov_b32 s7, -1
	s_mov_b32 s4, 0
	global_store_byte v[2:3], v1, off
.LBB23_180:
	s_mov_b32 s8, 0
.LBB23_181:
	s_and_b32 vcc_lo, exec_lo, s8
	s_cbranch_vccz .LBB23_184
; %bb.182:
	s_cmp_eq_u32 s6, 29
	s_mov_b32 s4, -1
	s_cbranch_scc0 .LBB23_184
; %bb.183:
	v_trunc_f32_e32 v1, v0
	s_mov_b32 s7, -1
	s_mov_b32 s4, 0
	s_mov_b32 s8, 0
	v_mul_f32_e32 v4, 0x2f800000, v1
	v_floor_f32_e32 v4, v4
	v_fmamk_f32 v1, v4, 0xcf800000, v1
	v_cvt_u32_f32_e32 v5, v4
	v_cvt_u32_f32_e32 v4, v1
	global_store_dwordx2 v[2:3], v[4:5], off
	s_branch .LBB23_185
.LBB23_184:
	s_mov_b32 s8, 0
.LBB23_185:
	s_and_b32 vcc_lo, exec_lo, s8
	s_cbranch_vccz .LBB23_201
; %bb.186:
	s_cmp_lt_i32 s6, 27
	s_mov_b32 s7, -1
	s_cbranch_scc1 .LBB23_192
; %bb.187:
	v_cvt_u32_f32_e32 v1, v0
	s_cmp_gt_i32 s6, 27
	s_cbranch_scc0 .LBB23_189
; %bb.188:
	s_mov_b32 s7, 0
	global_store_dword v[2:3], v1, off
.LBB23_189:
	s_andn2_b32 vcc_lo, exec_lo, s7
	s_cbranch_vccnz .LBB23_191
; %bb.190:
	global_store_short v[2:3], v1, off
.LBB23_191:
	s_mov_b32 s7, 0
.LBB23_192:
	s_andn2_b32 vcc_lo, exec_lo, s7
	s_cbranch_vccnz .LBB23_200
; %bb.193:
	v_and_b32_e32 v1, 0x7fffffff, v0
	v_mov_b32_e32 v4, 0x80
	s_mov_b32 s7, exec_lo
	v_cmpx_gt_u32_e32 0x43800000, v1
	s_cbranch_execz .LBB23_199
; %bb.194:
	v_cmp_lt_u32_e32 vcc_lo, 0x3bffffff, v1
	s_mov_b32 s8, 0
                                        ; implicit-def: $vgpr1
	s_and_saveexec_b32 s9, vcc_lo
	s_xor_b32 s9, exec_lo, s9
	s_cbranch_execz .LBB23_311
; %bb.195:
	v_bfe_u32 v1, v0, 20, 1
	s_mov_b32 s8, exec_lo
	v_add3_u32 v1, v0, v1, 0x487ffff
	v_lshrrev_b32_e32 v1, 20, v1
	s_andn2_saveexec_b32 s9, s9
	s_cbranch_execnz .LBB23_312
.LBB23_196:
	s_or_b32 exec_lo, exec_lo, s9
	v_mov_b32_e32 v4, 0
	s_and_saveexec_b32 s9, s8
.LBB23_197:
	v_lshrrev_b32_e32 v4, 24, v0
	v_and_or_b32 v4, 0x80, v4, v1
.LBB23_198:
	s_or_b32 exec_lo, exec_lo, s9
.LBB23_199:
	s_or_b32 exec_lo, exec_lo, s7
	global_store_byte v[2:3], v4, off
.LBB23_200:
	s_mov_b32 s7, -1
.LBB23_201:
	s_mov_b32 s8, 0
.LBB23_202:
	s_and_b32 vcc_lo, exec_lo, s8
	s_cbranch_vccz .LBB23_243
; %bb.203:
	s_cmp_gt_i32 s6, 22
	s_mov_b32 s8, -1
	s_cbranch_scc0 .LBB23_235
; %bb.204:
	s_cmp_lt_i32 s6, 24
	s_mov_b32 s7, -1
	s_cbranch_scc1 .LBB23_224
; %bb.205:
	s_cmp_gt_i32 s6, 24
	s_cbranch_scc0 .LBB23_213
; %bb.206:
	v_and_b32_e32 v1, 0x7fffffff, v0
	v_mov_b32_e32 v4, 0x80
	s_mov_b32 s7, exec_lo
	v_cmpx_gt_u32_e32 0x47800000, v1
	s_cbranch_execz .LBB23_212
; %bb.207:
	v_cmp_lt_u32_e32 vcc_lo, 0x37ffffff, v1
	s_mov_b32 s8, 0
                                        ; implicit-def: $vgpr1
	s_and_saveexec_b32 s9, vcc_lo
	s_xor_b32 s9, exec_lo, s9
	s_cbranch_execz .LBB23_314
; %bb.208:
	v_bfe_u32 v1, v0, 21, 1
	s_mov_b32 s8, exec_lo
	v_add3_u32 v1, v0, v1, 0x88fffff
	v_lshrrev_b32_e32 v1, 21, v1
	s_andn2_saveexec_b32 s9, s9
	s_cbranch_execnz .LBB23_315
.LBB23_209:
	s_or_b32 exec_lo, exec_lo, s9
	v_mov_b32_e32 v4, 0
	s_and_saveexec_b32 s9, s8
.LBB23_210:
	v_lshrrev_b32_e32 v4, 24, v0
	v_and_or_b32 v4, 0x80, v4, v1
.LBB23_211:
	s_or_b32 exec_lo, exec_lo, s9
.LBB23_212:
	s_or_b32 exec_lo, exec_lo, s7
	s_mov_b32 s7, 0
	global_store_byte v[2:3], v4, off
.LBB23_213:
	s_and_b32 vcc_lo, exec_lo, s7
	s_cbranch_vccz .LBB23_223
; %bb.214:
	v_and_b32_e32 v4, 0x7fffffff, v0
	s_mov_b32 s7, exec_lo
                                        ; implicit-def: $vgpr1
	v_cmpx_gt_u32_e32 0x43f00000, v4
	s_xor_b32 s7, exec_lo, s7
	s_cbranch_execz .LBB23_220
; %bb.215:
	s_mov_b32 s8, exec_lo
                                        ; implicit-def: $vgpr1
	v_cmpx_lt_u32_e32 0x3c7fffff, v4
	s_xor_b32 s8, exec_lo, s8
; %bb.216:
	v_bfe_u32 v1, v0, 20, 1
	v_add3_u32 v1, v0, v1, 0x407ffff
	v_and_b32_e32 v4, 0xff00000, v1
	v_lshrrev_b32_e32 v1, 20, v1
	v_cmp_ne_u32_e32 vcc_lo, 0x7f00000, v4
	v_cndmask_b32_e32 v1, 0x7e, v1, vcc_lo
; %bb.217:
	s_andn2_saveexec_b32 s8, s8
; %bb.218:
	v_add_f32_e64 v1, 0x46800000, |v0|
; %bb.219:
	s_or_b32 exec_lo, exec_lo, s8
                                        ; implicit-def: $vgpr4
.LBB23_220:
	s_andn2_saveexec_b32 s7, s7
; %bb.221:
	v_mov_b32_e32 v1, 0x7f
	v_cmp_lt_u32_e32 vcc_lo, 0x7f800000, v4
	v_cndmask_b32_e32 v1, 0x7e, v1, vcc_lo
; %bb.222:
	s_or_b32 exec_lo, exec_lo, s7
	v_lshrrev_b32_e32 v4, 24, v0
	v_and_or_b32 v1, 0x80, v4, v1
	global_store_byte v[2:3], v1, off
.LBB23_223:
	s_mov_b32 s7, 0
.LBB23_224:
	s_andn2_b32 vcc_lo, exec_lo, s7
	s_cbranch_vccnz .LBB23_234
; %bb.225:
	v_and_b32_e32 v4, 0x7fffffff, v0
	s_mov_b32 s7, exec_lo
                                        ; implicit-def: $vgpr1
	v_cmpx_gt_u32_e32 0x47800000, v4
	s_xor_b32 s7, exec_lo, s7
	s_cbranch_execz .LBB23_231
; %bb.226:
	s_mov_b32 s8, exec_lo
                                        ; implicit-def: $vgpr1
	v_cmpx_lt_u32_e32 0x387fffff, v4
	s_xor_b32 s8, exec_lo, s8
; %bb.227:
	v_bfe_u32 v1, v0, 21, 1
	v_add3_u32 v1, v0, v1, 0x80fffff
	v_lshrrev_b32_e32 v1, 21, v1
; %bb.228:
	s_andn2_saveexec_b32 s8, s8
; %bb.229:
	v_add_f32_e64 v1, 0x43000000, |v0|
; %bb.230:
	s_or_b32 exec_lo, exec_lo, s8
                                        ; implicit-def: $vgpr4
.LBB23_231:
	s_andn2_saveexec_b32 s7, s7
; %bb.232:
	v_mov_b32_e32 v1, 0x7f
	v_cmp_lt_u32_e32 vcc_lo, 0x7f800000, v4
	v_cndmask_b32_e32 v1, 0x7c, v1, vcc_lo
; %bb.233:
	s_or_b32 exec_lo, exec_lo, s7
	v_lshrrev_b32_e32 v4, 24, v0
	v_and_or_b32 v1, 0x80, v4, v1
	global_store_byte v[2:3], v1, off
.LBB23_234:
	s_mov_b32 s8, 0
	s_mov_b32 s7, -1
.LBB23_235:
	s_andn2_b32 vcc_lo, exec_lo, s8
	s_cbranch_vccnz .LBB23_243
; %bb.236:
	s_cmp_gt_i32 s6, 14
	s_mov_b32 s8, -1
	s_cbranch_scc0 .LBB23_240
; %bb.237:
	s_cmp_eq_u32 s6, 15
	s_mov_b32 s4, -1
	s_cbranch_scc0 .LBB23_239
; %bb.238:
	v_bfe_u32 v1, v0, 16, 1
	v_cmp_o_f32_e32 vcc_lo, v0, v0
	v_mov_b32_e32 v4, 0x7fc0
	s_mov_b32 s7, -1
	s_mov_b32 s4, 0
	v_add3_u32 v1, v0, v1, 0x7fff
	v_cndmask_b32_sdwa v1, v4, v1, vcc_lo dst_sel:DWORD dst_unused:UNUSED_PAD src0_sel:DWORD src1_sel:WORD_1
	global_store_short v[2:3], v1, off
.LBB23_239:
	s_mov_b32 s8, 0
.LBB23_240:
	s_and_b32 vcc_lo, exec_lo, s8
	s_cbranch_vccz .LBB23_243
; %bb.241:
	s_cmp_eq_u32 s6, 11
	s_mov_b32 s4, -1
	s_cbranch_scc0 .LBB23_243
; %bb.242:
	v_cmp_neq_f32_e32 vcc_lo, 0, v0
	s_mov_b32 s4, 0
	s_mov_b32 s7, -1
	v_cndmask_b32_e64 v1, 0, 1, vcc_lo
	global_store_byte v[2:3], v1, off
.LBB23_243:
	s_branch .LBB23_165
.LBB23_244:
	s_and_b32 s5, 0xffff, s5
	s_mov_b32 s6, -1
	s_cmp_lt_i32 s5, 5
	s_cbranch_scc1 .LBB23_265
; %bb.245:
	s_cmp_lt_i32 s5, 8
	s_cbranch_scc1 .LBB23_255
; %bb.246:
	;; [unrolled: 3-line block ×3, first 2 shown]
	s_cmp_gt_i32 s5, 9
	s_cbranch_scc0 .LBB23_249
; %bb.248:
	v_cvt_f64_f32_e32 v[4:5], v0
	v_mov_b32_e32 v6, 0
	s_mov_b32 s6, 0
	v_mov_b32_e32 v7, v6
	global_store_dwordx4 v[2:3], v[4:7], off
.LBB23_249:
	s_andn2_b32 vcc_lo, exec_lo, s6
	s_cbranch_vccnz .LBB23_251
; %bb.250:
	v_mov_b32_e32 v1, 0
	global_store_dwordx2 v[2:3], v[0:1], off
.LBB23_251:
	s_mov_b32 s6, 0
.LBB23_252:
	s_andn2_b32 vcc_lo, exec_lo, s6
	s_cbranch_vccnz .LBB23_254
; %bb.253:
	v_cvt_f16_f32_e32 v1, v0
	v_and_b32_e32 v1, 0xffff, v1
	global_store_dword v[2:3], v1, off
.LBB23_254:
	s_mov_b32 s6, 0
.LBB23_255:
	s_andn2_b32 vcc_lo, exec_lo, s6
	s_cbranch_vccnz .LBB23_264
; %bb.256:
	s_cmp_lt_i32 s5, 6
	s_mov_b32 s6, -1
	s_cbranch_scc1 .LBB23_262
; %bb.257:
	s_cmp_gt_i32 s5, 6
	s_cbranch_scc0 .LBB23_259
; %bb.258:
	v_cvt_f64_f32_e32 v[4:5], v0
	s_mov_b32 s6, 0
	global_store_dwordx2 v[2:3], v[4:5], off
.LBB23_259:
	s_andn2_b32 vcc_lo, exec_lo, s6
	s_cbranch_vccnz .LBB23_261
; %bb.260:
	global_store_dword v[2:3], v0, off
.LBB23_261:
	s_mov_b32 s6, 0
.LBB23_262:
	s_andn2_b32 vcc_lo, exec_lo, s6
	s_cbranch_vccnz .LBB23_264
; %bb.263:
	v_cvt_f16_f32_e32 v1, v0
	global_store_short v[2:3], v1, off
.LBB23_264:
	s_mov_b32 s6, 0
.LBB23_265:
	s_andn2_b32 vcc_lo, exec_lo, s6
	s_cbranch_vccnz .LBB23_281
; %bb.266:
	s_cmp_lt_i32 s5, 2
	s_mov_b32 s6, -1
	s_cbranch_scc1 .LBB23_276
; %bb.267:
	s_cmp_lt_i32 s5, 3
	s_cbranch_scc1 .LBB23_273
; %bb.268:
	s_cmp_gt_i32 s5, 3
	s_cbranch_scc0 .LBB23_270
; %bb.269:
	v_trunc_f32_e32 v1, v0
	s_mov_b32 s6, 0
	v_mul_f32_e64 v4, 0x2f800000, |v1|
	v_floor_f32_e32 v4, v4
	v_fma_f32 v5, 0xcf800000, v4, |v1|
	v_ashrrev_i32_e32 v1, 31, v1
	v_cvt_u32_f32_e32 v4, v4
	v_cvt_u32_f32_e32 v5, v5
	v_xor_b32_e32 v6, v4, v1
	v_xor_b32_e32 v5, v5, v1
	v_sub_co_u32 v4, vcc_lo, v5, v1
	v_sub_co_ci_u32_e64 v5, null, v6, v1, vcc_lo
	global_store_dwordx2 v[2:3], v[4:5], off
.LBB23_270:
	s_andn2_b32 vcc_lo, exec_lo, s6
	s_cbranch_vccnz .LBB23_272
; %bb.271:
	v_cvt_i32_f32_e32 v1, v0
	global_store_dword v[2:3], v1, off
.LBB23_272:
	s_mov_b32 s6, 0
.LBB23_273:
	s_andn2_b32 vcc_lo, exec_lo, s6
	s_cbranch_vccnz .LBB23_275
; %bb.274:
	v_cvt_i32_f32_e32 v1, v0
	global_store_short v[2:3], v1, off
.LBB23_275:
	s_mov_b32 s6, 0
.LBB23_276:
	s_andn2_b32 vcc_lo, exec_lo, s6
	s_cbranch_vccnz .LBB23_281
; %bb.277:
	s_cmp_gt_i32 s5, 0
	s_mov_b32 s5, -1
	s_cbranch_scc0 .LBB23_279
; %bb.278:
	v_cvt_i32_f32_e32 v1, v0
	s_mov_b32 s5, 0
	global_store_byte v[2:3], v1, off
.LBB23_279:
	s_andn2_b32 vcc_lo, exec_lo, s5
	s_cbranch_vccnz .LBB23_281
; %bb.280:
	v_trunc_f32_e32 v0, v0
	v_mul_f32_e64 v1, 0x2f800000, |v0|
	v_floor_f32_e32 v1, v1
	v_fma_f32 v1, 0xcf800000, v1, |v0|
	v_ashrrev_i32_e32 v0, 31, v0
	v_cvt_u32_f32_e32 v1, v1
	v_xor_b32_e32 v1, v1, v0
	v_sub_nc_u32_e32 v0, v1, v0
	global_store_byte v[2:3], v0, off
.LBB23_281:
	s_branch .LBB23_166
.LBB23_282:
	s_mov_b32 s5, 0
                                        ; implicit-def: $vgpr30
.LBB23_283:
	s_andn2_b32 s6, s49, exec_lo
	s_and_b32 s4, s4, exec_lo
	s_orn2_b32 s7, s5, exec_lo
	s_or_b32 s51, s6, s4
.LBB23_284:
	s_or_b32 exec_lo, exec_lo, s52
	s_mov_b32 s4, 0
	s_mov_b32 s6, 0
                                        ; implicit-def: $sgpr5
                                        ; implicit-def: $vgpr2_vgpr3
                                        ; implicit-def: $vgpr0
	s_and_saveexec_b32 s52, s7
	s_cbranch_execz .LBB23_529
; %bb.285:
	s_mov_b32 s7, -1
	s_mov_b32 s54, s51
	s_mov_b32 s53, exec_lo
	v_cmpx_gt_i32_e64 s46, v30
	s_cbranch_execz .LBB23_429
; %bb.286:
	s_andn2_b32 vcc_lo, exec_lo, s42
	s_cbranch_vccnz .LBB23_291
; %bb.287:
	s_andn2_b32 vcc_lo, exec_lo, s48
	s_cbranch_vccnz .LBB23_292
; %bb.288:
	s_add_i32 s9, s47, 1
	s_cmp_eq_u32 s40, 2
	s_cbranch_scc1 .LBB23_293
; %bb.289:
	v_mov_b32_e32 v2, 0
	v_mov_b32_e32 v28, 0
	;; [unrolled: 1-line block ×3, first 2 shown]
	s_and_b32 s8, s9, 28
	s_mov_b32 s10, 0
	s_mov_b64 s[4:5], s[18:19]
	s_mov_b64 s[6:7], s[34:35]
.LBB23_290:                             ; =>This Inner Loop Header: Depth=1
	s_clause 0x1
	s_load_dwordx8 s[56:63], s[4:5], 0x4
	s_load_dwordx4 s[12:15], s[4:5], 0x24
	s_load_dwordx8 s[64:71], s[6:7], 0x0
	s_add_u32 s4, s4, 48
	s_addc_u32 s5, s5, 0
	s_add_i32 s10, s10, 4
	s_add_u32 s6, s6, 32
	s_addc_u32 s7, s7, 0
	s_cmp_eq_u32 s8, s10
	s_waitcnt lgkmcnt(0)
	v_mul_hi_u32 v1, s57, v0
	v_add_nc_u32_e32 v1, v0, v1
	v_lshrrev_b32_e32 v1, s58, v1
	v_mul_hi_u32 v3, s60, v1
	v_mul_lo_u32 v5, v1, s56
	v_add_nc_u32_e32 v3, v1, v3
	v_sub_nc_u32_e32 v0, v0, v5
	v_lshrrev_b32_e32 v3, s61, v3
	v_mul_lo_u32 v5, v0, s64
	v_mul_lo_u32 v7, v0, s65
	v_mul_hi_u32 v4, s63, v3
	v_add_nc_u32_e32 v4, v3, v4
	v_lshrrev_b32_e32 v4, s12, v4
	v_mul_hi_u32 v6, s14, v4
	v_mul_lo_u32 v8, v4, s62
	v_add_nc_u32_e32 v0, v4, v6
	v_mul_lo_u32 v6, v3, s59
	v_sub_nc_u32_e32 v3, v3, v8
	v_lshrrev_b32_e32 v0, s15, v0
	v_mul_lo_u32 v8, v3, s68
	v_mul_lo_u32 v3, v3, s69
	v_sub_nc_u32_e32 v1, v1, v6
	v_mul_lo_u32 v9, v0, s13
	v_mul_lo_u32 v6, v1, s66
	;; [unrolled: 1-line block ×3, first 2 shown]
	v_sub_nc_u32_e32 v4, v4, v9
	v_add3_u32 v5, v5, v28, v6
	v_mul_lo_u32 v9, v4, s70
	v_mul_lo_u32 v4, v4, s71
	v_add3_u32 v1, v7, v2, v1
	v_add3_u32 v28, v8, v5, v9
	;; [unrolled: 1-line block ×3, first 2 shown]
	s_cbranch_scc0 .LBB23_290
	s_branch .LBB23_294
.LBB23_291:
	s_mov_b32 s4, -1
                                        ; implicit-def: $vgpr28
                                        ; implicit-def: $vgpr2
	s_branch .LBB23_298
.LBB23_292:
	v_mov_b32_e32 v28, 0
	v_mov_b32_e32 v2, 0
	s_branch .LBB23_297
.LBB23_293:
	v_mov_b32_e32 v28, 0
	v_mov_b32_e32 v2, 0
	;; [unrolled: 1-line block ×3, first 2 shown]
	s_mov_b32 s8, 0
.LBB23_294:
	s_and_b32 s9, s9, 3
	s_cmp_eq_u32 s9, 0
	s_cbranch_scc1 .LBB23_297
; %bb.295:
	s_lshl_b32 s4, s8, 3
	s_mul_i32 s6, s8, 12
	s_add_u32 s4, s18, s4
	s_addc_u32 s5, s19, 0
	s_add_u32 s4, s4, 0xc4
	s_addc_u32 s5, s5, 0
	;; [unrolled: 2-line block ×3, first 2 shown]
	.p2align	6
.LBB23_296:                             ; =>This Inner Loop Header: Depth=1
	s_clause 0x1
	s_load_dwordx2 s[10:11], s[6:7], 0x4
	s_load_dword s8, s[6:7], 0xc
	s_load_dwordx2 s[12:13], s[4:5], 0x0
	s_add_u32 s6, s6, 12
	s_addc_u32 s7, s7, 0
	s_add_u32 s4, s4, 8
	s_addc_u32 s5, s5, 0
	s_add_i32 s9, s9, -1
	s_cmp_lg_u32 s9, 0
	s_waitcnt lgkmcnt(0)
	v_mul_hi_u32 v1, s11, v0
	v_add_nc_u32_e32 v1, v0, v1
	v_lshrrev_b32_e32 v1, s8, v1
	v_mul_lo_u32 v3, v1, s10
	v_sub_nc_u32_e32 v0, v0, v3
	v_mad_u64_u32 v[28:29], null, v0, s12, v[28:29]
	v_mad_u64_u32 v[2:3], null, v0, s13, v[2:3]
	v_mov_b32_e32 v0, v1
	s_cbranch_scc1 .LBB23_296
.LBB23_297:
	s_mov_b32 s4, 0
.LBB23_298:
	s_andn2_b32 vcc_lo, exec_lo, s4
	s_cbranch_vccnz .LBB23_301
; %bb.299:
	s_waitcnt lgkmcnt(0)
	v_mul_hi_u32 v0, s37, v30
	s_andn2_b32 vcc_lo, exec_lo, s45
	v_add_nc_u32_e32 v0, v30, v0
	v_lshrrev_b32_e32 v0, s38, v0
	v_mul_lo_u32 v1, v0, s36
	v_sub_nc_u32_e32 v1, v30, v1
	v_mul_lo_u32 v28, v1, s24
	v_mul_lo_u32 v2, v1, s25
	s_cbranch_vccnz .LBB23_301
; %bb.300:
	v_mul_hi_u32 v1, s28, v0
	v_add_nc_u32_e32 v1, v0, v1
	v_lshrrev_b32_e32 v1, s29, v1
	v_mul_lo_u32 v1, v1, s39
	v_sub_nc_u32_e32 v0, v0, v1
	v_mad_u64_u32 v[28:29], null, v0, s26, v[28:29]
	v_mad_u64_u32 v[2:3], null, v0, s27, v[2:3]
.LBB23_301:
	s_waitcnt lgkmcnt(0)
	v_mov_b32_e32 v0, s22
	v_mov_b32_e32 v1, s23
	;; [unrolled: 1-line block ×3, first 2 shown]
	s_getpc_b64 s[4:5]
	s_add_u32 s4, s4, _ZN2at6native6invokeIZZZNS0_12_GLOBAL__N_119airy_ai_kernel_cudaERNS_18TensorIteratorBaseEENKUlvE_clEvENKUlvE0_clEvEUlfE_j15function_traitsIS7_EEENT1_11result_typeERKT_PrKPcPKT0_PKN3c1010ScalarTypeEi@rel32@lo+4
	s_addc_u32 s5, s5, _ZN2at6native6invokeIZZZNS0_12_GLOBAL__N_119airy_ai_kernel_cudaERNS_18TensorIteratorBaseEENKUlvE_clEvENKUlvE0_clEvEUlfE_j15function_traitsIS7_EEENT1_11result_typeERKT_PrKPcPKT0_PKN3c1010ScalarTypeEi@rel32@hi+12
	s_swappc_b64 s[30:31], s[4:5]
	v_add_co_u32 v2, s4, s20, v28
	v_add_co_ci_u32_e64 v3, null, s21, 0, s4
	s_and_b32 s5, s44, 0xff
	s_cmp_lt_i32 s5, 11
	s_cbranch_scc1 .LBB23_308
; %bb.302:
	s_and_b32 s6, 0xffff, s5
	s_cmp_gt_i32 s6, 25
	s_cbranch_scc0 .LBB23_309
; %bb.303:
	s_cmp_gt_i32 s6, 28
	s_cbranch_scc0 .LBB23_310
; %bb.304:
	;; [unrolled: 3-line block ×4, first 2 shown]
	s_mov_b32 s8, 0
	s_mov_b32 s4, -1
	s_cmp_eq_u32 s6, 46
	s_mov_b32 s7, 0
	s_cbranch_scc0 .LBB23_317
; %bb.307:
	v_bfe_u32 v1, v0, 16, 1
	v_cmp_o_f32_e32 vcc_lo, v0, v0
	v_mov_b32_e32 v4, 0x7fc0
	s_mov_b32 s7, -1
	s_mov_b32 s4, 0
	v_add3_u32 v1, v0, v1, 0x7fff
	v_cndmask_b32_sdwa v1, v4, v1, vcc_lo dst_sel:DWORD dst_unused:UNUSED_PAD src0_sel:DWORD src1_sel:WORD_1
	global_store_dword v[2:3], v1, off
	s_branch .LBB23_317
.LBB23_308:
	s_mov_b32 s6, -1
	s_mov_b32 s7, 0
	s_mov_b32 s4, s51
	s_branch .LBB23_386
.LBB23_309:
	s_mov_b32 s8, -1
	s_mov_b32 s7, 0
	s_mov_b32 s4, s51
	s_branch .LBB23_344
.LBB23_310:
	s_mov_b32 s8, -1
	s_mov_b32 s7, 0
	s_mov_b32 s4, s51
	s_branch .LBB23_327
.LBB23_311:
	s_andn2_saveexec_b32 s9, s9
	s_cbranch_execz .LBB23_196
.LBB23_312:
	v_add_f32_e64 v1, 0x46000000, |v0|
	s_andn2_b32 s8, s8, exec_lo
	v_and_b32_e32 v1, 0xff, v1
	v_cmp_ne_u32_e32 vcc_lo, 0, v1
	s_and_b32 s10, vcc_lo, exec_lo
	s_or_b32 s8, s8, s10
	s_or_b32 exec_lo, exec_lo, s9
	v_mov_b32_e32 v4, 0
	s_and_saveexec_b32 s9, s8
	s_cbranch_execnz .LBB23_197
	s_branch .LBB23_198
.LBB23_313:
	s_mov_b32 s8, -1
	s_mov_b32 s7, 0
	s_mov_b32 s4, s51
	s_branch .LBB23_323
.LBB23_314:
	s_andn2_saveexec_b32 s9, s9
	s_cbranch_execz .LBB23_209
.LBB23_315:
	v_add_f32_e64 v1, 0x42800000, |v0|
	s_andn2_b32 s8, s8, exec_lo
	v_and_b32_e32 v1, 0xff, v1
	v_cmp_ne_u32_e32 vcc_lo, 0, v1
	s_and_b32 s10, vcc_lo, exec_lo
	s_or_b32 s8, s8, s10
	s_or_b32 exec_lo, exec_lo, s9
	v_mov_b32_e32 v4, 0
	s_and_saveexec_b32 s9, s8
	s_cbranch_execnz .LBB23_210
	s_branch .LBB23_211
.LBB23_316:
	s_mov_b32 s8, -1
	s_mov_b32 s7, 0
	s_mov_b32 s4, s51
.LBB23_317:
	s_and_b32 vcc_lo, exec_lo, s8
	s_cbranch_vccz .LBB23_322
; %bb.318:
	s_cmp_eq_u32 s6, 44
	s_mov_b32 s4, -1
	s_cbranch_scc0 .LBB23_322
; %bb.319:
	v_bfe_u32 v4, v0, 23, 8
	v_mov_b32_e32 v1, 0xff
	s_mov_b32 s7, exec_lo
	v_cmpx_ne_u32_e32 0xff, v4
	s_cbranch_execz .LBB23_321
; %bb.320:
	v_and_b32_e32 v1, 0x400000, v0
	v_and_or_b32 v4, 0x3fffff, v0, v4
	v_cmp_ne_u32_e32 vcc_lo, 0, v1
	v_cmp_ne_u32_e64 s4, 0, v4
	v_lshrrev_b32_e32 v1, 23, v0
	s_and_b32 s4, vcc_lo, s4
	v_cndmask_b32_e64 v4, 0, 1, s4
	v_add_nc_u32_e32 v1, v1, v4
.LBB23_321:
	s_or_b32 exec_lo, exec_lo, s7
	s_mov_b32 s7, -1
	s_mov_b32 s4, 0
	global_store_byte v[2:3], v1, off
.LBB23_322:
	s_mov_b32 s8, 0
.LBB23_323:
	s_and_b32 vcc_lo, exec_lo, s8
	s_cbranch_vccz .LBB23_326
; %bb.324:
	s_cmp_eq_u32 s6, 29
	s_mov_b32 s4, -1
	s_cbranch_scc0 .LBB23_326
; %bb.325:
	v_trunc_f32_e32 v1, v0
	s_mov_b32 s7, -1
	s_mov_b32 s4, 0
	s_mov_b32 s8, 0
	v_mul_f32_e32 v4, 0x2f800000, v1
	v_floor_f32_e32 v4, v4
	v_fmamk_f32 v1, v4, 0xcf800000, v1
	v_cvt_u32_f32_e32 v5, v4
	v_cvt_u32_f32_e32 v4, v1
	global_store_dwordx2 v[2:3], v[4:5], off
	s_branch .LBB23_327
.LBB23_326:
	s_mov_b32 s8, 0
.LBB23_327:
	s_and_b32 vcc_lo, exec_lo, s8
	s_cbranch_vccz .LBB23_343
; %bb.328:
	s_cmp_lt_i32 s6, 27
	s_mov_b32 s7, -1
	s_cbranch_scc1 .LBB23_334
; %bb.329:
	v_cvt_u32_f32_e32 v1, v0
	s_cmp_gt_i32 s6, 27
	s_cbranch_scc0 .LBB23_331
; %bb.330:
	s_mov_b32 s7, 0
	global_store_dword v[2:3], v1, off
.LBB23_331:
	s_andn2_b32 vcc_lo, exec_lo, s7
	s_cbranch_vccnz .LBB23_333
; %bb.332:
	global_store_short v[2:3], v1, off
.LBB23_333:
	s_mov_b32 s7, 0
.LBB23_334:
	s_andn2_b32 vcc_lo, exec_lo, s7
	s_cbranch_vccnz .LBB23_342
; %bb.335:
	v_and_b32_e32 v1, 0x7fffffff, v0
	v_mov_b32_e32 v4, 0x80
	s_mov_b32 s7, exec_lo
	v_cmpx_gt_u32_e32 0x43800000, v1
	s_cbranch_execz .LBB23_341
; %bb.336:
	v_cmp_lt_u32_e32 vcc_lo, 0x3bffffff, v1
	s_mov_b32 s8, 0
                                        ; implicit-def: $vgpr1
	s_and_saveexec_b32 s9, vcc_lo
	s_xor_b32 s9, exec_lo, s9
	s_cbranch_execz .LBB23_454
; %bb.337:
	v_bfe_u32 v1, v0, 20, 1
	s_mov_b32 s8, exec_lo
	v_add3_u32 v1, v0, v1, 0x487ffff
	v_lshrrev_b32_e32 v1, 20, v1
	s_andn2_saveexec_b32 s9, s9
	s_cbranch_execnz .LBB23_455
.LBB23_338:
	s_or_b32 exec_lo, exec_lo, s9
	v_mov_b32_e32 v4, 0
	s_and_saveexec_b32 s9, s8
.LBB23_339:
	v_lshrrev_b32_e32 v4, 24, v0
	v_and_or_b32 v4, 0x80, v4, v1
.LBB23_340:
	s_or_b32 exec_lo, exec_lo, s9
.LBB23_341:
	s_or_b32 exec_lo, exec_lo, s7
	global_store_byte v[2:3], v4, off
.LBB23_342:
	s_mov_b32 s7, -1
.LBB23_343:
	s_mov_b32 s8, 0
.LBB23_344:
	s_and_b32 vcc_lo, exec_lo, s8
	s_cbranch_vccz .LBB23_385
; %bb.345:
	s_cmp_gt_i32 s6, 22
	s_mov_b32 s8, -1
	s_cbranch_scc0 .LBB23_377
; %bb.346:
	s_cmp_lt_i32 s6, 24
	s_mov_b32 s7, -1
	s_cbranch_scc1 .LBB23_366
; %bb.347:
	s_cmp_gt_i32 s6, 24
	s_cbranch_scc0 .LBB23_355
; %bb.348:
	v_and_b32_e32 v1, 0x7fffffff, v0
	v_mov_b32_e32 v4, 0x80
	s_mov_b32 s7, exec_lo
	v_cmpx_gt_u32_e32 0x47800000, v1
	s_cbranch_execz .LBB23_354
; %bb.349:
	v_cmp_lt_u32_e32 vcc_lo, 0x37ffffff, v1
	s_mov_b32 s8, 0
                                        ; implicit-def: $vgpr1
	s_and_saveexec_b32 s9, vcc_lo
	s_xor_b32 s9, exec_lo, s9
	s_cbranch_execz .LBB23_456
; %bb.350:
	v_bfe_u32 v1, v0, 21, 1
	s_mov_b32 s8, exec_lo
	v_add3_u32 v1, v0, v1, 0x88fffff
	v_lshrrev_b32_e32 v1, 21, v1
	s_andn2_saveexec_b32 s9, s9
	s_cbranch_execnz .LBB23_457
.LBB23_351:
	s_or_b32 exec_lo, exec_lo, s9
	v_mov_b32_e32 v4, 0
	s_and_saveexec_b32 s9, s8
.LBB23_352:
	v_lshrrev_b32_e32 v4, 24, v0
	v_and_or_b32 v4, 0x80, v4, v1
.LBB23_353:
	s_or_b32 exec_lo, exec_lo, s9
.LBB23_354:
	s_or_b32 exec_lo, exec_lo, s7
	s_mov_b32 s7, 0
	global_store_byte v[2:3], v4, off
.LBB23_355:
	s_and_b32 vcc_lo, exec_lo, s7
	s_cbranch_vccz .LBB23_365
; %bb.356:
	v_and_b32_e32 v4, 0x7fffffff, v0
	s_mov_b32 s7, exec_lo
                                        ; implicit-def: $vgpr1
	v_cmpx_gt_u32_e32 0x43f00000, v4
	s_xor_b32 s7, exec_lo, s7
	s_cbranch_execz .LBB23_362
; %bb.357:
	s_mov_b32 s8, exec_lo
                                        ; implicit-def: $vgpr1
	v_cmpx_lt_u32_e32 0x3c7fffff, v4
	s_xor_b32 s8, exec_lo, s8
; %bb.358:
	v_bfe_u32 v1, v0, 20, 1
	v_add3_u32 v1, v0, v1, 0x407ffff
	v_and_b32_e32 v4, 0xff00000, v1
	v_lshrrev_b32_e32 v1, 20, v1
	v_cmp_ne_u32_e32 vcc_lo, 0x7f00000, v4
	v_cndmask_b32_e32 v1, 0x7e, v1, vcc_lo
; %bb.359:
	s_andn2_saveexec_b32 s8, s8
; %bb.360:
	v_add_f32_e64 v1, 0x46800000, |v0|
; %bb.361:
	s_or_b32 exec_lo, exec_lo, s8
                                        ; implicit-def: $vgpr4
.LBB23_362:
	s_andn2_saveexec_b32 s7, s7
; %bb.363:
	v_mov_b32_e32 v1, 0x7f
	v_cmp_lt_u32_e32 vcc_lo, 0x7f800000, v4
	v_cndmask_b32_e32 v1, 0x7e, v1, vcc_lo
; %bb.364:
	s_or_b32 exec_lo, exec_lo, s7
	v_lshrrev_b32_e32 v4, 24, v0
	v_and_or_b32 v1, 0x80, v4, v1
	global_store_byte v[2:3], v1, off
.LBB23_365:
	s_mov_b32 s7, 0
.LBB23_366:
	s_andn2_b32 vcc_lo, exec_lo, s7
	s_cbranch_vccnz .LBB23_376
; %bb.367:
	v_and_b32_e32 v4, 0x7fffffff, v0
	s_mov_b32 s7, exec_lo
                                        ; implicit-def: $vgpr1
	v_cmpx_gt_u32_e32 0x47800000, v4
	s_xor_b32 s7, exec_lo, s7
	s_cbranch_execz .LBB23_373
; %bb.368:
	s_mov_b32 s8, exec_lo
                                        ; implicit-def: $vgpr1
	v_cmpx_lt_u32_e32 0x387fffff, v4
	s_xor_b32 s8, exec_lo, s8
; %bb.369:
	v_bfe_u32 v1, v0, 21, 1
	v_add3_u32 v1, v0, v1, 0x80fffff
	v_lshrrev_b32_e32 v1, 21, v1
; %bb.370:
	s_andn2_saveexec_b32 s8, s8
; %bb.371:
	v_add_f32_e64 v1, 0x43000000, |v0|
; %bb.372:
	s_or_b32 exec_lo, exec_lo, s8
                                        ; implicit-def: $vgpr4
.LBB23_373:
	s_andn2_saveexec_b32 s7, s7
; %bb.374:
	v_mov_b32_e32 v1, 0x7f
	v_cmp_lt_u32_e32 vcc_lo, 0x7f800000, v4
	v_cndmask_b32_e32 v1, 0x7c, v1, vcc_lo
; %bb.375:
	s_or_b32 exec_lo, exec_lo, s7
	v_lshrrev_b32_e32 v4, 24, v0
	v_and_or_b32 v1, 0x80, v4, v1
	global_store_byte v[2:3], v1, off
.LBB23_376:
	s_mov_b32 s8, 0
	s_mov_b32 s7, -1
.LBB23_377:
	s_andn2_b32 vcc_lo, exec_lo, s8
	s_cbranch_vccnz .LBB23_385
; %bb.378:
	s_cmp_gt_i32 s6, 14
	s_mov_b32 s8, -1
	s_cbranch_scc0 .LBB23_382
; %bb.379:
	s_cmp_eq_u32 s6, 15
	s_mov_b32 s4, -1
	s_cbranch_scc0 .LBB23_381
; %bb.380:
	v_bfe_u32 v1, v0, 16, 1
	v_cmp_o_f32_e32 vcc_lo, v0, v0
	v_mov_b32_e32 v4, 0x7fc0
	s_mov_b32 s7, -1
	s_mov_b32 s4, 0
	v_add3_u32 v1, v0, v1, 0x7fff
	v_cndmask_b32_sdwa v1, v4, v1, vcc_lo dst_sel:DWORD dst_unused:UNUSED_PAD src0_sel:DWORD src1_sel:WORD_1
	global_store_short v[2:3], v1, off
.LBB23_381:
	s_mov_b32 s8, 0
.LBB23_382:
	s_and_b32 vcc_lo, exec_lo, s8
	s_cbranch_vccz .LBB23_385
; %bb.383:
	s_cmp_eq_u32 s6, 11
	s_mov_b32 s4, -1
	s_cbranch_scc0 .LBB23_385
; %bb.384:
	v_cmp_neq_f32_e32 vcc_lo, 0, v0
	s_mov_b32 s4, 0
	s_mov_b32 s7, -1
	v_cndmask_b32_e64 v1, 0, 1, vcc_lo
	global_store_byte v[2:3], v1, off
.LBB23_385:
	s_mov_b32 s6, 0
.LBB23_386:
	s_and_b32 vcc_lo, exec_lo, s6
	s_cbranch_vccz .LBB23_425
; %bb.387:
	s_and_b32 s5, 0xffff, s5
	s_mov_b32 s6, -1
	s_cmp_lt_i32 s5, 5
	s_cbranch_scc1 .LBB23_408
; %bb.388:
	s_cmp_lt_i32 s5, 8
	s_cbranch_scc1 .LBB23_398
; %bb.389:
	;; [unrolled: 3-line block ×3, first 2 shown]
	s_cmp_gt_i32 s5, 9
	s_cbranch_scc0 .LBB23_392
; %bb.391:
	v_cvt_f64_f32_e32 v[4:5], v0
	v_mov_b32_e32 v6, 0
	s_mov_b32 s6, 0
	v_mov_b32_e32 v7, v6
	global_store_dwordx4 v[2:3], v[4:7], off
.LBB23_392:
	s_andn2_b32 vcc_lo, exec_lo, s6
	s_cbranch_vccnz .LBB23_394
; %bb.393:
	v_mov_b32_e32 v1, 0
	global_store_dwordx2 v[2:3], v[0:1], off
.LBB23_394:
	s_mov_b32 s6, 0
.LBB23_395:
	s_andn2_b32 vcc_lo, exec_lo, s6
	s_cbranch_vccnz .LBB23_397
; %bb.396:
	v_cvt_f16_f32_e32 v1, v0
	v_and_b32_e32 v1, 0xffff, v1
	global_store_dword v[2:3], v1, off
.LBB23_397:
	s_mov_b32 s6, 0
.LBB23_398:
	s_andn2_b32 vcc_lo, exec_lo, s6
	s_cbranch_vccnz .LBB23_407
; %bb.399:
	s_cmp_lt_i32 s5, 6
	s_mov_b32 s6, -1
	s_cbranch_scc1 .LBB23_405
; %bb.400:
	s_cmp_gt_i32 s5, 6
	s_cbranch_scc0 .LBB23_402
; %bb.401:
	v_cvt_f64_f32_e32 v[4:5], v0
	s_mov_b32 s6, 0
	global_store_dwordx2 v[2:3], v[4:5], off
.LBB23_402:
	s_andn2_b32 vcc_lo, exec_lo, s6
	s_cbranch_vccnz .LBB23_404
; %bb.403:
	global_store_dword v[2:3], v0, off
.LBB23_404:
	s_mov_b32 s6, 0
.LBB23_405:
	s_andn2_b32 vcc_lo, exec_lo, s6
	s_cbranch_vccnz .LBB23_407
; %bb.406:
	v_cvt_f16_f32_e32 v1, v0
	global_store_short v[2:3], v1, off
.LBB23_407:
	s_mov_b32 s6, 0
.LBB23_408:
	s_andn2_b32 vcc_lo, exec_lo, s6
	s_cbranch_vccnz .LBB23_424
; %bb.409:
	s_cmp_lt_i32 s5, 2
	s_mov_b32 s6, -1
	s_cbranch_scc1 .LBB23_419
; %bb.410:
	s_cmp_lt_i32 s5, 3
	s_cbranch_scc1 .LBB23_416
; %bb.411:
	s_cmp_gt_i32 s5, 3
	s_cbranch_scc0 .LBB23_413
; %bb.412:
	v_trunc_f32_e32 v1, v0
	s_mov_b32 s6, 0
	v_mul_f32_e64 v4, 0x2f800000, |v1|
	v_floor_f32_e32 v4, v4
	v_fma_f32 v5, 0xcf800000, v4, |v1|
	v_ashrrev_i32_e32 v1, 31, v1
	v_cvt_u32_f32_e32 v4, v4
	v_cvt_u32_f32_e32 v5, v5
	v_xor_b32_e32 v6, v4, v1
	v_xor_b32_e32 v5, v5, v1
	v_sub_co_u32 v4, vcc_lo, v5, v1
	v_sub_co_ci_u32_e64 v5, null, v6, v1, vcc_lo
	global_store_dwordx2 v[2:3], v[4:5], off
.LBB23_413:
	s_andn2_b32 vcc_lo, exec_lo, s6
	s_cbranch_vccnz .LBB23_415
; %bb.414:
	v_cvt_i32_f32_e32 v1, v0
	global_store_dword v[2:3], v1, off
.LBB23_415:
	s_mov_b32 s6, 0
.LBB23_416:
	s_andn2_b32 vcc_lo, exec_lo, s6
	s_cbranch_vccnz .LBB23_418
; %bb.417:
	v_cvt_i32_f32_e32 v1, v0
	global_store_short v[2:3], v1, off
.LBB23_418:
	s_mov_b32 s6, 0
.LBB23_419:
	s_andn2_b32 vcc_lo, exec_lo, s6
	s_cbranch_vccnz .LBB23_424
; %bb.420:
	s_cmp_gt_i32 s5, 0
	s_mov_b32 s5, -1
	s_cbranch_scc0 .LBB23_422
; %bb.421:
	v_cvt_i32_f32_e32 v1, v0
	s_mov_b32 s5, 0
	global_store_byte v[2:3], v1, off
.LBB23_422:
	s_andn2_b32 vcc_lo, exec_lo, s5
	s_cbranch_vccnz .LBB23_424
; %bb.423:
	v_trunc_f32_e32 v0, v0
	v_mul_f32_e64 v1, 0x2f800000, |v0|
	v_floor_f32_e32 v1, v1
	v_fma_f32 v1, 0xcf800000, v1, |v0|
	v_ashrrev_i32_e32 v0, 31, v0
	v_cvt_u32_f32_e32 v1, v1
	v_xor_b32_e32 v1, v1, v0
	v_sub_nc_u32_e32 v0, v1, v0
	global_store_byte v[2:3], v0, off
.LBB23_424:
	s_mov_b32 s7, -1
.LBB23_425:
	s_andn2_b32 vcc_lo, exec_lo, s7
	s_cbranch_vccnz .LBB23_427
; %bb.426:
	v_add_nc_u32_e32 v30, 0x80, v30
	s_mov_b32 s5, -1
	s_branch .LBB23_428
.LBB23_427:
	s_mov_b32 s5, 0
                                        ; implicit-def: $vgpr30
.LBB23_428:
	s_andn2_b32 s6, s51, exec_lo
	s_and_b32 s4, s4, exec_lo
	s_orn2_b32 s7, s5, exec_lo
	s_or_b32 s54, s6, s4
.LBB23_429:
	s_or_b32 exec_lo, exec_lo, s53
	s_mov_b32 s4, 0
	s_mov_b32 s6, 0
                                        ; implicit-def: $sgpr5
                                        ; implicit-def: $vgpr2_vgpr3
                                        ; implicit-def: $vgpr0
	s_and_saveexec_b32 s53, s7
	s_cbranch_execz .LBB23_528
; %bb.430:
	v_cmp_gt_i32_e32 vcc_lo, s46, v30
	s_mov_b32 s7, s54
                                        ; implicit-def: $sgpr5
                                        ; implicit-def: $vgpr2_vgpr3
                                        ; implicit-def: $vgpr0
	s_and_saveexec_b32 s46, vcc_lo
	s_cbranch_execz .LBB23_527
; %bb.431:
	s_andn2_b32 vcc_lo, exec_lo, s42
	s_cbranch_vccnz .LBB23_436
; %bb.432:
	s_andn2_b32 vcc_lo, exec_lo, s48
	s_cbranch_vccnz .LBB23_437
; %bb.433:
	s_add_i32 s47, s47, 1
	s_cmp_eq_u32 s40, 2
	s_cbranch_scc1 .LBB23_438
; %bb.434:
	v_mov_b32_e32 v2, 0
	v_mov_b32_e32 v28, 0
	;; [unrolled: 1-line block ×3, first 2 shown]
	s_and_b32 s6, s47, 28
	s_mov_b32 s7, 0
	s_mov_b64 s[4:5], s[18:19]
.LBB23_435:                             ; =>This Inner Loop Header: Depth=1
	s_clause 0x1
	s_load_dwordx8 s[8:15], s[4:5], 0x4
	s_load_dwordx4 s[64:67], s[4:5], 0x24
	s_load_dwordx8 s[56:63], s[34:35], 0x0
	s_add_u32 s4, s4, 48
	s_addc_u32 s5, s5, 0
	s_add_i32 s7, s7, 4
	s_add_u32 s34, s34, 32
	s_addc_u32 s35, s35, 0
	s_cmp_eq_u32 s6, s7
	s_waitcnt lgkmcnt(0)
	v_mul_hi_u32 v1, s9, v0
	v_add_nc_u32_e32 v1, v0, v1
	v_lshrrev_b32_e32 v1, s10, v1
	v_mul_hi_u32 v3, s12, v1
	v_mul_lo_u32 v5, v1, s8
	v_add_nc_u32_e32 v3, v1, v3
	v_sub_nc_u32_e32 v0, v0, v5
	v_lshrrev_b32_e32 v3, s13, v3
	v_mul_lo_u32 v5, v0, s56
	v_mul_lo_u32 v7, v0, s57
	v_mul_hi_u32 v4, s15, v3
	v_add_nc_u32_e32 v4, v3, v4
	v_lshrrev_b32_e32 v4, s64, v4
	v_mul_hi_u32 v6, s66, v4
	v_mul_lo_u32 v8, v4, s14
	v_add_nc_u32_e32 v0, v4, v6
	v_mul_lo_u32 v6, v3, s11
	v_sub_nc_u32_e32 v3, v3, v8
	v_lshrrev_b32_e32 v0, s67, v0
	v_mul_lo_u32 v8, v3, s60
	v_mul_lo_u32 v3, v3, s61
	v_sub_nc_u32_e32 v1, v1, v6
	v_mul_lo_u32 v9, v0, s65
	v_mul_lo_u32 v6, v1, s58
	;; [unrolled: 1-line block ×3, first 2 shown]
	v_sub_nc_u32_e32 v4, v4, v9
	v_add3_u32 v5, v5, v28, v6
	v_mul_lo_u32 v9, v4, s62
	v_mul_lo_u32 v4, v4, s63
	v_add3_u32 v1, v7, v2, v1
	v_add3_u32 v28, v8, v5, v9
	;; [unrolled: 1-line block ×3, first 2 shown]
	s_cbranch_scc0 .LBB23_435
	s_branch .LBB23_439
.LBB23_436:
	s_mov_b32 s4, -1
                                        ; implicit-def: $vgpr28
                                        ; implicit-def: $vgpr2
	s_branch .LBB23_443
.LBB23_437:
	v_mov_b32_e32 v28, 0
	v_mov_b32_e32 v2, 0
	s_branch .LBB23_442
.LBB23_438:
	v_mov_b32_e32 v28, 0
	v_mov_b32_e32 v2, 0
	;; [unrolled: 1-line block ×3, first 2 shown]
.LBB23_439:
	s_and_b32 s8, s47, 3
	s_cmp_eq_u32 s8, 0
	s_cbranch_scc1 .LBB23_442
; %bb.440:
	s_lshl_b32 s4, s6, 3
	s_mul_i32 s6, s6, 12
	s_add_u32 s4, s18, s4
	s_addc_u32 s5, s19, 0
	s_add_u32 s4, s4, 0xc4
	s_addc_u32 s5, s5, 0
	;; [unrolled: 2-line block ×3, first 2 shown]
.LBB23_441:                             ; =>This Inner Loop Header: Depth=1
	s_clause 0x1
	s_load_dwordx2 s[10:11], s[6:7], 0x4
	s_load_dword s9, s[6:7], 0xc
	s_load_dwordx2 s[12:13], s[4:5], 0x0
	s_add_u32 s6, s6, 12
	s_addc_u32 s7, s7, 0
	s_add_u32 s4, s4, 8
	s_addc_u32 s5, s5, 0
	s_add_i32 s8, s8, -1
	s_cmp_lg_u32 s8, 0
	s_waitcnt lgkmcnt(0)
	v_mul_hi_u32 v1, s11, v0
	v_add_nc_u32_e32 v1, v0, v1
	v_lshrrev_b32_e32 v1, s9, v1
	v_mul_lo_u32 v3, v1, s10
	v_sub_nc_u32_e32 v0, v0, v3
	v_mad_u64_u32 v[28:29], null, v0, s12, v[28:29]
	v_mad_u64_u32 v[2:3], null, v0, s13, v[2:3]
	v_mov_b32_e32 v0, v1
	s_cbranch_scc1 .LBB23_441
.LBB23_442:
	s_mov_b32 s4, 0
.LBB23_443:
	s_andn2_b32 vcc_lo, exec_lo, s4
	s_cbranch_vccnz .LBB23_446
; %bb.444:
	s_waitcnt lgkmcnt(0)
	v_mul_hi_u32 v0, s37, v30
	s_andn2_b32 vcc_lo, exec_lo, s45
	v_add_nc_u32_e32 v0, v30, v0
	v_lshrrev_b32_e32 v0, s38, v0
	v_mul_lo_u32 v1, v0, s36
	v_sub_nc_u32_e32 v1, v30, v1
	v_mul_lo_u32 v28, v1, s24
	v_mul_lo_u32 v2, v1, s25
	s_cbranch_vccnz .LBB23_446
; %bb.445:
	v_mul_hi_u32 v1, s28, v0
	v_add_nc_u32_e32 v1, v0, v1
	v_lshrrev_b32_e32 v1, s29, v1
	v_mul_lo_u32 v1, v1, s39
	v_sub_nc_u32_e32 v0, v0, v1
	v_mad_u64_u32 v[28:29], null, v0, s26, v[28:29]
	v_mad_u64_u32 v[2:3], null, v0, s27, v[2:3]
.LBB23_446:
	s_waitcnt lgkmcnt(0)
	v_mov_b32_e32 v0, s22
	v_mov_b32_e32 v1, s23
	;; [unrolled: 1-line block ×3, first 2 shown]
	s_getpc_b64 s[4:5]
	s_add_u32 s4, s4, _ZN2at6native6invokeIZZZNS0_12_GLOBAL__N_119airy_ai_kernel_cudaERNS_18TensorIteratorBaseEENKUlvE_clEvENKUlvE0_clEvEUlfE_j15function_traitsIS7_EEENT1_11result_typeERKT_PrKPcPKT0_PKN3c1010ScalarTypeEi@rel32@lo+4
	s_addc_u32 s5, s5, _ZN2at6native6invokeIZZZNS0_12_GLOBAL__N_119airy_ai_kernel_cudaERNS_18TensorIteratorBaseEENKUlvE_clEvENKUlvE0_clEvEUlfE_j15function_traitsIS7_EEENT1_11result_typeERKT_PrKPcPKT0_PKN3c1010ScalarTypeEi@rel32@hi+12
	s_swappc_b64 s[30:31], s[4:5]
	v_add_co_u32 v2, s4, s20, v28
	v_add_co_ci_u32_e64 v3, null, s21, 0, s4
	s_and_b32 s5, s44, 0xff
	s_cmp_lt_i32 s5, 11
	s_cbranch_scc1 .LBB23_453
; %bb.447:
	s_and_b32 s6, 0xffff, s5
	s_mov_b32 s7, -1
	s_cmp_gt_i32 s6, 25
	s_mov_b32 s4, s54
	s_cbranch_scc0 .LBB23_485
; %bb.448:
	s_cmp_gt_i32 s6, 28
	s_mov_b32 s4, s54
	s_cbranch_scc0 .LBB23_469
; %bb.449:
	s_cmp_gt_i32 s6, 43
	s_mov_b32 s4, s54
	s_cbranch_scc0 .LBB23_465
; %bb.450:
	s_cmp_gt_i32 s6, 45
	s_mov_b32 s4, s54
	s_cbranch_scc0 .LBB23_459
; %bb.451:
	s_cmp_eq_u32 s6, 46
	s_mov_b32 s4, -1
	s_cbranch_scc0 .LBB23_458
; %bb.452:
	v_bfe_u32 v1, v0, 16, 1
	v_cmp_o_f32_e32 vcc_lo, v0, v0
	v_mov_b32_e32 v4, 0x7fc0
	s_mov_b32 s4, 0
	s_mov_b32 s7, 0
	v_add3_u32 v1, v0, v1, 0x7fff
	v_cndmask_b32_sdwa v1, v4, v1, vcc_lo dst_sel:DWORD dst_unused:UNUSED_PAD src0_sel:DWORD src1_sel:WORD_1
	global_store_dword v[2:3], v1, off
	s_branch .LBB23_459
.LBB23_453:
	s_mov_b32 s8, 0
	s_mov_b32 s7, -1
	s_mov_b32 s4, s54
	s_branch .LBB23_526
.LBB23_454:
	s_andn2_saveexec_b32 s9, s9
	s_cbranch_execz .LBB23_338
.LBB23_455:
	v_add_f32_e64 v1, 0x46000000, |v0|
	s_andn2_b32 s8, s8, exec_lo
	v_and_b32_e32 v1, 0xff, v1
	v_cmp_ne_u32_e32 vcc_lo, 0, v1
	s_and_b32 s10, vcc_lo, exec_lo
	s_or_b32 s8, s8, s10
	s_or_b32 exec_lo, exec_lo, s9
	v_mov_b32_e32 v4, 0
	s_and_saveexec_b32 s9, s8
	s_cbranch_execnz .LBB23_339
	s_branch .LBB23_340
.LBB23_456:
	s_andn2_saveexec_b32 s9, s9
	s_cbranch_execz .LBB23_351
.LBB23_457:
	v_add_f32_e64 v1, 0x42800000, |v0|
	s_andn2_b32 s8, s8, exec_lo
	v_and_b32_e32 v1, 0xff, v1
	v_cmp_ne_u32_e32 vcc_lo, 0, v1
	s_and_b32 s10, vcc_lo, exec_lo
	s_or_b32 s8, s8, s10
	s_or_b32 exec_lo, exec_lo, s9
	v_mov_b32_e32 v4, 0
	s_and_saveexec_b32 s9, s8
	s_cbranch_execnz .LBB23_352
	s_branch .LBB23_353
.LBB23_458:
	s_mov_b32 s7, 0
.LBB23_459:
	s_and_b32 vcc_lo, exec_lo, s7
	s_cbranch_vccz .LBB23_464
; %bb.460:
	s_cmp_eq_u32 s6, 44
	s_mov_b32 s4, -1
	s_cbranch_scc0 .LBB23_464
; %bb.461:
	v_bfe_u32 v4, v0, 23, 8
	v_mov_b32_e32 v1, 0xff
	s_mov_b32 s7, exec_lo
	v_cmpx_ne_u32_e32 0xff, v4
	s_cbranch_execz .LBB23_463
; %bb.462:
	v_and_b32_e32 v1, 0x400000, v0
	v_and_or_b32 v4, 0x3fffff, v0, v4
	v_cmp_ne_u32_e32 vcc_lo, 0, v1
	v_cmp_ne_u32_e64 s4, 0, v4
	v_lshrrev_b32_e32 v1, 23, v0
	s_and_b32 s4, vcc_lo, s4
	v_cndmask_b32_e64 v4, 0, 1, s4
	v_add_nc_u32_e32 v1, v1, v4
.LBB23_463:
	s_or_b32 exec_lo, exec_lo, s7
	s_mov_b32 s4, 0
	global_store_byte v[2:3], v1, off
.LBB23_464:
	s_mov_b32 s7, 0
.LBB23_465:
	s_and_b32 vcc_lo, exec_lo, s7
	s_cbranch_vccz .LBB23_468
; %bb.466:
	s_cmp_eq_u32 s6, 29
	s_mov_b32 s4, -1
	s_cbranch_scc0 .LBB23_468
; %bb.467:
	v_trunc_f32_e32 v1, v0
	s_mov_b32 s4, 0
	s_mov_b32 s7, 0
	v_mul_f32_e32 v4, 0x2f800000, v1
	v_floor_f32_e32 v4, v4
	v_fmamk_f32 v1, v4, 0xcf800000, v1
	v_cvt_u32_f32_e32 v5, v4
	v_cvt_u32_f32_e32 v4, v1
	global_store_dwordx2 v[2:3], v[4:5], off
	s_branch .LBB23_469
.LBB23_468:
	s_mov_b32 s7, 0
.LBB23_469:
	s_and_b32 vcc_lo, exec_lo, s7
	s_cbranch_vccz .LBB23_484
; %bb.470:
	s_cmp_lt_i32 s6, 27
	s_mov_b32 s7, -1
	s_cbranch_scc1 .LBB23_476
; %bb.471:
	v_cvt_u32_f32_e32 v1, v0
	s_cmp_gt_i32 s6, 27
	s_cbranch_scc0 .LBB23_473
; %bb.472:
	s_mov_b32 s7, 0
	global_store_dword v[2:3], v1, off
.LBB23_473:
	s_andn2_b32 vcc_lo, exec_lo, s7
	s_cbranch_vccnz .LBB23_475
; %bb.474:
	global_store_short v[2:3], v1, off
.LBB23_475:
	s_mov_b32 s7, 0
.LBB23_476:
	s_andn2_b32 vcc_lo, exec_lo, s7
	s_cbranch_vccnz .LBB23_484
; %bb.477:
	v_and_b32_e32 v1, 0x7fffffff, v0
	v_mov_b32_e32 v4, 0x80
	s_mov_b32 s7, exec_lo
	v_cmpx_gt_u32_e32 0x43800000, v1
	s_cbranch_execz .LBB23_483
; %bb.478:
	v_cmp_lt_u32_e32 vcc_lo, 0x3bffffff, v1
	s_mov_b32 s8, 0
                                        ; implicit-def: $vgpr1
	s_and_saveexec_b32 s9, vcc_lo
	s_xor_b32 s9, exec_lo, s9
	s_cbranch_execz .LBB23_1121
; %bb.479:
	v_bfe_u32 v1, v0, 20, 1
	s_mov_b32 s8, exec_lo
	v_add3_u32 v1, v0, v1, 0x487ffff
	v_lshrrev_b32_e32 v1, 20, v1
	s_andn2_saveexec_b32 s9, s9
	s_cbranch_execnz .LBB23_1122
.LBB23_480:
	s_or_b32 exec_lo, exec_lo, s9
	v_mov_b32_e32 v4, 0
	s_and_saveexec_b32 s9, s8
.LBB23_481:
	v_lshrrev_b32_e32 v4, 24, v0
	v_and_or_b32 v4, 0x80, v4, v1
.LBB23_482:
	s_or_b32 exec_lo, exec_lo, s9
.LBB23_483:
	s_or_b32 exec_lo, exec_lo, s7
	global_store_byte v[2:3], v4, off
.LBB23_484:
	s_mov_b32 s7, 0
.LBB23_485:
	s_and_b32 vcc_lo, exec_lo, s7
	s_mov_b32 s7, 0
	s_cbranch_vccz .LBB23_525
; %bb.486:
	s_cmp_gt_i32 s6, 22
	s_mov_b32 s8, -1
	s_cbranch_scc0 .LBB23_518
; %bb.487:
	s_cmp_lt_i32 s6, 24
	s_cbranch_scc1 .LBB23_507
; %bb.488:
	s_cmp_gt_i32 s6, 24
	s_cbranch_scc0 .LBB23_496
; %bb.489:
	v_and_b32_e32 v1, 0x7fffffff, v0
	v_mov_b32_e32 v4, 0x80
	s_mov_b32 s8, exec_lo
	v_cmpx_gt_u32_e32 0x47800000, v1
	s_cbranch_execz .LBB23_495
; %bb.490:
	v_cmp_lt_u32_e32 vcc_lo, 0x37ffffff, v1
	s_mov_b32 s9, 0
                                        ; implicit-def: $vgpr1
	s_and_saveexec_b32 s10, vcc_lo
	s_xor_b32 s10, exec_lo, s10
	s_cbranch_execz .LBB23_1125
; %bb.491:
	v_bfe_u32 v1, v0, 21, 1
	s_mov_b32 s9, exec_lo
	v_add3_u32 v1, v0, v1, 0x88fffff
	v_lshrrev_b32_e32 v1, 21, v1
	s_andn2_saveexec_b32 s10, s10
	s_cbranch_execnz .LBB23_1126
.LBB23_492:
	s_or_b32 exec_lo, exec_lo, s10
	v_mov_b32_e32 v4, 0
	s_and_saveexec_b32 s10, s9
.LBB23_493:
	v_lshrrev_b32_e32 v4, 24, v0
	v_and_or_b32 v4, 0x80, v4, v1
.LBB23_494:
	s_or_b32 exec_lo, exec_lo, s10
.LBB23_495:
	s_or_b32 exec_lo, exec_lo, s8
	s_mov_b32 s8, 0
	global_store_byte v[2:3], v4, off
.LBB23_496:
	s_and_b32 vcc_lo, exec_lo, s8
	s_cbranch_vccz .LBB23_506
; %bb.497:
	v_and_b32_e32 v4, 0x7fffffff, v0
	s_mov_b32 s8, exec_lo
                                        ; implicit-def: $vgpr1
	v_cmpx_gt_u32_e32 0x43f00000, v4
	s_xor_b32 s8, exec_lo, s8
	s_cbranch_execz .LBB23_503
; %bb.498:
	s_mov_b32 s9, exec_lo
                                        ; implicit-def: $vgpr1
	v_cmpx_lt_u32_e32 0x3c7fffff, v4
	s_xor_b32 s9, exec_lo, s9
; %bb.499:
	v_bfe_u32 v1, v0, 20, 1
	v_add3_u32 v1, v0, v1, 0x407ffff
	v_and_b32_e32 v4, 0xff00000, v1
	v_lshrrev_b32_e32 v1, 20, v1
	v_cmp_ne_u32_e32 vcc_lo, 0x7f00000, v4
	v_cndmask_b32_e32 v1, 0x7e, v1, vcc_lo
; %bb.500:
	s_andn2_saveexec_b32 s9, s9
; %bb.501:
	v_add_f32_e64 v1, 0x46800000, |v0|
; %bb.502:
	s_or_b32 exec_lo, exec_lo, s9
                                        ; implicit-def: $vgpr4
.LBB23_503:
	s_andn2_saveexec_b32 s8, s8
; %bb.504:
	v_mov_b32_e32 v1, 0x7f
	v_cmp_lt_u32_e32 vcc_lo, 0x7f800000, v4
	v_cndmask_b32_e32 v1, 0x7e, v1, vcc_lo
; %bb.505:
	s_or_b32 exec_lo, exec_lo, s8
	v_lshrrev_b32_e32 v4, 24, v0
	v_and_or_b32 v1, 0x80, v4, v1
	global_store_byte v[2:3], v1, off
.LBB23_506:
	s_mov_b32 s8, 0
.LBB23_507:
	s_andn2_b32 vcc_lo, exec_lo, s8
	s_cbranch_vccnz .LBB23_517
; %bb.508:
	v_and_b32_e32 v4, 0x7fffffff, v0
	s_mov_b32 s8, exec_lo
                                        ; implicit-def: $vgpr1
	v_cmpx_gt_u32_e32 0x47800000, v4
	s_xor_b32 s8, exec_lo, s8
	s_cbranch_execz .LBB23_514
; %bb.509:
	s_mov_b32 s9, exec_lo
                                        ; implicit-def: $vgpr1
	v_cmpx_lt_u32_e32 0x387fffff, v4
	s_xor_b32 s9, exec_lo, s9
; %bb.510:
	v_bfe_u32 v1, v0, 21, 1
	v_add3_u32 v1, v0, v1, 0x80fffff
	v_lshrrev_b32_e32 v1, 21, v1
; %bb.511:
	s_andn2_saveexec_b32 s9, s9
; %bb.512:
	v_add_f32_e64 v1, 0x43000000, |v0|
; %bb.513:
	s_or_b32 exec_lo, exec_lo, s9
                                        ; implicit-def: $vgpr4
.LBB23_514:
	s_andn2_saveexec_b32 s8, s8
; %bb.515:
	v_mov_b32_e32 v1, 0x7f
	v_cmp_lt_u32_e32 vcc_lo, 0x7f800000, v4
	v_cndmask_b32_e32 v1, 0x7c, v1, vcc_lo
; %bb.516:
	s_or_b32 exec_lo, exec_lo, s8
	v_lshrrev_b32_e32 v4, 24, v0
	v_and_or_b32 v1, 0x80, v4, v1
	global_store_byte v[2:3], v1, off
.LBB23_517:
	s_mov_b32 s8, 0
.LBB23_518:
	s_andn2_b32 vcc_lo, exec_lo, s8
	s_mov_b32 s8, 0
	s_cbranch_vccnz .LBB23_526
; %bb.519:
	s_cmp_gt_i32 s6, 14
	s_mov_b32 s8, -1
	s_cbranch_scc0 .LBB23_523
; %bb.520:
	s_cmp_eq_u32 s6, 15
	s_mov_b32 s4, -1
	s_cbranch_scc0 .LBB23_522
; %bb.521:
	v_bfe_u32 v1, v0, 16, 1
	v_cmp_o_f32_e32 vcc_lo, v0, v0
	v_mov_b32_e32 v4, 0x7fc0
	s_mov_b32 s4, 0
	v_add3_u32 v1, v0, v1, 0x7fff
	v_cndmask_b32_sdwa v1, v4, v1, vcc_lo dst_sel:DWORD dst_unused:UNUSED_PAD src0_sel:DWORD src1_sel:WORD_1
	global_store_short v[2:3], v1, off
.LBB23_522:
	s_mov_b32 s8, 0
.LBB23_523:
	s_and_b32 vcc_lo, exec_lo, s8
	s_mov_b32 s8, 0
	s_cbranch_vccz .LBB23_526
; %bb.524:
	s_cmp_lg_u32 s6, 11
	s_mov_b32 s8, -1
	s_cselect_b32 s6, -1, 0
	s_andn2_b32 s4, s4, exec_lo
	s_and_b32 s6, s6, exec_lo
	s_or_b32 s4, s4, s6
	s_branch .LBB23_526
.LBB23_525:
	s_mov_b32 s8, 0
.LBB23_526:
	s_and_b32 s6, s7, exec_lo
	s_andn2_b32 s7, s54, exec_lo
	s_and_b32 s9, s4, exec_lo
	s_and_b32 s4, s8, exec_lo
	s_or_b32 s7, s7, s9
.LBB23_527:
	s_or_b32 exec_lo, exec_lo, s46
	s_andn2_b32 s8, s54, exec_lo
	s_and_b32 s7, s7, exec_lo
	s_and_b32 s6, s6, exec_lo
	;; [unrolled: 1-line block ×3, first 2 shown]
	s_or_b32 s54, s8, s7
.LBB23_528:
	s_or_b32 exec_lo, exec_lo, s53
	s_andn2_b32 s7, s51, exec_lo
	s_and_b32 s8, s54, exec_lo
	s_and_b32 s6, s6, exec_lo
	;; [unrolled: 1-line block ×3, first 2 shown]
	s_or_b32 s51, s7, s8
.LBB23_529:
	s_or_b32 exec_lo, exec_lo, s52
	s_andn2_b32 s7, s49, exec_lo
	s_and_b32 s8, s51, exec_lo
	s_and_b32 s6, s6, exec_lo
	;; [unrolled: 1-line block ×3, first 2 shown]
	s_or_b32 s49, s7, s8
	s_or_b32 exec_lo, exec_lo, s50
	s_mov_b32 s4, 0
	s_and_saveexec_b32 s7, s49
	s_cbranch_execz .LBB23_146
.LBB23_530:
	s_mov_b32 s4, exec_lo
	s_andn2_b32 s51, s51, exec_lo
	s_trap 2
	s_or_b32 exec_lo, exec_lo, s7
	s_and_saveexec_b32 s7, s51
	s_xor_b32 s7, exec_lo, s7
	s_cbranch_execnz .LBB23_147
.LBB23_531:
	s_or_b32 exec_lo, exec_lo, s7
	s_and_saveexec_b32 s7, s6
	s_xor_b32 s6, exec_lo, s7
	s_cbranch_execz .LBB23_569
.LBB23_532:
	s_sext_i32_i16 s8, s5
	s_mov_b32 s7, -1
	s_cmp_lt_i32 s8, 5
	s_cbranch_scc1 .LBB23_553
; %bb.533:
	s_cmp_lt_i32 s8, 8
	s_cbranch_scc1 .LBB23_543
; %bb.534:
	s_cmp_lt_i32 s8, 9
	s_cbranch_scc1 .LBB23_540
; %bb.535:
	s_cmp_gt_i32 s8, 9
	s_cbranch_scc0 .LBB23_537
; %bb.536:
	v_cvt_f64_f32_e32 v[4:5], v0
	v_mov_b32_e32 v6, 0
	s_mov_b32 s7, 0
	v_mov_b32_e32 v7, v6
	global_store_dwordx4 v[2:3], v[4:7], off
.LBB23_537:
	s_andn2_b32 vcc_lo, exec_lo, s7
	s_cbranch_vccnz .LBB23_539
; %bb.538:
	v_mov_b32_e32 v1, 0
	global_store_dwordx2 v[2:3], v[0:1], off
.LBB23_539:
	s_mov_b32 s7, 0
.LBB23_540:
	s_andn2_b32 vcc_lo, exec_lo, s7
	s_cbranch_vccnz .LBB23_542
; %bb.541:
	v_cvt_f16_f32_e32 v1, v0
	v_and_b32_e32 v1, 0xffff, v1
	global_store_dword v[2:3], v1, off
.LBB23_542:
	s_mov_b32 s7, 0
.LBB23_543:
	s_andn2_b32 vcc_lo, exec_lo, s7
	s_cbranch_vccnz .LBB23_552
; %bb.544:
	s_sext_i32_i16 s8, s5
	s_mov_b32 s7, -1
	s_cmp_lt_i32 s8, 6
	s_cbranch_scc1 .LBB23_550
; %bb.545:
	s_cmp_gt_i32 s8, 6
	s_cbranch_scc0 .LBB23_547
; %bb.546:
	v_cvt_f64_f32_e32 v[4:5], v0
	s_mov_b32 s7, 0
	global_store_dwordx2 v[2:3], v[4:5], off
.LBB23_547:
	s_andn2_b32 vcc_lo, exec_lo, s7
	s_cbranch_vccnz .LBB23_549
; %bb.548:
	global_store_dword v[2:3], v0, off
.LBB23_549:
	s_mov_b32 s7, 0
.LBB23_550:
	s_andn2_b32 vcc_lo, exec_lo, s7
	s_cbranch_vccnz .LBB23_552
; %bb.551:
	v_cvt_f16_f32_e32 v1, v0
	global_store_short v[2:3], v1, off
.LBB23_552:
	s_mov_b32 s7, 0
.LBB23_553:
	s_andn2_b32 vcc_lo, exec_lo, s7
	s_cbranch_vccnz .LBB23_569
; %bb.554:
	s_sext_i32_i16 s8, s5
	s_mov_b32 s7, -1
	s_cmp_lt_i32 s8, 2
	s_cbranch_scc1 .LBB23_564
; %bb.555:
	s_cmp_lt_i32 s8, 3
	s_cbranch_scc1 .LBB23_561
; %bb.556:
	s_cmp_gt_i32 s8, 3
	s_cbranch_scc0 .LBB23_558
; %bb.557:
	v_trunc_f32_e32 v1, v0
	s_mov_b32 s7, 0
	v_mul_f32_e64 v4, 0x2f800000, |v1|
	v_floor_f32_e32 v4, v4
	v_fma_f32 v5, 0xcf800000, v4, |v1|
	v_ashrrev_i32_e32 v1, 31, v1
	v_cvt_u32_f32_e32 v4, v4
	v_cvt_u32_f32_e32 v5, v5
	v_xor_b32_e32 v6, v4, v1
	v_xor_b32_e32 v5, v5, v1
	v_sub_co_u32 v4, vcc_lo, v5, v1
	v_sub_co_ci_u32_e64 v5, null, v6, v1, vcc_lo
	global_store_dwordx2 v[2:3], v[4:5], off
.LBB23_558:
	s_andn2_b32 vcc_lo, exec_lo, s7
	s_cbranch_vccnz .LBB23_560
; %bb.559:
	v_cvt_i32_f32_e32 v1, v0
	global_store_dword v[2:3], v1, off
.LBB23_560:
	s_mov_b32 s7, 0
.LBB23_561:
	s_andn2_b32 vcc_lo, exec_lo, s7
	s_cbranch_vccnz .LBB23_563
; %bb.562:
	v_cvt_i32_f32_e32 v1, v0
	global_store_short v[2:3], v1, off
.LBB23_563:
	s_mov_b32 s7, 0
.LBB23_564:
	s_andn2_b32 vcc_lo, exec_lo, s7
	s_cbranch_vccnz .LBB23_569
; %bb.565:
	s_sext_i32_i16 s5, s5
	s_cmp_gt_i32 s5, 0
	s_mov_b32 s5, -1
	s_cbranch_scc0 .LBB23_567
; %bb.566:
	v_cvt_i32_f32_e32 v1, v0
	s_mov_b32 s5, 0
	global_store_byte v[2:3], v1, off
.LBB23_567:
	s_andn2_b32 vcc_lo, exec_lo, s5
	s_cbranch_vccnz .LBB23_569
; %bb.568:
	v_trunc_f32_e32 v0, v0
	v_mul_f32_e64 v1, 0x2f800000, |v0|
	v_floor_f32_e32 v1, v1
	v_fma_f32 v1, 0xcf800000, v1, |v0|
	v_ashrrev_i32_e32 v0, 31, v0
	v_cvt_u32_f32_e32 v1, v1
	v_xor_b32_e32 v1, v1, v0
	v_sub_nc_u32_e32 v0, v1, v0
	global_store_byte v[2:3], v0, off
.LBB23_569:
	s_or_b32 exec_lo, exec_lo, s6
	s_waitcnt lgkmcnt(0)
	s_and_b32 s20, s4, exec_lo
                                        ; implicit-def: $vgpr1
                                        ; implicit-def: $vgpr30
.LBB23_570:
	s_or_saveexec_b32 s21, s43
	s_mov_b32 s4, 0
                                        ; implicit-def: $sgpr5
                                        ; implicit-def: $vgpr2_vgpr3
                                        ; implicit-def: $vgpr0
	s_xor_b32 exec_lo, exec_lo, s21
	s_cbranch_execz .LBB23_1059
; %bb.571:
	v_cndmask_b32_e64 v0, 0, 1, s42
	s_andn2_b32 vcc_lo, exec_lo, s42
	s_cbranch_vccnz .LBB23_577
; %bb.572:
	s_cmp_lg_u32 s33, 0
	s_mov_b32 s8, 0
	s_cbranch_scc0 .LBB23_578
; %bb.573:
	s_min_u32 s10, s40, 15
	s_add_i32 s10, s10, 1
	s_cmp_eq_u32 s40, 2
	s_cbranch_scc1 .LBB23_579
; %bb.574:
	v_mov_b32_e32 v2, 0
	v_mov_b32_e32 v39, 0
	;; [unrolled: 1-line block ×3, first 2 shown]
	s_and_b32 s9, s10, 28
	s_add_u32 s4, s18, 0xc4
	s_addc_u32 s5, s19, 0
	s_mov_b32 s11, 0
	s_mov_b64 s[6:7], s[18:19]
.LBB23_575:                             ; =>This Inner Loop Header: Depth=1
	s_clause 0x1
	s_load_dwordx8 s[24:31], s[6:7], 0x4
	s_load_dwordx4 s[12:15], s[6:7], 0x24
	s_load_dwordx8 s[44:51], s[4:5], 0x0
	s_add_u32 s6, s6, 48
	s_addc_u32 s7, s7, 0
	s_add_i32 s11, s11, 4
	s_add_u32 s4, s4, 32
	s_addc_u32 s5, s5, 0
	s_cmp_lg_u32 s9, s11
	s_waitcnt lgkmcnt(0)
	v_mul_hi_u32 v4, s25, v3
	v_add_nc_u32_e32 v4, v3, v4
	v_lshrrev_b32_e32 v4, s26, v4
	v_mul_hi_u32 v5, s28, v4
	v_mul_lo_u32 v7, v4, s24
	v_add_nc_u32_e32 v5, v4, v5
	v_sub_nc_u32_e32 v3, v3, v7
	v_lshrrev_b32_e32 v5, s29, v5
	v_mul_lo_u32 v7, v3, s44
	v_mul_lo_u32 v9, v3, s45
	v_mul_hi_u32 v6, s31, v5
	v_add_nc_u32_e32 v6, v5, v6
	v_lshrrev_b32_e32 v6, s12, v6
	v_mul_hi_u32 v8, s14, v6
	v_mul_lo_u32 v10, v6, s30
	v_add_nc_u32_e32 v3, v6, v8
	v_mul_lo_u32 v8, v5, s27
	v_sub_nc_u32_e32 v5, v5, v10
	v_lshrrev_b32_e32 v3, s15, v3
	v_mul_lo_u32 v10, v5, s48
	v_mul_lo_u32 v5, v5, s49
	v_sub_nc_u32_e32 v4, v4, v8
	v_mul_lo_u32 v11, v3, s13
	v_mul_lo_u32 v8, v4, s46
	;; [unrolled: 1-line block ×3, first 2 shown]
	v_sub_nc_u32_e32 v6, v6, v11
	v_add3_u32 v7, v7, v39, v8
	v_mul_lo_u32 v11, v6, s50
	v_mul_lo_u32 v6, v6, s51
	v_add3_u32 v2, v9, v2, v4
	v_add3_u32 v39, v10, v7, v11
	;; [unrolled: 1-line block ×3, first 2 shown]
	s_cbranch_scc1 .LBB23_575
; %bb.576:
	s_and_b32 s10, s10, 3
	s_cmp_eq_u32 s10, 0
	s_cbranch_scc0 .LBB23_580
	s_branch .LBB23_582
.LBB23_577:
	s_mov_b32 s8, -1
                                        ; implicit-def: $vgpr39
                                        ; implicit-def: $vgpr2
	s_branch .LBB23_582
.LBB23_578:
	v_mov_b32_e32 v39, 0
	v_mov_b32_e32 v2, 0
	s_branch .LBB23_582
.LBB23_579:
	v_mov_b32_e32 v39, 0
	v_mov_b32_e32 v2, 0
	;; [unrolled: 1-line block ×3, first 2 shown]
	s_mov_b32 s9, 0
	s_and_b32 s10, s10, 3
	s_cmp_eq_u32 s10, 0
	s_cbranch_scc1 .LBB23_582
.LBB23_580:
	s_lshl_b32 s4, s9, 3
	s_mul_i32 s6, s9, 12
	s_add_u32 s4, s18, s4
	s_addc_u32 s5, s19, 0
	s_add_u32 s4, s4, 0xc4
	s_addc_u32 s5, s5, 0
	;; [unrolled: 2-line block ×3, first 2 shown]
	.p2align	6
.LBB23_581:                             ; =>This Inner Loop Header: Depth=1
	s_clause 0x1
	s_load_dwordx2 s[12:13], s[6:7], 0x4
	s_load_dword s9, s[6:7], 0xc
	s_load_dwordx2 s[14:15], s[4:5], 0x0
	s_add_u32 s6, s6, 12
	s_addc_u32 s7, s7, 0
	s_add_u32 s4, s4, 8
	s_addc_u32 s5, s5, 0
	s_add_i32 s10, s10, -1
	s_cmp_lg_u32 s10, 0
	s_waitcnt lgkmcnt(0)
	v_mul_hi_u32 v4, s13, v3
	v_add_nc_u32_e32 v4, v3, v4
	v_lshrrev_b32_e32 v4, s9, v4
	v_mul_lo_u32 v5, v4, s12
	v_sub_nc_u32_e32 v3, v3, v5
	v_mad_u64_u32 v[39:40], null, v3, s14, v[39:40]
	v_mad_u64_u32 v[2:3], null, v3, s15, v[2:3]
	v_mov_b32_e32 v3, v4
	s_cbranch_scc1 .LBB23_581
.LBB23_582:
	s_andn2_b32 vcc_lo, exec_lo, s8
	s_cbranch_vccnz .LBB23_585
; %bb.583:
	s_clause 0x1
	s_load_dwordx4 s[4:7], s[18:19], 0x4
	s_load_dwordx2 s[8:9], s[18:19], 0xc4
	s_cmp_lt_u32 s33, 2
	s_waitcnt lgkmcnt(0)
	v_mul_hi_u32 v2, s5, v30
	v_add_nc_u32_e32 v2, v30, v2
	v_lshrrev_b32_e32 v3, s6, v2
	v_mul_lo_u32 v2, v3, s4
	v_sub_nc_u32_e32 v2, v30, v2
	v_mul_lo_u32 v39, v2, s8
	v_mul_lo_u32 v2, v2, s9
	s_cbranch_scc1 .LBB23_585
; %bb.584:
	s_clause 0x1
	s_load_dwordx4 s[4:7], s[18:19], 0x10
	s_load_dwordx2 s[8:9], s[18:19], 0xcc
	s_waitcnt lgkmcnt(0)
	v_mul_hi_u32 v4, s5, v3
	v_add_nc_u32_e32 v4, v3, v4
	v_lshrrev_b32_e32 v4, s6, v4
	v_mul_lo_u32 v4, v4, s4
	v_sub_nc_u32_e32 v3, v3, v4
	v_mad_u64_u32 v[39:40], null, v3, s8, v[39:40]
	v_mad_u64_u32 v[2:3], null, v3, s9, v[2:3]
.LBB23_585:
	v_cmp_ne_u32_e32 vcc_lo, 1, v0
	v_add_nc_u32_e32 v3, 0x80, v30
	s_cbranch_vccnz .LBB23_591
; %bb.586:
	s_cmp_lg_u32 s33, 0
	s_mov_b32 s8, 0
	s_cbranch_scc0 .LBB23_592
; %bb.587:
	s_min_u32 s10, s40, 15
	s_add_i32 s10, s10, 1
	s_cmp_eq_u32 s40, 2
	s_cbranch_scc1 .LBB23_593
; %bb.588:
	v_mov_b32_e32 v27, 0
	v_mov_b32_e32 v37, 0
	v_mov_b32_e32 v4, v3
	s_and_b32 s9, s10, 28
	s_add_u32 s4, s18, 0xc4
	s_addc_u32 s5, s19, 0
	s_mov_b32 s11, 0
	s_mov_b64 s[6:7], s[18:19]
.LBB23_589:                             ; =>This Inner Loop Header: Depth=1
	s_clause 0x1
	s_load_dwordx8 s[24:31], s[6:7], 0x4
	s_load_dwordx4 s[12:15], s[6:7], 0x24
	s_load_dwordx8 s[44:51], s[4:5], 0x0
	s_add_u32 s6, s6, 48
	s_addc_u32 s7, s7, 0
	s_add_i32 s11, s11, 4
	s_add_u32 s4, s4, 32
	s_addc_u32 s5, s5, 0
	s_cmp_lg_u32 s9, s11
	s_waitcnt lgkmcnt(0)
	v_mul_hi_u32 v5, s25, v4
	v_add_nc_u32_e32 v5, v4, v5
	v_lshrrev_b32_e32 v5, s26, v5
	v_mul_hi_u32 v6, s28, v5
	v_mul_lo_u32 v8, v5, s24
	v_add_nc_u32_e32 v6, v5, v6
	v_sub_nc_u32_e32 v4, v4, v8
	v_lshrrev_b32_e32 v6, s29, v6
	v_mul_lo_u32 v8, v4, s44
	v_mul_lo_u32 v10, v4, s45
	v_mul_hi_u32 v7, s31, v6
	v_add_nc_u32_e32 v7, v6, v7
	v_lshrrev_b32_e32 v7, s12, v7
	v_mul_hi_u32 v9, s14, v7
	v_mul_lo_u32 v11, v7, s30
	v_add_nc_u32_e32 v4, v7, v9
	v_mul_lo_u32 v9, v6, s27
	v_sub_nc_u32_e32 v6, v6, v11
	v_lshrrev_b32_e32 v4, s15, v4
	v_mul_lo_u32 v11, v6, s48
	v_mul_lo_u32 v6, v6, s49
	v_sub_nc_u32_e32 v5, v5, v9
	v_mul_lo_u32 v12, v4, s13
	v_mul_lo_u32 v9, v5, s46
	;; [unrolled: 1-line block ×3, first 2 shown]
	v_sub_nc_u32_e32 v7, v7, v12
	v_add3_u32 v8, v8, v37, v9
	v_mul_lo_u32 v12, v7, s50
	v_mul_lo_u32 v7, v7, s51
	v_add3_u32 v5, v10, v27, v5
	v_add3_u32 v37, v11, v8, v12
	v_add3_u32 v27, v6, v5, v7
	s_cbranch_scc1 .LBB23_589
; %bb.590:
	s_and_b32 s10, s10, 3
	s_cmp_eq_u32 s10, 0
	s_cbranch_scc0 .LBB23_594
	s_branch .LBB23_596
.LBB23_591:
	s_mov_b32 s8, -1
                                        ; implicit-def: $vgpr37
                                        ; implicit-def: $vgpr27
	s_branch .LBB23_596
.LBB23_592:
	v_mov_b32_e32 v37, 0
	v_mov_b32_e32 v27, 0
	s_branch .LBB23_596
.LBB23_593:
	v_mov_b32_e32 v37, 0
	v_mov_b32_e32 v27, 0
	;; [unrolled: 1-line block ×3, first 2 shown]
	s_mov_b32 s9, 0
	s_and_b32 s10, s10, 3
	s_cmp_eq_u32 s10, 0
	s_cbranch_scc1 .LBB23_596
.LBB23_594:
	s_lshl_b32 s4, s9, 3
	s_mul_i32 s6, s9, 12
	s_add_u32 s4, s18, s4
	s_addc_u32 s5, s19, 0
	s_add_u32 s4, s4, 0xc4
	s_addc_u32 s5, s5, 0
	;; [unrolled: 2-line block ×3, first 2 shown]
	.p2align	6
.LBB23_595:                             ; =>This Inner Loop Header: Depth=1
	s_clause 0x1
	s_load_dwordx2 s[12:13], s[6:7], 0x4
	s_load_dword s9, s[6:7], 0xc
	s_load_dwordx2 s[14:15], s[4:5], 0x0
	s_add_u32 s6, s6, 12
	s_addc_u32 s7, s7, 0
	s_add_u32 s4, s4, 8
	s_addc_u32 s5, s5, 0
	s_add_i32 s10, s10, -1
	s_cmp_lg_u32 s10, 0
	s_waitcnt lgkmcnt(0)
	v_mul_hi_u32 v5, s13, v4
	v_add_nc_u32_e32 v5, v4, v5
	v_lshrrev_b32_e32 v5, s9, v5
	v_mul_lo_u32 v6, v5, s12
	v_sub_nc_u32_e32 v4, v4, v6
	v_mad_u64_u32 v[37:38], null, v4, s14, v[37:38]
	v_mad_u64_u32 v[27:28], null, v4, s15, v[27:28]
	v_mov_b32_e32 v4, v5
	s_cbranch_scc1 .LBB23_595
.LBB23_596:
	s_andn2_b32 vcc_lo, exec_lo, s8
	s_cbranch_vccnz .LBB23_599
; %bb.597:
	s_clause 0x1
	s_load_dwordx4 s[4:7], s[18:19], 0x4
	s_load_dwordx2 s[8:9], s[18:19], 0xc4
	s_cmp_lt_u32 s33, 2
	s_waitcnt lgkmcnt(0)
	v_mul_hi_u32 v4, s5, v3
	v_add_nc_u32_e32 v4, v3, v4
	v_lshrrev_b32_e32 v4, s6, v4
	v_mul_lo_u32 v5, v4, s4
	v_sub_nc_u32_e32 v3, v3, v5
	v_mul_lo_u32 v37, v3, s8
	v_mul_lo_u32 v27, v3, s9
	s_cbranch_scc1 .LBB23_599
; %bb.598:
	s_clause 0x1
	s_load_dwordx4 s[4:7], s[18:19], 0x10
	s_load_dwordx2 s[8:9], s[18:19], 0xcc
	s_waitcnt lgkmcnt(0)
	v_mul_hi_u32 v3, s5, v4
	v_add_nc_u32_e32 v3, v4, v3
	v_lshrrev_b32_e32 v3, s6, v3
	v_mul_lo_u32 v3, v3, s4
	v_sub_nc_u32_e32 v3, v4, v3
	v_mad_u64_u32 v[37:38], null, v3, s8, v[37:38]
	v_mad_u64_u32 v[27:28], null, v3, s9, v[27:28]
.LBB23_599:
	v_cmp_ne_u32_e32 vcc_lo, 1, v0
	v_add_nc_u32_e32 v3, 0x100, v30
	s_cbranch_vccnz .LBB23_605
; %bb.600:
	s_cmp_lg_u32 s33, 0
	s_mov_b32 s8, 0
	s_cbranch_scc0 .LBB23_606
; %bb.601:
	s_min_u32 s10, s40, 15
	s_add_i32 s10, s10, 1
	s_cmp_eq_u32 s40, 2
	s_cbranch_scc1 .LBB23_607
; %bb.602:
	v_mov_b32_e32 v30, 0
	v_mov_b32_e32 v35, 0
	;; [unrolled: 1-line block ×3, first 2 shown]
	s_and_b32 s9, s10, 28
	s_add_u32 s4, s18, 0xc4
	s_addc_u32 s5, s19, 0
	s_mov_b32 s11, 0
	s_mov_b64 s[6:7], s[18:19]
.LBB23_603:                             ; =>This Inner Loop Header: Depth=1
	s_clause 0x1
	s_load_dwordx8 s[24:31], s[6:7], 0x4
	s_load_dwordx4 s[12:15], s[6:7], 0x24
	s_load_dwordx8 s[44:51], s[4:5], 0x0
	s_add_u32 s6, s6, 48
	s_addc_u32 s7, s7, 0
	s_add_i32 s11, s11, 4
	s_add_u32 s4, s4, 32
	s_addc_u32 s5, s5, 0
	s_cmp_lg_u32 s9, s11
	s_waitcnt lgkmcnt(0)
	v_mul_hi_u32 v5, s25, v4
	v_add_nc_u32_e32 v5, v4, v5
	v_lshrrev_b32_e32 v5, s26, v5
	v_mul_hi_u32 v6, s28, v5
	v_mul_lo_u32 v8, v5, s24
	v_add_nc_u32_e32 v6, v5, v6
	v_sub_nc_u32_e32 v4, v4, v8
	v_lshrrev_b32_e32 v6, s29, v6
	v_mul_lo_u32 v8, v4, s44
	v_mul_lo_u32 v10, v4, s45
	v_mul_hi_u32 v7, s31, v6
	v_add_nc_u32_e32 v7, v6, v7
	v_lshrrev_b32_e32 v7, s12, v7
	v_mul_hi_u32 v9, s14, v7
	v_mul_lo_u32 v11, v7, s30
	v_add_nc_u32_e32 v4, v7, v9
	v_mul_lo_u32 v9, v6, s27
	v_sub_nc_u32_e32 v6, v6, v11
	v_lshrrev_b32_e32 v4, s15, v4
	v_mul_lo_u32 v11, v6, s48
	v_mul_lo_u32 v6, v6, s49
	v_sub_nc_u32_e32 v5, v5, v9
	v_mul_lo_u32 v12, v4, s13
	v_mul_lo_u32 v9, v5, s46
	;; [unrolled: 1-line block ×3, first 2 shown]
	v_sub_nc_u32_e32 v7, v7, v12
	v_add3_u32 v8, v8, v35, v9
	v_mul_lo_u32 v12, v7, s50
	v_mul_lo_u32 v7, v7, s51
	v_add3_u32 v5, v10, v30, v5
	v_add3_u32 v35, v11, v8, v12
	;; [unrolled: 1-line block ×3, first 2 shown]
	s_cbranch_scc1 .LBB23_603
; %bb.604:
	s_and_b32 s10, s10, 3
	s_cmp_eq_u32 s10, 0
	s_cbranch_scc0 .LBB23_608
	s_branch .LBB23_610
.LBB23_605:
	s_mov_b32 s8, -1
                                        ; implicit-def: $vgpr35
                                        ; implicit-def: $vgpr30
	s_branch .LBB23_610
.LBB23_606:
	v_mov_b32_e32 v35, 0
	v_mov_b32_e32 v30, 0
	s_branch .LBB23_610
.LBB23_607:
	v_mov_b32_e32 v35, 0
	v_mov_b32_e32 v30, 0
	;; [unrolled: 1-line block ×3, first 2 shown]
	s_mov_b32 s9, 0
	s_and_b32 s10, s10, 3
	s_cmp_eq_u32 s10, 0
	s_cbranch_scc1 .LBB23_610
.LBB23_608:
	s_lshl_b32 s4, s9, 3
	s_mul_i32 s6, s9, 12
	s_add_u32 s4, s18, s4
	s_addc_u32 s5, s19, 0
	s_add_u32 s4, s4, 0xc4
	s_addc_u32 s5, s5, 0
	;; [unrolled: 2-line block ×3, first 2 shown]
	.p2align	6
.LBB23_609:                             ; =>This Inner Loop Header: Depth=1
	s_clause 0x1
	s_load_dwordx2 s[12:13], s[6:7], 0x4
	s_load_dword s9, s[6:7], 0xc
	s_load_dwordx2 s[14:15], s[4:5], 0x0
	s_add_u32 s6, s6, 12
	s_addc_u32 s7, s7, 0
	s_add_u32 s4, s4, 8
	s_addc_u32 s5, s5, 0
	s_add_i32 s10, s10, -1
	s_cmp_lg_u32 s10, 0
	s_waitcnt lgkmcnt(0)
	v_mul_hi_u32 v5, s13, v4
	v_add_nc_u32_e32 v5, v4, v5
	v_lshrrev_b32_e32 v5, s9, v5
	v_mul_lo_u32 v6, v5, s12
	v_sub_nc_u32_e32 v4, v4, v6
	v_mad_u64_u32 v[35:36], null, v4, s14, v[35:36]
	v_mad_u64_u32 v[30:31], null, v4, s15, v[30:31]
	v_mov_b32_e32 v4, v5
	s_cbranch_scc1 .LBB23_609
.LBB23_610:
	s_andn2_b32 vcc_lo, exec_lo, s8
	s_cbranch_vccnz .LBB23_613
; %bb.611:
	s_clause 0x1
	s_load_dwordx4 s[4:7], s[18:19], 0x4
	s_load_dwordx2 s[8:9], s[18:19], 0xc4
	s_cmp_lt_u32 s33, 2
	s_waitcnt lgkmcnt(0)
	v_mul_hi_u32 v4, s5, v3
	v_add_nc_u32_e32 v4, v3, v4
	v_lshrrev_b32_e32 v4, s6, v4
	v_mul_lo_u32 v5, v4, s4
	v_sub_nc_u32_e32 v3, v3, v5
	v_mul_lo_u32 v35, v3, s8
	v_mul_lo_u32 v30, v3, s9
	s_cbranch_scc1 .LBB23_613
; %bb.612:
	s_clause 0x1
	s_load_dwordx4 s[4:7], s[18:19], 0x10
	s_load_dwordx2 s[8:9], s[18:19], 0xcc
	s_waitcnt lgkmcnt(0)
	v_mul_hi_u32 v3, s5, v4
	v_add_nc_u32_e32 v3, v4, v3
	v_lshrrev_b32_e32 v3, s6, v3
	v_mul_lo_u32 v3, v3, s4
	v_sub_nc_u32_e32 v3, v4, v3
	v_mad_u64_u32 v[35:36], null, v3, s8, v[35:36]
	v_mad_u64_u32 v[30:31], null, v3, s9, v[30:31]
.LBB23_613:
	v_cmp_ne_u32_e32 vcc_lo, 1, v0
	s_cbranch_vccnz .LBB23_619
; %bb.614:
	s_cmp_lg_u32 s33, 0
	s_mov_b32 s8, 0
	s_cbranch_scc0 .LBB23_620
; %bb.615:
	s_min_u32 s10, s40, 15
	s_add_i32 s10, s10, 1
	s_cmp_eq_u32 s40, 2
	s_cbranch_scc1 .LBB23_621
; %bb.616:
	v_mov_b32_e32 v31, 0
	v_mov_b32_e32 v33, 0
	;; [unrolled: 1-line block ×3, first 2 shown]
	s_and_b32 s9, s10, 28
	s_add_u32 s4, s18, 0xc4
	s_addc_u32 s5, s19, 0
	s_mov_b32 s11, 0
	s_mov_b64 s[6:7], s[18:19]
.LBB23_617:                             ; =>This Inner Loop Header: Depth=1
	s_clause 0x1
	s_load_dwordx8 s[24:31], s[6:7], 0x4
	s_load_dwordx4 s[12:15], s[6:7], 0x24
	s_load_dwordx8 s[36:43], s[4:5], 0x0
	s_add_u32 s6, s6, 48
	s_addc_u32 s7, s7, 0
	s_add_i32 s11, s11, 4
	s_add_u32 s4, s4, 32
	s_addc_u32 s5, s5, 0
	s_cmp_lg_u32 s9, s11
	s_waitcnt lgkmcnt(0)
	v_mul_hi_u32 v3, s25, v0
	v_add_nc_u32_e32 v3, v0, v3
	v_lshrrev_b32_e32 v3, s26, v3
	v_mul_hi_u32 v4, s28, v3
	v_mul_lo_u32 v6, v3, s24
	v_add_nc_u32_e32 v4, v3, v4
	v_sub_nc_u32_e32 v0, v0, v6
	v_lshrrev_b32_e32 v4, s29, v4
	v_mul_lo_u32 v6, v0, s36
	v_mul_lo_u32 v8, v0, s37
	v_mul_hi_u32 v5, s31, v4
	v_add_nc_u32_e32 v5, v4, v5
	v_lshrrev_b32_e32 v5, s12, v5
	v_mul_hi_u32 v7, s14, v5
	v_mul_lo_u32 v9, v5, s30
	v_add_nc_u32_e32 v0, v5, v7
	v_mul_lo_u32 v7, v4, s27
	v_sub_nc_u32_e32 v4, v4, v9
	v_lshrrev_b32_e32 v0, s15, v0
	v_mul_lo_u32 v9, v4, s40
	v_mul_lo_u32 v4, v4, s41
	v_sub_nc_u32_e32 v3, v3, v7
	v_mul_lo_u32 v10, v0, s13
	v_mul_lo_u32 v7, v3, s38
	;; [unrolled: 1-line block ×3, first 2 shown]
	v_sub_nc_u32_e32 v5, v5, v10
	v_add3_u32 v6, v6, v33, v7
	v_mul_lo_u32 v10, v5, s42
	v_mul_lo_u32 v5, v5, s43
	v_add3_u32 v3, v8, v31, v3
	v_add3_u32 v33, v9, v6, v10
	;; [unrolled: 1-line block ×3, first 2 shown]
	s_cbranch_scc1 .LBB23_617
; %bb.618:
	s_and_b32 s10, s10, 3
	s_cmp_eq_u32 s10, 0
	s_cbranch_scc0 .LBB23_622
	s_branch .LBB23_624
.LBB23_619:
	s_mov_b32 s8, -1
                                        ; implicit-def: $vgpr33
                                        ; implicit-def: $vgpr31
	s_branch .LBB23_624
.LBB23_620:
	v_mov_b32_e32 v33, 0
	v_mov_b32_e32 v31, 0
	s_branch .LBB23_624
.LBB23_621:
	v_mov_b32_e32 v33, 0
	v_mov_b32_e32 v31, 0
	;; [unrolled: 1-line block ×3, first 2 shown]
	s_mov_b32 s9, 0
	s_and_b32 s10, s10, 3
	s_cmp_eq_u32 s10, 0
	s_cbranch_scc1 .LBB23_624
.LBB23_622:
	s_lshl_b32 s4, s9, 3
	s_mul_i32 s6, s9, 12
	s_add_u32 s4, s18, s4
	s_addc_u32 s5, s19, 0
	s_add_u32 s4, s4, 0xc4
	s_addc_u32 s5, s5, 0
	;; [unrolled: 2-line block ×3, first 2 shown]
	.p2align	6
.LBB23_623:                             ; =>This Inner Loop Header: Depth=1
	s_clause 0x1
	s_load_dwordx2 s[12:13], s[6:7], 0x4
	s_load_dword s9, s[6:7], 0xc
	s_load_dwordx2 s[14:15], s[4:5], 0x0
	s_add_u32 s6, s6, 12
	s_addc_u32 s7, s7, 0
	s_add_u32 s4, s4, 8
	s_addc_u32 s5, s5, 0
	s_add_i32 s10, s10, -1
	s_cmp_lg_u32 s10, 0
	s_waitcnt lgkmcnt(0)
	v_mul_hi_u32 v3, s13, v0
	v_add_nc_u32_e32 v3, v0, v3
	v_lshrrev_b32_e32 v3, s9, v3
	v_mul_lo_u32 v4, v3, s12
	v_sub_nc_u32_e32 v0, v0, v4
	v_mad_u64_u32 v[33:34], null, v0, s14, v[33:34]
	v_mad_u64_u32 v[31:32], null, v0, s15, v[31:32]
	v_mov_b32_e32 v0, v3
	s_cbranch_scc1 .LBB23_623
.LBB23_624:
	s_andn2_b32 vcc_lo, exec_lo, s8
	s_cbranch_vccnz .LBB23_627
; %bb.625:
	s_clause 0x1
	s_load_dwordx4 s[4:7], s[18:19], 0x4
	s_load_dwordx2 s[8:9], s[18:19], 0xc4
	s_cmp_lt_u32 s33, 2
	s_waitcnt lgkmcnt(0)
	v_mul_hi_u32 v0, s5, v1
	v_add_nc_u32_e32 v0, v1, v0
	v_lshrrev_b32_e32 v0, s6, v0
	v_mul_lo_u32 v3, v0, s4
	v_sub_nc_u32_e32 v1, v1, v3
	v_mul_lo_u32 v33, v1, s8
	v_mul_lo_u32 v31, v1, s9
	s_cbranch_scc1 .LBB23_627
; %bb.626:
	s_clause 0x1
	s_load_dwordx4 s[4:7], s[18:19], 0x10
	s_load_dwordx2 s[8:9], s[18:19], 0xcc
	s_waitcnt lgkmcnt(0)
	v_mul_hi_u32 v1, s5, v0
	v_add_nc_u32_e32 v1, v0, v1
	v_lshrrev_b32_e32 v1, s6, v1
	v_mul_lo_u32 v1, v1, s4
	v_sub_nc_u32_e32 v0, v0, v1
	v_mad_u64_u32 v[33:34], null, v0, s8, v[33:34]
	v_mad_u64_u32 v[31:32], null, v0, s9, v[31:32]
.LBB23_627:
	s_clause 0x1
	s_load_dword s22, s[16:17], 0x160
	s_load_dwordx4 s[16:19], s[18:19], 0x148
	s_getpc_b64 s[24:25]
	s_add_u32 s24, s24, _ZN2at6native6invokeIZZZNS0_12_GLOBAL__N_119airy_ai_kernel_cudaERNS_18TensorIteratorBaseEENKUlvE_clEvENKUlvE0_clEvEUlfE_j15function_traitsIS7_EEENT1_11result_typeERKT_PrKPcPKT0_PKN3c1010ScalarTypeEi@rel32@lo+4
	s_addc_u32 s25, s25, _ZN2at6native6invokeIZZZNS0_12_GLOBAL__N_119airy_ai_kernel_cudaERNS_18TensorIteratorBaseEENKUlvE_clEvENKUlvE0_clEvEUlfE_j15function_traitsIS7_EEENT1_11result_typeERKT_PrKPcPKT0_PKN3c1010ScalarTypeEi@rel32@hi+12
	s_waitcnt lgkmcnt(0)
	s_lshr_b32 s23, s22, 16
	v_mov_b32_e32 v0, s18
	v_mov_b32_e32 v1, s19
	v_mov_b32_e32 v3, s23
	s_swappc_b64 s[30:31], s[24:25]
	v_mov_b32_e32 v29, v0
	v_mov_b32_e32 v0, s18
	v_mov_b32_e32 v1, s19
	v_mov_b32_e32 v2, v27
	v_mov_b32_e32 v3, s23
	s_swappc_b64 s[30:31], s[24:25]
	v_mov_b32_e32 v28, v0
	v_mov_b32_e32 v0, s18
	;; [unrolled: 6-line block ×3, first 2 shown]
	v_mov_b32_e32 v1, s19
	v_mov_b32_e32 v2, v31
	;; [unrolled: 1-line block ×3, first 2 shown]
	s_swappc_b64 s[30:31], s[24:25]
	v_add_co_u32 v1, s4, s16, v39
	v_add_co_ci_u32_e64 v2, null, s17, 0, s4
	s_bfe_u32 s5, s22, 0x80008
	s_cmp_lt_i32 s5, 11
	s_cbranch_scc1 .LBB23_706
; %bb.628:
	s_and_b32 s6, 0xffff, s5
	s_mov_b32 s9, -1
	s_mov_b32 s7, 0
	s_cmp_gt_i32 s6, 25
	s_mov_b32 s8, 0
	s_mov_b32 s4, 0
	s_cbranch_scc0 .LBB23_661
; %bb.629:
	s_cmp_gt_i32 s6, 28
	s_cbranch_scc0 .LBB23_644
; %bb.630:
	s_cmp_gt_i32 s6, 43
	;; [unrolled: 3-line block ×3, first 2 shown]
	s_cbranch_scc0 .LBB23_634
; %bb.632:
	s_mov_b32 s4, -1
	s_mov_b32 s9, 0
	s_cmp_eq_u32 s6, 46
	s_cbranch_scc0 .LBB23_634
; %bb.633:
	v_bfe_u32 v3, v29, 16, 1
	v_cmp_o_f32_e32 vcc_lo, v29, v29
	v_mov_b32_e32 v4, 0x7fc0
	s_mov_b32 s4, 0
	s_mov_b32 s8, -1
	v_add3_u32 v3, v29, v3, 0x7fff
	v_cndmask_b32_sdwa v3, v4, v3, vcc_lo dst_sel:DWORD dst_unused:UNUSED_PAD src0_sel:DWORD src1_sel:WORD_1
	global_store_dword v[1:2], v3, off
.LBB23_634:
	s_and_b32 vcc_lo, exec_lo, s9
	s_cbranch_vccz .LBB23_639
; %bb.635:
	s_cmp_eq_u32 s6, 44
	s_mov_b32 s4, -1
	s_cbranch_scc0 .LBB23_639
; %bb.636:
	v_bfe_u32 v4, v29, 23, 8
	v_mov_b32_e32 v3, 0xff
	s_mov_b32 s8, exec_lo
	v_cmpx_ne_u32_e32 0xff, v4
	s_cbranch_execz .LBB23_638
; %bb.637:
	v_and_b32_e32 v3, 0x400000, v29
	v_and_or_b32 v4, 0x3fffff, v29, v4
	v_cmp_ne_u32_e32 vcc_lo, 0, v3
	v_cmp_ne_u32_e64 s4, 0, v4
	v_lshrrev_b32_e32 v3, 23, v29
	s_and_b32 s4, vcc_lo, s4
	v_cndmask_b32_e64 v4, 0, 1, s4
	v_add_nc_u32_e32 v3, v3, v4
.LBB23_638:
	s_or_b32 exec_lo, exec_lo, s8
	s_mov_b32 s4, 0
	s_mov_b32 s8, -1
	global_store_byte v[1:2], v3, off
.LBB23_639:
	s_mov_b32 s9, 0
.LBB23_640:
	s_and_b32 vcc_lo, exec_lo, s9
	s_cbranch_vccz .LBB23_643
; %bb.641:
	s_cmp_eq_u32 s6, 29
	s_mov_b32 s4, -1
	s_cbranch_scc0 .LBB23_643
; %bb.642:
	v_trunc_f32_e32 v3, v29
	s_mov_b32 s4, 0
	s_mov_b32 s8, -1
	v_mul_f32_e32 v4, 0x2f800000, v3
	v_floor_f32_e32 v4, v4
	v_fmamk_f32 v3, v4, 0xcf800000, v3
	v_cvt_u32_f32_e32 v4, v4
	v_cvt_u32_f32_e32 v3, v3
	global_store_dwordx2 v[1:2], v[3:4], off
.LBB23_643:
	s_mov_b32 s9, 0
.LBB23_644:
	s_and_b32 vcc_lo, exec_lo, s9
	s_cbranch_vccz .LBB23_660
; %bb.645:
	s_cmp_lt_i32 s6, 27
	s_mov_b32 s8, -1
	s_cbranch_scc1 .LBB23_651
; %bb.646:
	s_cmp_gt_i32 s6, 27
	s_cbranch_scc0 .LBB23_648
; %bb.647:
	v_cvt_u32_f32_e32 v3, v29
	s_mov_b32 s8, 0
	global_store_dword v[1:2], v3, off
.LBB23_648:
	s_andn2_b32 vcc_lo, exec_lo, s8
	s_cbranch_vccnz .LBB23_650
; %bb.649:
	v_cvt_u32_f32_e32 v3, v29
	global_store_short v[1:2], v3, off
.LBB23_650:
	s_mov_b32 s8, 0
.LBB23_651:
	s_andn2_b32 vcc_lo, exec_lo, s8
	s_cbranch_vccnz .LBB23_659
; %bb.652:
	v_and_b32_e32 v3, 0x7fffffff, v29
	v_mov_b32_e32 v4, 0x80
	s_mov_b32 s8, exec_lo
	v_cmpx_gt_u32_e32 0x43800000, v3
	s_cbranch_execz .LBB23_658
; %bb.653:
	v_cmp_lt_u32_e32 vcc_lo, 0x3bffffff, v3
	s_mov_b32 s9, 0
                                        ; implicit-def: $vgpr3
	s_and_saveexec_b32 s10, vcc_lo
	s_xor_b32 s10, exec_lo, s10
	s_cbranch_execz .LBB23_1103
; %bb.654:
	v_bfe_u32 v3, v29, 20, 1
	s_mov_b32 s9, exec_lo
	v_add3_u32 v3, v29, v3, 0x487ffff
	v_lshrrev_b32_e32 v3, 20, v3
	s_andn2_saveexec_b32 s10, s10
	s_cbranch_execnz .LBB23_1104
.LBB23_655:
	s_or_b32 exec_lo, exec_lo, s10
	v_mov_b32_e32 v4, 0
	s_and_saveexec_b32 s10, s9
.LBB23_656:
	v_lshrrev_b32_e32 v4, 24, v29
	v_and_or_b32 v4, 0x80, v4, v3
.LBB23_657:
	s_or_b32 exec_lo, exec_lo, s10
.LBB23_658:
	s_or_b32 exec_lo, exec_lo, s8
	global_store_byte v[1:2], v4, off
.LBB23_659:
	s_mov_b32 s8, -1
.LBB23_660:
	s_mov_b32 s9, 0
.LBB23_661:
	s_and_b32 vcc_lo, exec_lo, s9
	s_cbranch_vccz .LBB23_701
; %bb.662:
	s_cmp_gt_i32 s6, 22
	s_mov_b32 s7, -1
	s_cbranch_scc0 .LBB23_694
; %bb.663:
	s_cmp_lt_i32 s6, 24
	s_cbranch_scc1 .LBB23_683
; %bb.664:
	s_cmp_gt_i32 s6, 24
	s_cbranch_scc0 .LBB23_672
; %bb.665:
	v_and_b32_e32 v3, 0x7fffffff, v29
	v_mov_b32_e32 v4, 0x80
	s_mov_b32 s7, exec_lo
	v_cmpx_gt_u32_e32 0x47800000, v3
	s_cbranch_execz .LBB23_671
; %bb.666:
	v_cmp_lt_u32_e32 vcc_lo, 0x37ffffff, v3
	s_mov_b32 s8, 0
                                        ; implicit-def: $vgpr3
	s_and_saveexec_b32 s9, vcc_lo
	s_xor_b32 s9, exec_lo, s9
	s_cbranch_execz .LBB23_1106
; %bb.667:
	v_bfe_u32 v3, v29, 21, 1
	s_mov_b32 s8, exec_lo
	v_add3_u32 v3, v29, v3, 0x88fffff
	v_lshrrev_b32_e32 v3, 21, v3
	s_andn2_saveexec_b32 s9, s9
	s_cbranch_execnz .LBB23_1107
.LBB23_668:
	s_or_b32 exec_lo, exec_lo, s9
	v_mov_b32_e32 v4, 0
	s_and_saveexec_b32 s9, s8
.LBB23_669:
	v_lshrrev_b32_e32 v4, 24, v29
	v_and_or_b32 v4, 0x80, v4, v3
.LBB23_670:
	s_or_b32 exec_lo, exec_lo, s9
.LBB23_671:
	s_or_b32 exec_lo, exec_lo, s7
	s_mov_b32 s7, 0
	global_store_byte v[1:2], v4, off
.LBB23_672:
	s_and_b32 vcc_lo, exec_lo, s7
	s_cbranch_vccz .LBB23_682
; %bb.673:
	v_and_b32_e32 v4, 0x7fffffff, v29
	s_mov_b32 s7, exec_lo
                                        ; implicit-def: $vgpr3
	v_cmpx_gt_u32_e32 0x43f00000, v4
	s_xor_b32 s7, exec_lo, s7
	s_cbranch_execz .LBB23_679
; %bb.674:
	s_mov_b32 s8, exec_lo
                                        ; implicit-def: $vgpr3
	v_cmpx_lt_u32_e32 0x3c7fffff, v4
	s_xor_b32 s8, exec_lo, s8
; %bb.675:
	v_bfe_u32 v3, v29, 20, 1
	v_add3_u32 v3, v29, v3, 0x407ffff
	v_and_b32_e32 v4, 0xff00000, v3
	v_lshrrev_b32_e32 v3, 20, v3
	v_cmp_ne_u32_e32 vcc_lo, 0x7f00000, v4
	v_cndmask_b32_e32 v3, 0x7e, v3, vcc_lo
; %bb.676:
	s_andn2_saveexec_b32 s8, s8
; %bb.677:
	v_add_f32_e64 v3, 0x46800000, |v29|
; %bb.678:
	s_or_b32 exec_lo, exec_lo, s8
                                        ; implicit-def: $vgpr4
.LBB23_679:
	s_andn2_saveexec_b32 s7, s7
; %bb.680:
	v_mov_b32_e32 v3, 0x7f
	v_cmp_lt_u32_e32 vcc_lo, 0x7f800000, v4
	v_cndmask_b32_e32 v3, 0x7e, v3, vcc_lo
; %bb.681:
	s_or_b32 exec_lo, exec_lo, s7
	v_lshrrev_b32_e32 v4, 24, v29
	v_and_or_b32 v3, 0x80, v4, v3
	global_store_byte v[1:2], v3, off
.LBB23_682:
	s_mov_b32 s7, 0
.LBB23_683:
	s_andn2_b32 vcc_lo, exec_lo, s7
	s_cbranch_vccnz .LBB23_693
; %bb.684:
	v_and_b32_e32 v4, 0x7fffffff, v29
	s_mov_b32 s7, exec_lo
                                        ; implicit-def: $vgpr3
	v_cmpx_gt_u32_e32 0x47800000, v4
	s_xor_b32 s7, exec_lo, s7
	s_cbranch_execz .LBB23_690
; %bb.685:
	s_mov_b32 s8, exec_lo
                                        ; implicit-def: $vgpr3
	v_cmpx_lt_u32_e32 0x387fffff, v4
	s_xor_b32 s8, exec_lo, s8
; %bb.686:
	v_bfe_u32 v3, v29, 21, 1
	v_add3_u32 v3, v29, v3, 0x80fffff
	v_lshrrev_b32_e32 v3, 21, v3
; %bb.687:
	s_andn2_saveexec_b32 s8, s8
; %bb.688:
	v_add_f32_e64 v3, 0x43000000, |v29|
; %bb.689:
	s_or_b32 exec_lo, exec_lo, s8
                                        ; implicit-def: $vgpr4
.LBB23_690:
	s_andn2_saveexec_b32 s7, s7
; %bb.691:
	v_mov_b32_e32 v3, 0x7f
	v_cmp_lt_u32_e32 vcc_lo, 0x7f800000, v4
	v_cndmask_b32_e32 v3, 0x7c, v3, vcc_lo
; %bb.692:
	s_or_b32 exec_lo, exec_lo, s7
	v_lshrrev_b32_e32 v4, 24, v29
	v_and_or_b32 v3, 0x80, v4, v3
	global_store_byte v[1:2], v3, off
.LBB23_693:
	s_mov_b32 s7, 0
	s_mov_b32 s8, -1
.LBB23_694:
	s_andn2_b32 vcc_lo, exec_lo, s7
	s_mov_b32 s7, 0
	s_cbranch_vccnz .LBB23_701
; %bb.695:
	s_cmp_gt_i32 s6, 14
	s_mov_b32 s7, -1
	s_cbranch_scc0 .LBB23_699
; %bb.696:
	s_cmp_eq_u32 s6, 15
	s_mov_b32 s4, -1
	s_cbranch_scc0 .LBB23_698
; %bb.697:
	v_bfe_u32 v3, v29, 16, 1
	v_cmp_o_f32_e32 vcc_lo, v29, v29
	v_mov_b32_e32 v4, 0x7fc0
	s_mov_b32 s4, 0
	s_mov_b32 s8, -1
	v_add3_u32 v3, v29, v3, 0x7fff
	v_cndmask_b32_sdwa v3, v4, v3, vcc_lo dst_sel:DWORD dst_unused:UNUSED_PAD src0_sel:DWORD src1_sel:WORD_1
	global_store_short v[1:2], v3, off
.LBB23_698:
	s_mov_b32 s7, 0
.LBB23_699:
	s_and_b32 vcc_lo, exec_lo, s7
	s_mov_b32 s7, 0
	s_cbranch_vccz .LBB23_701
; %bb.700:
	s_cmp_lg_u32 s6, 11
	s_mov_b32 s7, -1
	s_cselect_b32 s4, -1, 0
.LBB23_701:
	s_and_b32 vcc_lo, exec_lo, s4
	s_mov_b32 s6, s20
	s_cbranch_vccnz .LBB23_1105
; %bb.702:
	s_andn2_b32 vcc_lo, exec_lo, s7
	s_cbranch_vccnz .LBB23_704
.LBB23_703:
	v_cmp_neq_f32_e32 vcc_lo, 0, v29
	s_mov_b32 s8, -1
	v_cndmask_b32_e64 v3, 0, 1, vcc_lo
	global_store_byte v[1:2], v3, off
.LBB23_704:
.LBB23_705:
	s_andn2_b32 vcc_lo, exec_lo, s8
	s_cbranch_vccz .LBB23_745
	s_branch .LBB23_1057
.LBB23_706:
	s_mov_b32 s8, 0
	s_mov_b32 s6, s20
	s_cbranch_execz .LBB23_705
; %bb.707:
	s_and_b32 s4, 0xffff, s5
	s_mov_b32 s5, -1
	s_cmp_lt_i32 s4, 5
	s_cbranch_scc1 .LBB23_728
; %bb.708:
	s_cmp_lt_i32 s4, 8
	s_cbranch_scc1 .LBB23_718
; %bb.709:
	;; [unrolled: 3-line block ×3, first 2 shown]
	s_cmp_gt_i32 s4, 9
	s_cbranch_scc0 .LBB23_712
; %bb.711:
	v_cvt_f64_f32_e32 v[3:4], v29
	v_mov_b32_e32 v5, 0
	s_mov_b32 s5, 0
	v_mov_b32_e32 v6, v5
	global_store_dwordx4 v[1:2], v[3:6], off
.LBB23_712:
	s_andn2_b32 vcc_lo, exec_lo, s5
	s_cbranch_vccnz .LBB23_714
; %bb.713:
	v_mov_b32_e32 v30, 0
	global_store_dwordx2 v[1:2], v[29:30], off
.LBB23_714:
	s_mov_b32 s5, 0
.LBB23_715:
	s_andn2_b32 vcc_lo, exec_lo, s5
	s_cbranch_vccnz .LBB23_717
; %bb.716:
	v_cvt_f16_f32_e32 v3, v29
	v_and_b32_e32 v3, 0xffff, v3
	global_store_dword v[1:2], v3, off
.LBB23_717:
	s_mov_b32 s5, 0
.LBB23_718:
	s_andn2_b32 vcc_lo, exec_lo, s5
	s_cbranch_vccnz .LBB23_727
; %bb.719:
	s_cmp_lt_i32 s4, 6
	s_mov_b32 s5, -1
	s_cbranch_scc1 .LBB23_725
; %bb.720:
	s_cmp_gt_i32 s4, 6
	s_cbranch_scc0 .LBB23_722
; %bb.721:
	v_cvt_f64_f32_e32 v[3:4], v29
	s_mov_b32 s5, 0
	global_store_dwordx2 v[1:2], v[3:4], off
.LBB23_722:
	s_andn2_b32 vcc_lo, exec_lo, s5
	s_cbranch_vccnz .LBB23_724
; %bb.723:
	global_store_dword v[1:2], v29, off
.LBB23_724:
	s_mov_b32 s5, 0
.LBB23_725:
	s_andn2_b32 vcc_lo, exec_lo, s5
	s_cbranch_vccnz .LBB23_727
; %bb.726:
	v_cvt_f16_f32_e32 v3, v29
	global_store_short v[1:2], v3, off
.LBB23_727:
	s_mov_b32 s5, 0
.LBB23_728:
	s_andn2_b32 vcc_lo, exec_lo, s5
	s_cbranch_vccnz .LBB23_744
; %bb.729:
	s_cmp_lt_i32 s4, 2
	s_mov_b32 s5, -1
	s_cbranch_scc1 .LBB23_739
; %bb.730:
	s_cmp_lt_i32 s4, 3
	s_cbranch_scc1 .LBB23_736
; %bb.731:
	s_cmp_gt_i32 s4, 3
	s_cbranch_scc0 .LBB23_733
; %bb.732:
	v_trunc_f32_e32 v3, v29
	s_mov_b32 s5, 0
	v_mul_f32_e64 v4, 0x2f800000, |v3|
	v_ashrrev_i32_e32 v6, 31, v3
	v_floor_f32_e32 v4, v4
	v_fma_f32 v5, 0xcf800000, v4, |v3|
	v_cvt_u32_f32_e32 v4, v4
	v_cvt_u32_f32_e32 v3, v5
	v_xor_b32_e32 v4, v4, v6
	v_xor_b32_e32 v3, v3, v6
	v_sub_co_u32 v3, vcc_lo, v3, v6
	v_sub_co_ci_u32_e64 v4, null, v4, v6, vcc_lo
	global_store_dwordx2 v[1:2], v[3:4], off
.LBB23_733:
	s_andn2_b32 vcc_lo, exec_lo, s5
	s_cbranch_vccnz .LBB23_735
; %bb.734:
	v_cvt_i32_f32_e32 v3, v29
	global_store_dword v[1:2], v3, off
.LBB23_735:
	s_mov_b32 s5, 0
.LBB23_736:
	s_andn2_b32 vcc_lo, exec_lo, s5
	s_cbranch_vccnz .LBB23_738
; %bb.737:
	v_cvt_i32_f32_e32 v3, v29
	global_store_short v[1:2], v3, off
.LBB23_738:
	s_mov_b32 s5, 0
.LBB23_739:
	s_andn2_b32 vcc_lo, exec_lo, s5
	s_cbranch_vccnz .LBB23_744
; %bb.740:
	s_cmp_gt_i32 s4, 0
	s_mov_b32 s4, -1
	s_cbranch_scc0 .LBB23_742
; %bb.741:
	v_cvt_i32_f32_e32 v3, v29
	s_mov_b32 s4, 0
	global_store_byte v[1:2], v3, off
.LBB23_742:
	s_andn2_b32 vcc_lo, exec_lo, s4
	s_cbranch_vccnz .LBB23_744
; %bb.743:
	v_trunc_f32_e32 v3, v29
	v_mul_f32_e64 v4, 0x2f800000, |v3|
	v_floor_f32_e32 v4, v4
	v_fma_f32 v4, 0xcf800000, v4, |v3|
	v_ashrrev_i32_e32 v3, 31, v3
	v_cvt_u32_f32_e32 v4, v4
	v_xor_b32_e32 v4, v4, v3
	v_sub_nc_u32_e32 v3, v4, v3
	global_store_byte v[1:2], v3, off
.LBB23_744:
.LBB23_745:
	v_add_co_u32 v1, s5, s16, v37
	s_lshr_b32 s4, s22, 8
	v_add_co_ci_u32_e64 v2, null, s17, 0, s5
	s_and_b32 s5, s4, 0xff
	s_cmp_lt_i32 s5, 11
	s_cbranch_scc1 .LBB23_824
; %bb.746:
	s_and_b32 s7, 0xffff, s5
	s_mov_b32 s10, -1
	s_mov_b32 s8, 0
	s_cmp_gt_i32 s7, 25
	s_mov_b32 s9, 0
	s_mov_b32 s4, 0
	s_cbranch_scc0 .LBB23_779
; %bb.747:
	s_cmp_gt_i32 s7, 28
	s_cbranch_scc0 .LBB23_762
; %bb.748:
	s_cmp_gt_i32 s7, 43
	;; [unrolled: 3-line block ×3, first 2 shown]
	s_cbranch_scc0 .LBB23_752
; %bb.750:
	s_mov_b32 s4, -1
	s_mov_b32 s10, 0
	s_cmp_eq_u32 s7, 46
	s_cbranch_scc0 .LBB23_752
; %bb.751:
	v_bfe_u32 v3, v28, 16, 1
	v_cmp_o_f32_e32 vcc_lo, v28, v28
	v_mov_b32_e32 v4, 0x7fc0
	s_mov_b32 s4, 0
	s_mov_b32 s9, -1
	v_add3_u32 v3, v28, v3, 0x7fff
	v_cndmask_b32_sdwa v3, v4, v3, vcc_lo dst_sel:DWORD dst_unused:UNUSED_PAD src0_sel:DWORD src1_sel:WORD_1
	global_store_dword v[1:2], v3, off
.LBB23_752:
	s_and_b32 vcc_lo, exec_lo, s10
	s_cbranch_vccz .LBB23_757
; %bb.753:
	s_cmp_eq_u32 s7, 44
	s_mov_b32 s4, -1
	s_cbranch_scc0 .LBB23_757
; %bb.754:
	v_bfe_u32 v4, v28, 23, 8
	v_mov_b32_e32 v3, 0xff
	s_mov_b32 s9, exec_lo
	v_cmpx_ne_u32_e32 0xff, v4
	s_cbranch_execz .LBB23_756
; %bb.755:
	v_and_b32_e32 v3, 0x400000, v28
	v_and_or_b32 v4, 0x3fffff, v28, v4
	v_cmp_ne_u32_e32 vcc_lo, 0, v3
	v_cmp_ne_u32_e64 s4, 0, v4
	v_lshrrev_b32_e32 v3, 23, v28
	s_and_b32 s4, vcc_lo, s4
	v_cndmask_b32_e64 v4, 0, 1, s4
	v_add_nc_u32_e32 v3, v3, v4
.LBB23_756:
	s_or_b32 exec_lo, exec_lo, s9
	s_mov_b32 s4, 0
	s_mov_b32 s9, -1
	global_store_byte v[1:2], v3, off
.LBB23_757:
	s_mov_b32 s10, 0
.LBB23_758:
	s_and_b32 vcc_lo, exec_lo, s10
	s_cbranch_vccz .LBB23_761
; %bb.759:
	s_cmp_eq_u32 s7, 29
	s_mov_b32 s4, -1
	s_cbranch_scc0 .LBB23_761
; %bb.760:
	v_trunc_f32_e32 v3, v28
	s_mov_b32 s4, 0
	s_mov_b32 s9, -1
	v_mul_f32_e32 v4, 0x2f800000, v3
	v_floor_f32_e32 v4, v4
	v_fmamk_f32 v3, v4, 0xcf800000, v3
	v_cvt_u32_f32_e32 v4, v4
	v_cvt_u32_f32_e32 v3, v3
	global_store_dwordx2 v[1:2], v[3:4], off
.LBB23_761:
	s_mov_b32 s10, 0
.LBB23_762:
	s_and_b32 vcc_lo, exec_lo, s10
	s_cbranch_vccz .LBB23_778
; %bb.763:
	s_cmp_lt_i32 s7, 27
	s_mov_b32 s9, -1
	s_cbranch_scc1 .LBB23_769
; %bb.764:
	s_cmp_gt_i32 s7, 27
	s_cbranch_scc0 .LBB23_766
; %bb.765:
	v_cvt_u32_f32_e32 v3, v28
	s_mov_b32 s9, 0
	global_store_dword v[1:2], v3, off
.LBB23_766:
	s_andn2_b32 vcc_lo, exec_lo, s9
	s_cbranch_vccnz .LBB23_768
; %bb.767:
	v_cvt_u32_f32_e32 v3, v28
	global_store_short v[1:2], v3, off
.LBB23_768:
	s_mov_b32 s9, 0
.LBB23_769:
	s_andn2_b32 vcc_lo, exec_lo, s9
	s_cbranch_vccnz .LBB23_777
; %bb.770:
	v_and_b32_e32 v3, 0x7fffffff, v28
	v_mov_b32_e32 v4, 0x80
	s_mov_b32 s9, exec_lo
	v_cmpx_gt_u32_e32 0x43800000, v3
	s_cbranch_execz .LBB23_776
; %bb.771:
	v_cmp_lt_u32_e32 vcc_lo, 0x3bffffff, v3
	s_mov_b32 s10, 0
                                        ; implicit-def: $vgpr3
	s_and_saveexec_b32 s11, vcc_lo
	s_xor_b32 s11, exec_lo, s11
	s_cbranch_execz .LBB23_1108
; %bb.772:
	v_bfe_u32 v3, v28, 20, 1
	s_mov_b32 s10, exec_lo
	v_add3_u32 v3, v28, v3, 0x487ffff
	v_lshrrev_b32_e32 v3, 20, v3
	s_andn2_saveexec_b32 s11, s11
	s_cbranch_execnz .LBB23_1109
.LBB23_773:
	s_or_b32 exec_lo, exec_lo, s11
	v_mov_b32_e32 v4, 0
	s_and_saveexec_b32 s11, s10
.LBB23_774:
	v_lshrrev_b32_e32 v4, 24, v28
	v_and_or_b32 v4, 0x80, v4, v3
.LBB23_775:
	s_or_b32 exec_lo, exec_lo, s11
.LBB23_776:
	s_or_b32 exec_lo, exec_lo, s9
	global_store_byte v[1:2], v4, off
.LBB23_777:
	s_mov_b32 s9, -1
.LBB23_778:
	s_mov_b32 s10, 0
.LBB23_779:
	s_and_b32 vcc_lo, exec_lo, s10
	s_cbranch_vccz .LBB23_819
; %bb.780:
	s_cmp_gt_i32 s7, 22
	s_mov_b32 s8, -1
	s_cbranch_scc0 .LBB23_812
; %bb.781:
	s_cmp_lt_i32 s7, 24
	s_cbranch_scc1 .LBB23_801
; %bb.782:
	s_cmp_gt_i32 s7, 24
	s_cbranch_scc0 .LBB23_790
; %bb.783:
	v_and_b32_e32 v3, 0x7fffffff, v28
	v_mov_b32_e32 v4, 0x80
	s_mov_b32 s8, exec_lo
	v_cmpx_gt_u32_e32 0x47800000, v3
	s_cbranch_execz .LBB23_789
; %bb.784:
	v_cmp_lt_u32_e32 vcc_lo, 0x37ffffff, v3
	s_mov_b32 s9, 0
                                        ; implicit-def: $vgpr3
	s_and_saveexec_b32 s10, vcc_lo
	s_xor_b32 s10, exec_lo, s10
	s_cbranch_execz .LBB23_1111
; %bb.785:
	v_bfe_u32 v3, v28, 21, 1
	s_mov_b32 s9, exec_lo
	v_add3_u32 v3, v28, v3, 0x88fffff
	v_lshrrev_b32_e32 v3, 21, v3
	s_andn2_saveexec_b32 s10, s10
	s_cbranch_execnz .LBB23_1112
.LBB23_786:
	s_or_b32 exec_lo, exec_lo, s10
	v_mov_b32_e32 v4, 0
	s_and_saveexec_b32 s10, s9
.LBB23_787:
	v_lshrrev_b32_e32 v4, 24, v28
	v_and_or_b32 v4, 0x80, v4, v3
.LBB23_788:
	s_or_b32 exec_lo, exec_lo, s10
.LBB23_789:
	s_or_b32 exec_lo, exec_lo, s8
	s_mov_b32 s8, 0
	global_store_byte v[1:2], v4, off
.LBB23_790:
	s_and_b32 vcc_lo, exec_lo, s8
	s_cbranch_vccz .LBB23_800
; %bb.791:
	v_and_b32_e32 v4, 0x7fffffff, v28
	s_mov_b32 s8, exec_lo
                                        ; implicit-def: $vgpr3
	v_cmpx_gt_u32_e32 0x43f00000, v4
	s_xor_b32 s8, exec_lo, s8
	s_cbranch_execz .LBB23_797
; %bb.792:
	s_mov_b32 s9, exec_lo
                                        ; implicit-def: $vgpr3
	v_cmpx_lt_u32_e32 0x3c7fffff, v4
	s_xor_b32 s9, exec_lo, s9
; %bb.793:
	v_bfe_u32 v3, v28, 20, 1
	v_add3_u32 v3, v28, v3, 0x407ffff
	v_and_b32_e32 v4, 0xff00000, v3
	v_lshrrev_b32_e32 v3, 20, v3
	v_cmp_ne_u32_e32 vcc_lo, 0x7f00000, v4
	v_cndmask_b32_e32 v3, 0x7e, v3, vcc_lo
; %bb.794:
	s_andn2_saveexec_b32 s9, s9
; %bb.795:
	v_add_f32_e64 v3, 0x46800000, |v28|
; %bb.796:
	s_or_b32 exec_lo, exec_lo, s9
                                        ; implicit-def: $vgpr4
.LBB23_797:
	s_andn2_saveexec_b32 s8, s8
; %bb.798:
	v_mov_b32_e32 v3, 0x7f
	v_cmp_lt_u32_e32 vcc_lo, 0x7f800000, v4
	v_cndmask_b32_e32 v3, 0x7e, v3, vcc_lo
; %bb.799:
	s_or_b32 exec_lo, exec_lo, s8
	v_lshrrev_b32_e32 v4, 24, v28
	v_and_or_b32 v3, 0x80, v4, v3
	global_store_byte v[1:2], v3, off
.LBB23_800:
	s_mov_b32 s8, 0
.LBB23_801:
	s_andn2_b32 vcc_lo, exec_lo, s8
	s_cbranch_vccnz .LBB23_811
; %bb.802:
	v_and_b32_e32 v4, 0x7fffffff, v28
	s_mov_b32 s8, exec_lo
                                        ; implicit-def: $vgpr3
	v_cmpx_gt_u32_e32 0x47800000, v4
	s_xor_b32 s8, exec_lo, s8
	s_cbranch_execz .LBB23_808
; %bb.803:
	s_mov_b32 s9, exec_lo
                                        ; implicit-def: $vgpr3
	v_cmpx_lt_u32_e32 0x387fffff, v4
	s_xor_b32 s9, exec_lo, s9
; %bb.804:
	v_bfe_u32 v3, v28, 21, 1
	v_add3_u32 v3, v28, v3, 0x80fffff
	v_lshrrev_b32_e32 v3, 21, v3
; %bb.805:
	s_andn2_saveexec_b32 s9, s9
; %bb.806:
	v_add_f32_e64 v3, 0x43000000, |v28|
; %bb.807:
	s_or_b32 exec_lo, exec_lo, s9
                                        ; implicit-def: $vgpr4
.LBB23_808:
	s_andn2_saveexec_b32 s8, s8
; %bb.809:
	v_mov_b32_e32 v3, 0x7f
	v_cmp_lt_u32_e32 vcc_lo, 0x7f800000, v4
	v_cndmask_b32_e32 v3, 0x7c, v3, vcc_lo
; %bb.810:
	s_or_b32 exec_lo, exec_lo, s8
	v_lshrrev_b32_e32 v4, 24, v28
	v_and_or_b32 v3, 0x80, v4, v3
	global_store_byte v[1:2], v3, off
.LBB23_811:
	s_mov_b32 s8, 0
	s_mov_b32 s9, -1
.LBB23_812:
	s_andn2_b32 vcc_lo, exec_lo, s8
	s_mov_b32 s8, 0
	s_cbranch_vccnz .LBB23_819
; %bb.813:
	s_cmp_gt_i32 s7, 14
	s_mov_b32 s8, -1
	s_cbranch_scc0 .LBB23_817
; %bb.814:
	s_cmp_eq_u32 s7, 15
	s_mov_b32 s4, -1
	s_cbranch_scc0 .LBB23_816
; %bb.815:
	v_bfe_u32 v3, v28, 16, 1
	v_cmp_o_f32_e32 vcc_lo, v28, v28
	v_mov_b32_e32 v4, 0x7fc0
	s_mov_b32 s4, 0
	s_mov_b32 s9, -1
	v_add3_u32 v3, v28, v3, 0x7fff
	v_cndmask_b32_sdwa v3, v4, v3, vcc_lo dst_sel:DWORD dst_unused:UNUSED_PAD src0_sel:DWORD src1_sel:WORD_1
	global_store_short v[1:2], v3, off
.LBB23_816:
	s_mov_b32 s8, 0
.LBB23_817:
	s_and_b32 vcc_lo, exec_lo, s8
	s_mov_b32 s8, 0
	s_cbranch_vccz .LBB23_819
; %bb.818:
	s_cmp_lg_u32 s7, 11
	s_mov_b32 s8, -1
	s_cselect_b32 s4, -1, 0
.LBB23_819:
	s_and_b32 vcc_lo, exec_lo, s4
	s_cbranch_vccnz .LBB23_1110
; %bb.820:
	s_andn2_b32 vcc_lo, exec_lo, s8
	s_cbranch_vccnz .LBB23_822
.LBB23_821:
	v_cmp_neq_f32_e32 vcc_lo, 0, v28
	s_mov_b32 s9, -1
	v_cndmask_b32_e64 v3, 0, 1, vcc_lo
	global_store_byte v[1:2], v3, off
.LBB23_822:
.LBB23_823:
	s_andn2_b32 vcc_lo, exec_lo, s9
	s_cbranch_vccz .LBB23_863
	s_branch .LBB23_1057
.LBB23_824:
	s_mov_b32 s9, 0
	s_cbranch_execz .LBB23_823
; %bb.825:
	s_and_b32 s4, 0xffff, s5
	s_mov_b32 s7, -1
	s_cmp_lt_i32 s4, 5
	s_cbranch_scc1 .LBB23_846
; %bb.826:
	s_cmp_lt_i32 s4, 8
	s_cbranch_scc1 .LBB23_836
; %bb.827:
	s_cmp_lt_i32 s4, 9
	s_cbranch_scc1 .LBB23_833
; %bb.828:
	s_cmp_gt_i32 s4, 9
	s_cbranch_scc0 .LBB23_830
; %bb.829:
	v_cvt_f64_f32_e32 v[3:4], v28
	v_mov_b32_e32 v5, 0
	s_mov_b32 s7, 0
	v_mov_b32_e32 v6, v5
	global_store_dwordx4 v[1:2], v[3:6], off
.LBB23_830:
	s_andn2_b32 vcc_lo, exec_lo, s7
	s_cbranch_vccnz .LBB23_832
; %bb.831:
	v_mov_b32_e32 v29, 0
	global_store_dwordx2 v[1:2], v[28:29], off
.LBB23_832:
	s_mov_b32 s7, 0
.LBB23_833:
	s_andn2_b32 vcc_lo, exec_lo, s7
	s_cbranch_vccnz .LBB23_835
; %bb.834:
	v_cvt_f16_f32_e32 v3, v28
	v_and_b32_e32 v3, 0xffff, v3
	global_store_dword v[1:2], v3, off
.LBB23_835:
	s_mov_b32 s7, 0
.LBB23_836:
	s_andn2_b32 vcc_lo, exec_lo, s7
	s_cbranch_vccnz .LBB23_845
; %bb.837:
	s_cmp_lt_i32 s4, 6
	s_mov_b32 s7, -1
	s_cbranch_scc1 .LBB23_843
; %bb.838:
	s_cmp_gt_i32 s4, 6
	s_cbranch_scc0 .LBB23_840
; %bb.839:
	v_cvt_f64_f32_e32 v[3:4], v28
	s_mov_b32 s7, 0
	global_store_dwordx2 v[1:2], v[3:4], off
.LBB23_840:
	s_andn2_b32 vcc_lo, exec_lo, s7
	s_cbranch_vccnz .LBB23_842
; %bb.841:
	global_store_dword v[1:2], v28, off
.LBB23_842:
	s_mov_b32 s7, 0
.LBB23_843:
	s_andn2_b32 vcc_lo, exec_lo, s7
	s_cbranch_vccnz .LBB23_845
; %bb.844:
	v_cvt_f16_f32_e32 v3, v28
	global_store_short v[1:2], v3, off
.LBB23_845:
	s_mov_b32 s7, 0
.LBB23_846:
	s_andn2_b32 vcc_lo, exec_lo, s7
	s_cbranch_vccnz .LBB23_862
; %bb.847:
	s_cmp_lt_i32 s4, 2
	s_mov_b32 s7, -1
	s_cbranch_scc1 .LBB23_857
; %bb.848:
	s_cmp_lt_i32 s4, 3
	s_cbranch_scc1 .LBB23_854
; %bb.849:
	s_cmp_gt_i32 s4, 3
	s_cbranch_scc0 .LBB23_851
; %bb.850:
	v_trunc_f32_e32 v3, v28
	s_mov_b32 s7, 0
	v_mul_f32_e64 v4, 0x2f800000, |v3|
	v_ashrrev_i32_e32 v6, 31, v3
	v_floor_f32_e32 v4, v4
	v_fma_f32 v5, 0xcf800000, v4, |v3|
	v_cvt_u32_f32_e32 v4, v4
	v_cvt_u32_f32_e32 v3, v5
	v_xor_b32_e32 v4, v4, v6
	v_xor_b32_e32 v3, v3, v6
	v_sub_co_u32 v3, vcc_lo, v3, v6
	v_sub_co_ci_u32_e64 v4, null, v4, v6, vcc_lo
	global_store_dwordx2 v[1:2], v[3:4], off
.LBB23_851:
	s_andn2_b32 vcc_lo, exec_lo, s7
	s_cbranch_vccnz .LBB23_853
; %bb.852:
	v_cvt_i32_f32_e32 v3, v28
	global_store_dword v[1:2], v3, off
.LBB23_853:
	s_mov_b32 s7, 0
.LBB23_854:
	s_andn2_b32 vcc_lo, exec_lo, s7
	s_cbranch_vccnz .LBB23_856
; %bb.855:
	v_cvt_i32_f32_e32 v3, v28
	global_store_short v[1:2], v3, off
.LBB23_856:
	s_mov_b32 s7, 0
.LBB23_857:
	s_andn2_b32 vcc_lo, exec_lo, s7
	s_cbranch_vccnz .LBB23_862
; %bb.858:
	s_cmp_gt_i32 s4, 0
	s_mov_b32 s4, -1
	s_cbranch_scc0 .LBB23_860
; %bb.859:
	v_cvt_i32_f32_e32 v3, v28
	s_mov_b32 s4, 0
	global_store_byte v[1:2], v3, off
.LBB23_860:
	s_andn2_b32 vcc_lo, exec_lo, s4
	s_cbranch_vccnz .LBB23_862
; %bb.861:
	v_trunc_f32_e32 v3, v28
	v_mul_f32_e64 v4, 0x2f800000, |v3|
	v_floor_f32_e32 v4, v4
	v_fma_f32 v4, 0xcf800000, v4, |v3|
	v_ashrrev_i32_e32 v3, 31, v3
	v_cvt_u32_f32_e32 v4, v4
	v_xor_b32_e32 v4, v4, v3
	v_sub_nc_u32_e32 v3, v4, v3
	global_store_byte v[1:2], v3, off
.LBB23_862:
.LBB23_863:
	v_add_co_u32 v1, s4, s16, v35
	v_add_co_ci_u32_e64 v2, null, s17, 0, s4
	s_cmp_lt_i32 s5, 11
	s_cbranch_scc1 .LBB23_1018
; %bb.864:
	s_and_b32 s7, 0xffff, s5
	s_mov_b32 s10, -1
	s_mov_b32 s8, 0
	s_cmp_gt_i32 s7, 25
	s_mov_b32 s9, 0
	s_mov_b32 s4, 0
	s_cbranch_scc0 .LBB23_897
; %bb.865:
	s_cmp_gt_i32 s7, 28
	s_cbranch_scc0 .LBB23_880
; %bb.866:
	s_cmp_gt_i32 s7, 43
	;; [unrolled: 3-line block ×3, first 2 shown]
	s_cbranch_scc0 .LBB23_870
; %bb.868:
	s_mov_b32 s4, -1
	s_mov_b32 s10, 0
	s_cmp_eq_u32 s7, 46
	s_cbranch_scc0 .LBB23_870
; %bb.869:
	v_bfe_u32 v3, v27, 16, 1
	v_cmp_o_f32_e32 vcc_lo, v27, v27
	v_mov_b32_e32 v4, 0x7fc0
	s_mov_b32 s4, 0
	s_mov_b32 s9, -1
	v_add3_u32 v3, v27, v3, 0x7fff
	v_cndmask_b32_sdwa v3, v4, v3, vcc_lo dst_sel:DWORD dst_unused:UNUSED_PAD src0_sel:DWORD src1_sel:WORD_1
	global_store_dword v[1:2], v3, off
.LBB23_870:
	s_and_b32 vcc_lo, exec_lo, s10
	s_cbranch_vccz .LBB23_875
; %bb.871:
	s_cmp_eq_u32 s7, 44
	s_mov_b32 s4, -1
	s_cbranch_scc0 .LBB23_875
; %bb.872:
	v_bfe_u32 v4, v27, 23, 8
	v_mov_b32_e32 v3, 0xff
	s_mov_b32 s9, exec_lo
	v_cmpx_ne_u32_e32 0xff, v4
	s_cbranch_execz .LBB23_874
; %bb.873:
	v_and_b32_e32 v3, 0x400000, v27
	v_and_or_b32 v4, 0x3fffff, v27, v4
	v_cmp_ne_u32_e32 vcc_lo, 0, v3
	v_cmp_ne_u32_e64 s4, 0, v4
	v_lshrrev_b32_e32 v3, 23, v27
	s_and_b32 s4, vcc_lo, s4
	v_cndmask_b32_e64 v4, 0, 1, s4
	v_add_nc_u32_e32 v3, v3, v4
.LBB23_874:
	s_or_b32 exec_lo, exec_lo, s9
	s_mov_b32 s4, 0
	s_mov_b32 s9, -1
	global_store_byte v[1:2], v3, off
.LBB23_875:
	s_mov_b32 s10, 0
.LBB23_876:
	s_and_b32 vcc_lo, exec_lo, s10
	s_cbranch_vccz .LBB23_879
; %bb.877:
	s_cmp_eq_u32 s7, 29
	s_mov_b32 s4, -1
	s_cbranch_scc0 .LBB23_879
; %bb.878:
	v_trunc_f32_e32 v3, v27
	s_mov_b32 s4, 0
	s_mov_b32 s9, -1
	v_mul_f32_e32 v4, 0x2f800000, v3
	v_floor_f32_e32 v4, v4
	v_fmamk_f32 v3, v4, 0xcf800000, v3
	v_cvt_u32_f32_e32 v4, v4
	v_cvt_u32_f32_e32 v3, v3
	global_store_dwordx2 v[1:2], v[3:4], off
.LBB23_879:
	s_mov_b32 s10, 0
.LBB23_880:
	s_and_b32 vcc_lo, exec_lo, s10
	s_cbranch_vccz .LBB23_896
; %bb.881:
	s_cmp_lt_i32 s7, 27
	s_mov_b32 s9, -1
	s_cbranch_scc1 .LBB23_887
; %bb.882:
	v_cvt_u32_f32_e32 v3, v27
	s_cmp_gt_i32 s7, 27
	s_cbranch_scc0 .LBB23_884
; %bb.883:
	s_mov_b32 s9, 0
	global_store_dword v[1:2], v3, off
.LBB23_884:
	s_andn2_b32 vcc_lo, exec_lo, s9
	s_cbranch_vccnz .LBB23_886
; %bb.885:
	global_store_short v[1:2], v3, off
.LBB23_886:
	s_mov_b32 s9, 0
.LBB23_887:
	s_andn2_b32 vcc_lo, exec_lo, s9
	s_cbranch_vccnz .LBB23_895
; %bb.888:
	v_and_b32_e32 v3, 0x7fffffff, v27
	v_mov_b32_e32 v4, 0x80
	s_mov_b32 s9, exec_lo
	v_cmpx_gt_u32_e32 0x43800000, v3
	s_cbranch_execz .LBB23_894
; %bb.889:
	v_cmp_lt_u32_e32 vcc_lo, 0x3bffffff, v3
	s_mov_b32 s10, 0
                                        ; implicit-def: $vgpr3
	s_and_saveexec_b32 s11, vcc_lo
	s_xor_b32 s11, exec_lo, s11
	s_cbranch_execz .LBB23_1113
; %bb.890:
	v_bfe_u32 v3, v27, 20, 1
	s_mov_b32 s10, exec_lo
	v_add3_u32 v3, v27, v3, 0x487ffff
	v_lshrrev_b32_e32 v3, 20, v3
	s_andn2_saveexec_b32 s11, s11
	s_cbranch_execnz .LBB23_1114
.LBB23_891:
	s_or_b32 exec_lo, exec_lo, s11
	v_mov_b32_e32 v4, 0
	s_and_saveexec_b32 s11, s10
.LBB23_892:
	v_lshrrev_b32_e32 v4, 24, v27
	v_and_or_b32 v4, 0x80, v4, v3
.LBB23_893:
	s_or_b32 exec_lo, exec_lo, s11
.LBB23_894:
	s_or_b32 exec_lo, exec_lo, s9
	global_store_byte v[1:2], v4, off
.LBB23_895:
	s_mov_b32 s9, -1
.LBB23_896:
	s_mov_b32 s10, 0
.LBB23_897:
	s_and_b32 vcc_lo, exec_lo, s10
	s_cbranch_vccz .LBB23_937
; %bb.898:
	s_cmp_gt_i32 s7, 22
	s_mov_b32 s8, -1
	s_cbranch_scc0 .LBB23_930
; %bb.899:
	s_cmp_lt_i32 s7, 24
	s_cbranch_scc1 .LBB23_919
; %bb.900:
	s_cmp_gt_i32 s7, 24
	s_cbranch_scc0 .LBB23_908
; %bb.901:
	v_and_b32_e32 v3, 0x7fffffff, v27
	v_mov_b32_e32 v4, 0x80
	s_mov_b32 s8, exec_lo
	v_cmpx_gt_u32_e32 0x47800000, v3
	s_cbranch_execz .LBB23_907
; %bb.902:
	v_cmp_lt_u32_e32 vcc_lo, 0x37ffffff, v3
	s_mov_b32 s9, 0
                                        ; implicit-def: $vgpr3
	s_and_saveexec_b32 s10, vcc_lo
	s_xor_b32 s10, exec_lo, s10
	s_cbranch_execz .LBB23_1116
; %bb.903:
	v_bfe_u32 v3, v27, 21, 1
	s_mov_b32 s9, exec_lo
	v_add3_u32 v3, v27, v3, 0x88fffff
	v_lshrrev_b32_e32 v3, 21, v3
	s_andn2_saveexec_b32 s10, s10
	s_cbranch_execnz .LBB23_1117
.LBB23_904:
	s_or_b32 exec_lo, exec_lo, s10
	v_mov_b32_e32 v4, 0
	s_and_saveexec_b32 s10, s9
.LBB23_905:
	v_lshrrev_b32_e32 v4, 24, v27
	v_and_or_b32 v4, 0x80, v4, v3
.LBB23_906:
	s_or_b32 exec_lo, exec_lo, s10
.LBB23_907:
	s_or_b32 exec_lo, exec_lo, s8
	s_mov_b32 s8, 0
	global_store_byte v[1:2], v4, off
.LBB23_908:
	s_and_b32 vcc_lo, exec_lo, s8
	s_cbranch_vccz .LBB23_918
; %bb.909:
	v_and_b32_e32 v4, 0x7fffffff, v27
	s_mov_b32 s8, exec_lo
                                        ; implicit-def: $vgpr3
	v_cmpx_gt_u32_e32 0x43f00000, v4
	s_xor_b32 s8, exec_lo, s8
	s_cbranch_execz .LBB23_915
; %bb.910:
	s_mov_b32 s9, exec_lo
                                        ; implicit-def: $vgpr3
	v_cmpx_lt_u32_e32 0x3c7fffff, v4
	s_xor_b32 s9, exec_lo, s9
; %bb.911:
	v_bfe_u32 v3, v27, 20, 1
	v_add3_u32 v3, v27, v3, 0x407ffff
	v_and_b32_e32 v4, 0xff00000, v3
	v_lshrrev_b32_e32 v3, 20, v3
	v_cmp_ne_u32_e32 vcc_lo, 0x7f00000, v4
	v_cndmask_b32_e32 v3, 0x7e, v3, vcc_lo
; %bb.912:
	s_andn2_saveexec_b32 s9, s9
; %bb.913:
	v_add_f32_e64 v3, 0x46800000, |v27|
; %bb.914:
	s_or_b32 exec_lo, exec_lo, s9
                                        ; implicit-def: $vgpr4
.LBB23_915:
	s_andn2_saveexec_b32 s8, s8
; %bb.916:
	v_mov_b32_e32 v3, 0x7f
	v_cmp_lt_u32_e32 vcc_lo, 0x7f800000, v4
	v_cndmask_b32_e32 v3, 0x7e, v3, vcc_lo
; %bb.917:
	s_or_b32 exec_lo, exec_lo, s8
	v_lshrrev_b32_e32 v4, 24, v27
	v_and_or_b32 v3, 0x80, v4, v3
	global_store_byte v[1:2], v3, off
.LBB23_918:
	s_mov_b32 s8, 0
.LBB23_919:
	s_andn2_b32 vcc_lo, exec_lo, s8
	s_cbranch_vccnz .LBB23_929
; %bb.920:
	v_and_b32_e32 v4, 0x7fffffff, v27
	s_mov_b32 s8, exec_lo
                                        ; implicit-def: $vgpr3
	v_cmpx_gt_u32_e32 0x47800000, v4
	s_xor_b32 s8, exec_lo, s8
	s_cbranch_execz .LBB23_926
; %bb.921:
	s_mov_b32 s9, exec_lo
                                        ; implicit-def: $vgpr3
	v_cmpx_lt_u32_e32 0x387fffff, v4
	s_xor_b32 s9, exec_lo, s9
; %bb.922:
	v_bfe_u32 v3, v27, 21, 1
	v_add3_u32 v3, v27, v3, 0x80fffff
	v_lshrrev_b32_e32 v3, 21, v3
; %bb.923:
	s_andn2_saveexec_b32 s9, s9
; %bb.924:
	v_add_f32_e64 v3, 0x43000000, |v27|
; %bb.925:
	s_or_b32 exec_lo, exec_lo, s9
                                        ; implicit-def: $vgpr4
.LBB23_926:
	s_andn2_saveexec_b32 s8, s8
; %bb.927:
	v_mov_b32_e32 v3, 0x7f
	v_cmp_lt_u32_e32 vcc_lo, 0x7f800000, v4
	v_cndmask_b32_e32 v3, 0x7c, v3, vcc_lo
; %bb.928:
	s_or_b32 exec_lo, exec_lo, s8
	v_lshrrev_b32_e32 v4, 24, v27
	v_and_or_b32 v3, 0x80, v4, v3
	global_store_byte v[1:2], v3, off
.LBB23_929:
	s_mov_b32 s8, 0
	s_mov_b32 s9, -1
.LBB23_930:
	s_andn2_b32 vcc_lo, exec_lo, s8
	s_mov_b32 s8, 0
	s_cbranch_vccnz .LBB23_937
; %bb.931:
	s_cmp_gt_i32 s7, 14
	s_mov_b32 s8, -1
	s_cbranch_scc0 .LBB23_935
; %bb.932:
	s_cmp_eq_u32 s7, 15
	s_mov_b32 s4, -1
	s_cbranch_scc0 .LBB23_934
; %bb.933:
	v_bfe_u32 v3, v27, 16, 1
	v_cmp_o_f32_e32 vcc_lo, v27, v27
	v_mov_b32_e32 v4, 0x7fc0
	s_mov_b32 s4, 0
	s_mov_b32 s9, -1
	v_add3_u32 v3, v27, v3, 0x7fff
	v_cndmask_b32_sdwa v3, v4, v3, vcc_lo dst_sel:DWORD dst_unused:UNUSED_PAD src0_sel:DWORD src1_sel:WORD_1
	global_store_short v[1:2], v3, off
.LBB23_934:
	s_mov_b32 s8, 0
.LBB23_935:
	s_and_b32 vcc_lo, exec_lo, s8
	s_mov_b32 s8, 0
	s_cbranch_vccz .LBB23_937
; %bb.936:
	s_cmp_lg_u32 s7, 11
	s_mov_b32 s8, -1
	s_cselect_b32 s4, -1, 0
.LBB23_937:
	s_and_b32 vcc_lo, exec_lo, s4
	s_cbranch_vccnz .LBB23_1115
; %bb.938:
	s_andn2_b32 vcc_lo, exec_lo, s8
	s_cbranch_vccnz .LBB23_940
.LBB23_939:
	v_cmp_neq_f32_e32 vcc_lo, 0, v27
	s_mov_b32 s9, -1
	v_cndmask_b32_e64 v3, 0, 1, vcc_lo
	global_store_byte v[1:2], v3, off
.LBB23_940:
.LBB23_941:
	s_andn2_b32 vcc_lo, exec_lo, s9
	s_cbranch_vccnz .LBB23_1057
.LBB23_942:
	v_add_co_u32 v2, s4, s16, v33
	v_add_co_ci_u32_e64 v3, null, s17, 0, s4
	s_cmp_lt_i32 s5, 11
	s_cbranch_scc1 .LBB23_1102
; %bb.943:
	s_and_b32 s7, 0xffff, s5
	s_mov_b32 s9, -1
	s_mov_b32 s8, 0
	s_cmp_gt_i32 s7, 25
	s_mov_b32 s4, 0
	s_cbranch_scc0 .LBB23_976
; %bb.944:
	s_cmp_gt_i32 s7, 28
	s_cbranch_scc0 .LBB23_960
; %bb.945:
	s_cmp_gt_i32 s7, 43
	;; [unrolled: 3-line block ×3, first 2 shown]
	s_cbranch_scc0 .LBB23_950
; %bb.947:
	s_cmp_eq_u32 s7, 46
	s_mov_b32 s4, -1
	s_cbranch_scc0 .LBB23_949
; %bb.948:
	v_bfe_u32 v1, v0, 16, 1
	v_cmp_o_f32_e32 vcc_lo, v0, v0
	v_mov_b32_e32 v4, 0x7fc0
	s_mov_b32 s4, 0
	v_add3_u32 v1, v0, v1, 0x7fff
	v_cndmask_b32_sdwa v1, v4, v1, vcc_lo dst_sel:DWORD dst_unused:UNUSED_PAD src0_sel:DWORD src1_sel:WORD_1
	global_store_dword v[2:3], v1, off
.LBB23_949:
	s_mov_b32 s9, 0
.LBB23_950:
	s_and_b32 vcc_lo, exec_lo, s9
	s_cbranch_vccz .LBB23_955
; %bb.951:
	s_cmp_eq_u32 s7, 44
	s_mov_b32 s4, -1
	s_cbranch_scc0 .LBB23_955
; %bb.952:
	v_bfe_u32 v4, v0, 23, 8
	v_mov_b32_e32 v1, 0xff
	s_mov_b32 s9, exec_lo
	v_cmpx_ne_u32_e32 0xff, v4
	s_cbranch_execz .LBB23_954
; %bb.953:
	v_and_b32_e32 v1, 0x400000, v0
	v_and_or_b32 v4, 0x3fffff, v0, v4
	v_cmp_ne_u32_e32 vcc_lo, 0, v1
	v_cmp_ne_u32_e64 s4, 0, v4
	v_lshrrev_b32_e32 v1, 23, v0
	s_and_b32 s4, vcc_lo, s4
	v_cndmask_b32_e64 v4, 0, 1, s4
	v_add_nc_u32_e32 v1, v1, v4
.LBB23_954:
	s_or_b32 exec_lo, exec_lo, s9
	s_mov_b32 s4, 0
	global_store_byte v[2:3], v1, off
.LBB23_955:
	s_mov_b32 s9, 0
.LBB23_956:
	s_and_b32 vcc_lo, exec_lo, s9
	s_cbranch_vccz .LBB23_959
; %bb.957:
	s_cmp_eq_u32 s7, 29
	s_mov_b32 s4, -1
	s_cbranch_scc0 .LBB23_959
; %bb.958:
	v_trunc_f32_e32 v1, v0
	s_mov_b32 s4, 0
	v_mul_f32_e32 v4, 0x2f800000, v1
	v_floor_f32_e32 v4, v4
	v_fmamk_f32 v1, v4, 0xcf800000, v1
	v_cvt_u32_f32_e32 v5, v4
	v_cvt_u32_f32_e32 v4, v1
	global_store_dwordx2 v[2:3], v[4:5], off
.LBB23_959:
	s_mov_b32 s9, 0
.LBB23_960:
	s_and_b32 vcc_lo, exec_lo, s9
	s_cbranch_vccz .LBB23_975
; %bb.961:
	s_cmp_lt_i32 s7, 27
	s_mov_b32 s9, -1
	s_cbranch_scc1 .LBB23_967
; %bb.962:
	v_cvt_u32_f32_e32 v1, v0
	s_cmp_gt_i32 s7, 27
	s_cbranch_scc0 .LBB23_964
; %bb.963:
	s_mov_b32 s9, 0
	global_store_dword v[2:3], v1, off
.LBB23_964:
	s_andn2_b32 vcc_lo, exec_lo, s9
	s_cbranch_vccnz .LBB23_966
; %bb.965:
	global_store_short v[2:3], v1, off
.LBB23_966:
	s_mov_b32 s9, 0
.LBB23_967:
	s_andn2_b32 vcc_lo, exec_lo, s9
	s_cbranch_vccnz .LBB23_975
; %bb.968:
	v_and_b32_e32 v1, 0x7fffffff, v0
	v_mov_b32_e32 v4, 0x80
	s_mov_b32 s9, exec_lo
	v_cmpx_gt_u32_e32 0x43800000, v1
	s_cbranch_execz .LBB23_974
; %bb.969:
	v_cmp_lt_u32_e32 vcc_lo, 0x3bffffff, v1
	s_mov_b32 s10, 0
                                        ; implicit-def: $vgpr1
	s_and_saveexec_b32 s11, vcc_lo
	s_xor_b32 s11, exec_lo, s11
	s_cbranch_execz .LBB23_1118
; %bb.970:
	v_bfe_u32 v1, v0, 20, 1
	s_mov_b32 s10, exec_lo
	v_add3_u32 v1, v0, v1, 0x487ffff
	v_lshrrev_b32_e32 v1, 20, v1
	s_andn2_saveexec_b32 s11, s11
	s_cbranch_execnz .LBB23_1119
.LBB23_971:
	s_or_b32 exec_lo, exec_lo, s11
	v_mov_b32_e32 v4, 0
	s_and_saveexec_b32 s11, s10
.LBB23_972:
	v_lshrrev_b32_e32 v4, 24, v0
	v_and_or_b32 v4, 0x80, v4, v1
.LBB23_973:
	s_or_b32 exec_lo, exec_lo, s11
.LBB23_974:
	s_or_b32 exec_lo, exec_lo, s9
	global_store_byte v[2:3], v4, off
.LBB23_975:
	s_mov_b32 s9, 0
.LBB23_976:
	s_and_b32 vcc_lo, exec_lo, s9
	s_cbranch_vccz .LBB23_1016
; %bb.977:
	s_cmp_gt_i32 s7, 22
	s_mov_b32 s8, -1
	s_cbranch_scc0 .LBB23_1009
; %bb.978:
	s_cmp_lt_i32 s7, 24
	s_cbranch_scc1 .LBB23_998
; %bb.979:
	s_cmp_gt_i32 s7, 24
	s_cbranch_scc0 .LBB23_987
; %bb.980:
	v_and_b32_e32 v1, 0x7fffffff, v0
	v_mov_b32_e32 v4, 0x80
	s_mov_b32 s8, exec_lo
	v_cmpx_gt_u32_e32 0x47800000, v1
	s_cbranch_execz .LBB23_986
; %bb.981:
	v_cmp_lt_u32_e32 vcc_lo, 0x37ffffff, v1
	s_mov_b32 s9, 0
                                        ; implicit-def: $vgpr1
	s_and_saveexec_b32 s10, vcc_lo
	s_xor_b32 s10, exec_lo, s10
	s_cbranch_execz .LBB23_1123
; %bb.982:
	v_bfe_u32 v1, v0, 21, 1
	s_mov_b32 s9, exec_lo
	v_add3_u32 v1, v0, v1, 0x88fffff
	v_lshrrev_b32_e32 v1, 21, v1
	s_andn2_saveexec_b32 s10, s10
	s_cbranch_execnz .LBB23_1124
.LBB23_983:
	s_or_b32 exec_lo, exec_lo, s10
	v_mov_b32_e32 v4, 0
	s_and_saveexec_b32 s10, s9
.LBB23_984:
	v_lshrrev_b32_e32 v4, 24, v0
	v_and_or_b32 v4, 0x80, v4, v1
.LBB23_985:
	s_or_b32 exec_lo, exec_lo, s10
.LBB23_986:
	s_or_b32 exec_lo, exec_lo, s8
	s_mov_b32 s8, 0
	global_store_byte v[2:3], v4, off
.LBB23_987:
	s_and_b32 vcc_lo, exec_lo, s8
	s_cbranch_vccz .LBB23_997
; %bb.988:
	v_and_b32_e32 v4, 0x7fffffff, v0
	s_mov_b32 s8, exec_lo
                                        ; implicit-def: $vgpr1
	v_cmpx_gt_u32_e32 0x43f00000, v4
	s_xor_b32 s8, exec_lo, s8
	s_cbranch_execz .LBB23_994
; %bb.989:
	s_mov_b32 s9, exec_lo
                                        ; implicit-def: $vgpr1
	v_cmpx_lt_u32_e32 0x3c7fffff, v4
	s_xor_b32 s9, exec_lo, s9
; %bb.990:
	v_bfe_u32 v1, v0, 20, 1
	v_add3_u32 v1, v0, v1, 0x407ffff
	v_and_b32_e32 v4, 0xff00000, v1
	v_lshrrev_b32_e32 v1, 20, v1
	v_cmp_ne_u32_e32 vcc_lo, 0x7f00000, v4
	v_cndmask_b32_e32 v1, 0x7e, v1, vcc_lo
; %bb.991:
	s_andn2_saveexec_b32 s9, s9
; %bb.992:
	v_add_f32_e64 v1, 0x46800000, |v0|
; %bb.993:
	s_or_b32 exec_lo, exec_lo, s9
                                        ; implicit-def: $vgpr4
.LBB23_994:
	s_andn2_saveexec_b32 s8, s8
; %bb.995:
	v_mov_b32_e32 v1, 0x7f
	v_cmp_lt_u32_e32 vcc_lo, 0x7f800000, v4
	v_cndmask_b32_e32 v1, 0x7e, v1, vcc_lo
; %bb.996:
	s_or_b32 exec_lo, exec_lo, s8
	v_lshrrev_b32_e32 v4, 24, v0
	v_and_or_b32 v1, 0x80, v4, v1
	global_store_byte v[2:3], v1, off
.LBB23_997:
	s_mov_b32 s8, 0
.LBB23_998:
	s_andn2_b32 vcc_lo, exec_lo, s8
	s_cbranch_vccnz .LBB23_1008
; %bb.999:
	v_and_b32_e32 v4, 0x7fffffff, v0
	s_mov_b32 s8, exec_lo
                                        ; implicit-def: $vgpr1
	v_cmpx_gt_u32_e32 0x47800000, v4
	s_xor_b32 s8, exec_lo, s8
	s_cbranch_execz .LBB23_1005
; %bb.1000:
	s_mov_b32 s9, exec_lo
                                        ; implicit-def: $vgpr1
	v_cmpx_lt_u32_e32 0x387fffff, v4
	s_xor_b32 s9, exec_lo, s9
; %bb.1001:
	v_bfe_u32 v1, v0, 21, 1
	v_add3_u32 v1, v0, v1, 0x80fffff
	v_lshrrev_b32_e32 v1, 21, v1
; %bb.1002:
	s_andn2_saveexec_b32 s9, s9
; %bb.1003:
	v_add_f32_e64 v1, 0x43000000, |v0|
; %bb.1004:
	s_or_b32 exec_lo, exec_lo, s9
                                        ; implicit-def: $vgpr4
.LBB23_1005:
	s_andn2_saveexec_b32 s8, s8
; %bb.1006:
	v_mov_b32_e32 v1, 0x7f
	v_cmp_lt_u32_e32 vcc_lo, 0x7f800000, v4
	v_cndmask_b32_e32 v1, 0x7c, v1, vcc_lo
; %bb.1007:
	s_or_b32 exec_lo, exec_lo, s8
	v_lshrrev_b32_e32 v4, 24, v0
	v_and_or_b32 v1, 0x80, v4, v1
	global_store_byte v[2:3], v1, off
.LBB23_1008:
	s_mov_b32 s8, 0
.LBB23_1009:
	s_andn2_b32 vcc_lo, exec_lo, s8
	s_mov_b32 s8, 0
	s_cbranch_vccnz .LBB23_1016
; %bb.1010:
	s_cmp_gt_i32 s7, 14
	s_mov_b32 s8, -1
	s_cbranch_scc0 .LBB23_1014
; %bb.1011:
	s_cmp_eq_u32 s7, 15
	s_mov_b32 s4, -1
	s_cbranch_scc0 .LBB23_1013
; %bb.1012:
	v_bfe_u32 v1, v0, 16, 1
	v_cmp_o_f32_e32 vcc_lo, v0, v0
	v_mov_b32_e32 v4, 0x7fc0
	s_mov_b32 s4, 0
	v_add3_u32 v1, v0, v1, 0x7fff
	v_cndmask_b32_sdwa v1, v4, v1, vcc_lo dst_sel:DWORD dst_unused:UNUSED_PAD src0_sel:DWORD src1_sel:WORD_1
	global_store_short v[2:3], v1, off
.LBB23_1013:
	s_mov_b32 s8, 0
.LBB23_1014:
	s_and_b32 vcc_lo, exec_lo, s8
	s_mov_b32 s8, 0
	s_cbranch_vccz .LBB23_1016
; %bb.1015:
	s_cmp_lg_u32 s7, 11
	s_mov_b32 s8, -1
	s_cselect_b32 s4, -1, 0
.LBB23_1016:
	s_and_b32 vcc_lo, exec_lo, s4
	s_cbranch_vccnz .LBB23_1120
.LBB23_1017:
	s_mov_b32 s4, 0
	s_branch .LBB23_1058
.LBB23_1018:
	s_mov_b32 s9, 0
	s_cbranch_execz .LBB23_941
; %bb.1019:
	s_and_b32 s4, 0xffff, s5
	s_mov_b32 s7, -1
	s_cmp_lt_i32 s4, 5
	s_cbranch_scc1 .LBB23_1040
; %bb.1020:
	s_cmp_lt_i32 s4, 8
	s_cbranch_scc1 .LBB23_1030
; %bb.1021:
	;; [unrolled: 3-line block ×3, first 2 shown]
	s_cmp_gt_i32 s4, 9
	s_cbranch_scc0 .LBB23_1024
; %bb.1023:
	v_cvt_f64_f32_e32 v[3:4], v27
	v_mov_b32_e32 v5, 0
	s_mov_b32 s7, 0
	v_mov_b32_e32 v6, v5
	global_store_dwordx4 v[1:2], v[3:6], off
.LBB23_1024:
	s_andn2_b32 vcc_lo, exec_lo, s7
	s_cbranch_vccnz .LBB23_1026
; %bb.1025:
	v_mov_b32_e32 v28, 0
	global_store_dwordx2 v[1:2], v[27:28], off
.LBB23_1026:
	s_mov_b32 s7, 0
.LBB23_1027:
	s_andn2_b32 vcc_lo, exec_lo, s7
	s_cbranch_vccnz .LBB23_1029
; %bb.1028:
	v_cvt_f16_f32_e32 v3, v27
	v_and_b32_e32 v3, 0xffff, v3
	global_store_dword v[1:2], v3, off
.LBB23_1029:
	s_mov_b32 s7, 0
.LBB23_1030:
	s_andn2_b32 vcc_lo, exec_lo, s7
	s_cbranch_vccnz .LBB23_1039
; %bb.1031:
	s_cmp_lt_i32 s4, 6
	s_mov_b32 s7, -1
	s_cbranch_scc1 .LBB23_1037
; %bb.1032:
	s_cmp_gt_i32 s4, 6
	s_cbranch_scc0 .LBB23_1034
; %bb.1033:
	v_cvt_f64_f32_e32 v[3:4], v27
	s_mov_b32 s7, 0
	global_store_dwordx2 v[1:2], v[3:4], off
.LBB23_1034:
	s_andn2_b32 vcc_lo, exec_lo, s7
	s_cbranch_vccnz .LBB23_1036
; %bb.1035:
	global_store_dword v[1:2], v27, off
.LBB23_1036:
	s_mov_b32 s7, 0
.LBB23_1037:
	s_andn2_b32 vcc_lo, exec_lo, s7
	s_cbranch_vccnz .LBB23_1039
; %bb.1038:
	v_cvt_f16_f32_e32 v3, v27
	global_store_short v[1:2], v3, off
.LBB23_1039:
	s_mov_b32 s7, 0
.LBB23_1040:
	s_andn2_b32 vcc_lo, exec_lo, s7
	s_cbranch_vccnz .LBB23_1056
; %bb.1041:
	s_cmp_lt_i32 s4, 2
	s_mov_b32 s7, -1
	s_cbranch_scc1 .LBB23_1051
; %bb.1042:
	s_cmp_lt_i32 s4, 3
	s_cbranch_scc1 .LBB23_1048
; %bb.1043:
	s_cmp_gt_i32 s4, 3
	s_cbranch_scc0 .LBB23_1045
; %bb.1044:
	v_trunc_f32_e32 v3, v27
	s_mov_b32 s7, 0
	v_mul_f32_e64 v4, 0x2f800000, |v3|
	v_ashrrev_i32_e32 v6, 31, v3
	v_floor_f32_e32 v4, v4
	v_fma_f32 v5, 0xcf800000, v4, |v3|
	v_cvt_u32_f32_e32 v4, v4
	v_cvt_u32_f32_e32 v3, v5
	v_xor_b32_e32 v4, v4, v6
	v_xor_b32_e32 v3, v3, v6
	v_sub_co_u32 v3, vcc_lo, v3, v6
	v_sub_co_ci_u32_e64 v4, null, v4, v6, vcc_lo
	global_store_dwordx2 v[1:2], v[3:4], off
.LBB23_1045:
	s_andn2_b32 vcc_lo, exec_lo, s7
	s_cbranch_vccnz .LBB23_1047
; %bb.1046:
	v_cvt_i32_f32_e32 v3, v27
	global_store_dword v[1:2], v3, off
.LBB23_1047:
	s_mov_b32 s7, 0
.LBB23_1048:
	s_andn2_b32 vcc_lo, exec_lo, s7
	s_cbranch_vccnz .LBB23_1050
; %bb.1049:
	v_cvt_i32_f32_e32 v3, v27
	global_store_short v[1:2], v3, off
.LBB23_1050:
	s_mov_b32 s7, 0
.LBB23_1051:
	s_andn2_b32 vcc_lo, exec_lo, s7
	s_cbranch_vccnz .LBB23_1056
; %bb.1052:
	s_cmp_gt_i32 s4, 0
	s_mov_b32 s4, -1
	s_cbranch_scc0 .LBB23_1054
; %bb.1053:
	v_cvt_i32_f32_e32 v3, v27
	s_mov_b32 s4, 0
	global_store_byte v[1:2], v3, off
.LBB23_1054:
	s_andn2_b32 vcc_lo, exec_lo, s4
	s_cbranch_vccnz .LBB23_1056
; %bb.1055:
	v_trunc_f32_e32 v3, v27
	v_mul_f32_e64 v4, 0x2f800000, |v3|
	v_floor_f32_e32 v4, v4
	v_fma_f32 v4, 0xcf800000, v4, |v3|
	v_ashrrev_i32_e32 v3, 31, v3
	v_cvt_u32_f32_e32 v4, v4
	v_xor_b32_e32 v4, v4, v3
	v_sub_nc_u32_e32 v3, v4, v3
	global_store_byte v[1:2], v3, off
.LBB23_1056:
	s_branch .LBB23_942
.LBB23_1057:
	s_mov_b32 s4, 0
	s_mov_b32 s8, 0
                                        ; implicit-def: $sgpr5
                                        ; implicit-def: $vgpr2_vgpr3
.LBB23_1058:
	s_andn2_b32 s7, s20, exec_lo
	s_and_b32 s6, s6, exec_lo
	s_and_b32 s4, s4, exec_lo
	;; [unrolled: 1-line block ×3, first 2 shown]
	s_or_b32 s20, s7, s6
.LBB23_1059:
	s_or_b32 exec_lo, exec_lo, s21
	s_and_saveexec_b32 s6, s20
	s_cbranch_execz .LBB23_1062
; %bb.1060:
	; divergent unreachable
	s_or_b32 exec_lo, exec_lo, s6
	s_and_saveexec_b32 s6, s41
	s_xor_b32 s6, exec_lo, s6
	s_cbranch_execnz .LBB23_1063
.LBB23_1061:
	s_or_b32 exec_lo, exec_lo, s6
	s_and_saveexec_b32 s6, s4
	s_cbranch_execnz .LBB23_1064
	s_branch .LBB23_1101
.LBB23_1062:
	s_or_b32 exec_lo, exec_lo, s6
	s_and_saveexec_b32 s6, s41
	s_xor_b32 s6, exec_lo, s6
	s_cbranch_execz .LBB23_1061
.LBB23_1063:
	v_cmp_neq_f32_e32 vcc_lo, 0, v0
	v_cndmask_b32_e64 v1, 0, 1, vcc_lo
	global_store_byte v[2:3], v1, off
	s_or_b32 exec_lo, exec_lo, s6
	s_and_saveexec_b32 s6, s4
	s_cbranch_execz .LBB23_1101
.LBB23_1064:
	s_sext_i32_i16 s6, s5
	s_mov_b32 s4, -1
	s_cmp_lt_i32 s6, 5
	s_cbranch_scc1 .LBB23_1085
; %bb.1065:
	s_cmp_lt_i32 s6, 8
	s_cbranch_scc1 .LBB23_1075
; %bb.1066:
	;; [unrolled: 3-line block ×3, first 2 shown]
	s_cmp_gt_i32 s6, 9
	s_cbranch_scc0 .LBB23_1069
; %bb.1068:
	v_cvt_f64_f32_e32 v[4:5], v0
	v_mov_b32_e32 v6, 0
	s_mov_b32 s4, 0
	v_mov_b32_e32 v7, v6
	global_store_dwordx4 v[2:3], v[4:7], off
.LBB23_1069:
	s_andn2_b32 vcc_lo, exec_lo, s4
	s_cbranch_vccnz .LBB23_1071
; %bb.1070:
	v_mov_b32_e32 v1, 0
	global_store_dwordx2 v[2:3], v[0:1], off
.LBB23_1071:
	s_mov_b32 s4, 0
.LBB23_1072:
	s_andn2_b32 vcc_lo, exec_lo, s4
	s_cbranch_vccnz .LBB23_1074
; %bb.1073:
	v_cvt_f16_f32_e32 v1, v0
	v_and_b32_e32 v1, 0xffff, v1
	global_store_dword v[2:3], v1, off
.LBB23_1074:
	s_mov_b32 s4, 0
.LBB23_1075:
	s_andn2_b32 vcc_lo, exec_lo, s4
	s_cbranch_vccnz .LBB23_1084
; %bb.1076:
	s_sext_i32_i16 s6, s5
	s_mov_b32 s4, -1
	s_cmp_lt_i32 s6, 6
	s_cbranch_scc1 .LBB23_1082
; %bb.1077:
	s_cmp_gt_i32 s6, 6
	s_cbranch_scc0 .LBB23_1079
; %bb.1078:
	v_cvt_f64_f32_e32 v[4:5], v0
	s_mov_b32 s4, 0
	global_store_dwordx2 v[2:3], v[4:5], off
.LBB23_1079:
	s_andn2_b32 vcc_lo, exec_lo, s4
	s_cbranch_vccnz .LBB23_1081
; %bb.1080:
	global_store_dword v[2:3], v0, off
.LBB23_1081:
	s_mov_b32 s4, 0
.LBB23_1082:
	s_andn2_b32 vcc_lo, exec_lo, s4
	s_cbranch_vccnz .LBB23_1084
; %bb.1083:
	v_cvt_f16_f32_e32 v1, v0
	global_store_short v[2:3], v1, off
.LBB23_1084:
	s_mov_b32 s4, 0
.LBB23_1085:
	s_andn2_b32 vcc_lo, exec_lo, s4
	s_cbranch_vccnz .LBB23_1101
; %bb.1086:
	s_sext_i32_i16 s6, s5
	s_mov_b32 s4, -1
	s_cmp_lt_i32 s6, 2
	s_cbranch_scc1 .LBB23_1096
; %bb.1087:
	s_cmp_lt_i32 s6, 3
	s_cbranch_scc1 .LBB23_1093
; %bb.1088:
	s_cmp_gt_i32 s6, 3
	s_cbranch_scc0 .LBB23_1090
; %bb.1089:
	v_trunc_f32_e32 v1, v0
	s_mov_b32 s4, 0
	v_mul_f32_e64 v4, 0x2f800000, |v1|
	v_floor_f32_e32 v4, v4
	v_fma_f32 v5, 0xcf800000, v4, |v1|
	v_ashrrev_i32_e32 v1, 31, v1
	v_cvt_u32_f32_e32 v4, v4
	v_cvt_u32_f32_e32 v5, v5
	v_xor_b32_e32 v6, v4, v1
	v_xor_b32_e32 v5, v5, v1
	v_sub_co_u32 v4, vcc_lo, v5, v1
	v_sub_co_ci_u32_e64 v5, null, v6, v1, vcc_lo
	global_store_dwordx2 v[2:3], v[4:5], off
.LBB23_1090:
	s_andn2_b32 vcc_lo, exec_lo, s4
	s_cbranch_vccnz .LBB23_1092
; %bb.1091:
	v_cvt_i32_f32_e32 v1, v0
	global_store_dword v[2:3], v1, off
.LBB23_1092:
	s_mov_b32 s4, 0
.LBB23_1093:
	s_andn2_b32 vcc_lo, exec_lo, s4
	s_cbranch_vccnz .LBB23_1095
; %bb.1094:
	v_cvt_i32_f32_e32 v1, v0
	global_store_short v[2:3], v1, off
.LBB23_1095:
	s_mov_b32 s4, 0
.LBB23_1096:
	s_andn2_b32 vcc_lo, exec_lo, s4
	s_cbranch_vccnz .LBB23_1101
; %bb.1097:
	s_sext_i32_i16 s4, s5
	s_cmp_gt_i32 s4, 0
	s_mov_b32 s4, -1
	s_cbranch_scc0 .LBB23_1099
; %bb.1098:
	v_cvt_i32_f32_e32 v1, v0
	s_mov_b32 s4, 0
	global_store_byte v[2:3], v1, off
.LBB23_1099:
	s_andn2_b32 vcc_lo, exec_lo, s4
	s_cbranch_vccnz .LBB23_1101
; %bb.1100:
	v_trunc_f32_e32 v0, v0
	v_mul_f32_e64 v1, 0x2f800000, |v0|
	v_floor_f32_e32 v1, v1
	v_fma_f32 v1, 0xcf800000, v1, |v0|
	v_ashrrev_i32_e32 v0, 31, v0
	v_cvt_u32_f32_e32 v1, v1
	v_xor_b32_e32 v1, v1, v0
	v_sub_nc_u32_e32 v0, v1, v0
	global_store_byte v[2:3], v0, off
	s_endpgm
.LBB23_1101:
	s_endpgm
.LBB23_1102:
	s_mov_b32 s8, 0
	s_mov_b32 s4, -1
	s_branch .LBB23_1058
.LBB23_1103:
	s_andn2_saveexec_b32 s10, s10
	s_cbranch_execz .LBB23_655
.LBB23_1104:
	v_add_f32_e64 v3, 0x46000000, |v29|
	s_andn2_b32 s9, s9, exec_lo
	v_and_b32_e32 v3, 0xff, v3
	v_cmp_ne_u32_e32 vcc_lo, 0, v3
	s_and_b32 s11, vcc_lo, exec_lo
	s_or_b32 s9, s9, s11
	s_or_b32 exec_lo, exec_lo, s10
	v_mov_b32_e32 v4, 0
	s_and_saveexec_b32 s10, s9
	s_cbranch_execnz .LBB23_656
	s_branch .LBB23_657
.LBB23_1105:
	s_or_b32 s6, s20, exec_lo
	s_trap 2
	s_cbranch_execz .LBB23_703
	s_branch .LBB23_704
.LBB23_1106:
	s_andn2_saveexec_b32 s9, s9
	s_cbranch_execz .LBB23_668
.LBB23_1107:
	v_add_f32_e64 v3, 0x42800000, |v29|
	s_andn2_b32 s8, s8, exec_lo
	v_and_b32_e32 v3, 0xff, v3
	v_cmp_ne_u32_e32 vcc_lo, 0, v3
	s_and_b32 s10, vcc_lo, exec_lo
	s_or_b32 s8, s8, s10
	s_or_b32 exec_lo, exec_lo, s9
	v_mov_b32_e32 v4, 0
	s_and_saveexec_b32 s9, s8
	s_cbranch_execnz .LBB23_669
	s_branch .LBB23_670
.LBB23_1108:
	s_andn2_saveexec_b32 s11, s11
	s_cbranch_execz .LBB23_773
.LBB23_1109:
	v_add_f32_e64 v3, 0x46000000, |v28|
	s_andn2_b32 s10, s10, exec_lo
	v_and_b32_e32 v3, 0xff, v3
	v_cmp_ne_u32_e32 vcc_lo, 0, v3
	s_and_b32 s12, vcc_lo, exec_lo
	s_or_b32 s10, s10, s12
	s_or_b32 exec_lo, exec_lo, s11
	v_mov_b32_e32 v4, 0
	s_and_saveexec_b32 s11, s10
	s_cbranch_execnz .LBB23_774
	s_branch .LBB23_775
.LBB23_1110:
	s_or_b32 s6, s6, exec_lo
	s_trap 2
	s_cbranch_execz .LBB23_821
	s_branch .LBB23_822
.LBB23_1111:
	s_andn2_saveexec_b32 s10, s10
	s_cbranch_execz .LBB23_786
.LBB23_1112:
	v_add_f32_e64 v3, 0x42800000, |v28|
	s_andn2_b32 s9, s9, exec_lo
	v_and_b32_e32 v3, 0xff, v3
	v_cmp_ne_u32_e32 vcc_lo, 0, v3
	s_and_b32 s11, vcc_lo, exec_lo
	s_or_b32 s9, s9, s11
	s_or_b32 exec_lo, exec_lo, s10
	v_mov_b32_e32 v4, 0
	s_and_saveexec_b32 s10, s9
	s_cbranch_execnz .LBB23_787
	s_branch .LBB23_788
.LBB23_1113:
	s_andn2_saveexec_b32 s11, s11
	s_cbranch_execz .LBB23_891
.LBB23_1114:
	v_add_f32_e64 v3, 0x46000000, |v27|
	s_andn2_b32 s10, s10, exec_lo
	v_and_b32_e32 v3, 0xff, v3
	v_cmp_ne_u32_e32 vcc_lo, 0, v3
	s_and_b32 s12, vcc_lo, exec_lo
	s_or_b32 s10, s10, s12
	s_or_b32 exec_lo, exec_lo, s11
	v_mov_b32_e32 v4, 0
	s_and_saveexec_b32 s11, s10
	s_cbranch_execnz .LBB23_892
	s_branch .LBB23_893
.LBB23_1115:
	s_or_b32 s6, s6, exec_lo
	s_trap 2
	s_cbranch_execz .LBB23_939
	s_branch .LBB23_940
.LBB23_1116:
	s_andn2_saveexec_b32 s10, s10
	s_cbranch_execz .LBB23_904
.LBB23_1117:
	v_add_f32_e64 v3, 0x42800000, |v27|
	s_andn2_b32 s9, s9, exec_lo
	v_and_b32_e32 v3, 0xff, v3
	v_cmp_ne_u32_e32 vcc_lo, 0, v3
	s_and_b32 s11, vcc_lo, exec_lo
	s_or_b32 s9, s9, s11
	s_or_b32 exec_lo, exec_lo, s10
	v_mov_b32_e32 v4, 0
	s_and_saveexec_b32 s10, s9
	s_cbranch_execnz .LBB23_905
	s_branch .LBB23_906
.LBB23_1118:
	s_andn2_saveexec_b32 s11, s11
	s_cbranch_execz .LBB23_971
.LBB23_1119:
	v_add_f32_e64 v1, 0x46000000, |v0|
	s_andn2_b32 s10, s10, exec_lo
	v_and_b32_e32 v1, 0xff, v1
	v_cmp_ne_u32_e32 vcc_lo, 0, v1
	s_and_b32 s12, vcc_lo, exec_lo
	s_or_b32 s10, s10, s12
	s_or_b32 exec_lo, exec_lo, s11
	v_mov_b32_e32 v4, 0
	s_and_saveexec_b32 s11, s10
	s_cbranch_execnz .LBB23_972
	s_branch .LBB23_973
.LBB23_1120:
	s_mov_b32 s8, 0
	s_or_b32 s6, s6, exec_lo
	s_trap 2
	s_branch .LBB23_1017
.LBB23_1121:
	s_andn2_saveexec_b32 s9, s9
	s_cbranch_execz .LBB23_480
.LBB23_1122:
	v_add_f32_e64 v1, 0x46000000, |v0|
	s_andn2_b32 s8, s8, exec_lo
	v_and_b32_e32 v1, 0xff, v1
	v_cmp_ne_u32_e32 vcc_lo, 0, v1
	s_and_b32 s10, vcc_lo, exec_lo
	s_or_b32 s8, s8, s10
	s_or_b32 exec_lo, exec_lo, s9
	v_mov_b32_e32 v4, 0
	s_and_saveexec_b32 s9, s8
	s_cbranch_execnz .LBB23_481
	s_branch .LBB23_482
.LBB23_1123:
	s_andn2_saveexec_b32 s10, s10
	s_cbranch_execz .LBB23_983
.LBB23_1124:
	v_add_f32_e64 v1, 0x42800000, |v0|
	s_andn2_b32 s9, s9, exec_lo
	v_and_b32_e32 v1, 0xff, v1
	v_cmp_ne_u32_e32 vcc_lo, 0, v1
	s_and_b32 s11, vcc_lo, exec_lo
	s_or_b32 s9, s9, s11
	s_or_b32 exec_lo, exec_lo, s10
	v_mov_b32_e32 v4, 0
	s_and_saveexec_b32 s10, s9
	s_cbranch_execnz .LBB23_984
	s_branch .LBB23_985
.LBB23_1125:
	s_andn2_saveexec_b32 s10, s10
	s_cbranch_execz .LBB23_492
.LBB23_1126:
	v_add_f32_e64 v1, 0x42800000, |v0|
	s_andn2_b32 s9, s9, exec_lo
	v_and_b32_e32 v1, 0xff, v1
	v_cmp_ne_u32_e32 vcc_lo, 0, v1
	s_and_b32 s11, vcc_lo, exec_lo
	s_or_b32 s9, s9, s11
	s_or_b32 exec_lo, exec_lo, s10
	v_mov_b32_e32 v4, 0
	s_and_saveexec_b32 s10, s9
	s_cbranch_execnz .LBB23_493
	s_branch .LBB23_494
	.section	.rodata,"a",@progbits
	.p2align	6, 0x0
	.amdhsa_kernel _ZN2at6native32elementwise_kernel_manual_unrollILi128ELi4EZNS0_15gpu_kernel_implIZZZNS0_12_GLOBAL__N_119airy_ai_kernel_cudaERNS_18TensorIteratorBaseEENKUlvE_clEvENKUlvE0_clEvEUlfE_EEvS5_RKT_EUlibE0_EEviT1_
		.amdhsa_group_segment_fixed_size 0
		.amdhsa_private_segment_fixed_size 0
		.amdhsa_kernarg_size 360
		.amdhsa_user_sgpr_count 6
		.amdhsa_user_sgpr_private_segment_buffer 1
		.amdhsa_user_sgpr_dispatch_ptr 0
		.amdhsa_user_sgpr_queue_ptr 0
		.amdhsa_user_sgpr_kernarg_segment_ptr 1
		.amdhsa_user_sgpr_dispatch_id 0
		.amdhsa_user_sgpr_flat_scratch_init 0
		.amdhsa_user_sgpr_private_segment_size 0
		.amdhsa_wavefront_size32 1
		.amdhsa_uses_dynamic_stack 0
		.amdhsa_system_sgpr_private_segment_wavefront_offset 0
		.amdhsa_system_sgpr_workgroup_id_x 1
		.amdhsa_system_sgpr_workgroup_id_y 0
		.amdhsa_system_sgpr_workgroup_id_z 0
		.amdhsa_system_sgpr_workgroup_info 0
		.amdhsa_system_vgpr_workitem_id 0
		.amdhsa_next_free_vgpr 41
		.amdhsa_next_free_sgpr 72
		.amdhsa_reserve_vcc 1
		.amdhsa_reserve_flat_scratch 0
		.amdhsa_float_round_mode_32 0
		.amdhsa_float_round_mode_16_64 0
		.amdhsa_float_denorm_mode_32 3
		.amdhsa_float_denorm_mode_16_64 3
		.amdhsa_dx10_clamp 1
		.amdhsa_ieee_mode 1
		.amdhsa_fp16_overflow 0
		.amdhsa_workgroup_processor_mode 1
		.amdhsa_memory_ordered 1
		.amdhsa_forward_progress 1
		.amdhsa_shared_vgpr_count 0
		.amdhsa_exception_fp_ieee_invalid_op 0
		.amdhsa_exception_fp_denorm_src 0
		.amdhsa_exception_fp_ieee_div_zero 0
		.amdhsa_exception_fp_ieee_overflow 0
		.amdhsa_exception_fp_ieee_underflow 0
		.amdhsa_exception_fp_ieee_inexact 0
		.amdhsa_exception_int_div_zero 0
	.end_amdhsa_kernel
	.section	.text._ZN2at6native32elementwise_kernel_manual_unrollILi128ELi4EZNS0_15gpu_kernel_implIZZZNS0_12_GLOBAL__N_119airy_ai_kernel_cudaERNS_18TensorIteratorBaseEENKUlvE_clEvENKUlvE0_clEvEUlfE_EEvS5_RKT_EUlibE0_EEviT1_,"axG",@progbits,_ZN2at6native32elementwise_kernel_manual_unrollILi128ELi4EZNS0_15gpu_kernel_implIZZZNS0_12_GLOBAL__N_119airy_ai_kernel_cudaERNS_18TensorIteratorBaseEENKUlvE_clEvENKUlvE0_clEvEUlfE_EEvS5_RKT_EUlibE0_EEviT1_,comdat
.Lfunc_end23:
	.size	_ZN2at6native32elementwise_kernel_manual_unrollILi128ELi4EZNS0_15gpu_kernel_implIZZZNS0_12_GLOBAL__N_119airy_ai_kernel_cudaERNS_18TensorIteratorBaseEENKUlvE_clEvENKUlvE0_clEvEUlfE_EEvS5_RKT_EUlibE0_EEviT1_, .Lfunc_end23-_ZN2at6native32elementwise_kernel_manual_unrollILi128ELi4EZNS0_15gpu_kernel_implIZZZNS0_12_GLOBAL__N_119airy_ai_kernel_cudaERNS_18TensorIteratorBaseEENKUlvE_clEvENKUlvE0_clEvEUlfE_EEvS5_RKT_EUlibE0_EEviT1_
                                        ; -- End function
	.set _ZN2at6native32elementwise_kernel_manual_unrollILi128ELi4EZNS0_15gpu_kernel_implIZZZNS0_12_GLOBAL__N_119airy_ai_kernel_cudaERNS_18TensorIteratorBaseEENKUlvE_clEvENKUlvE0_clEvEUlfE_EEvS5_RKT_EUlibE0_EEviT1_.num_vgpr, max(41, .L_ZN2at6native6invokeIZZZNS0_12_GLOBAL__N_119airy_ai_kernel_cudaERNS_18TensorIteratorBaseEENKUlvE_clEvENKUlvE0_clEvEUlfE_j15function_traitsIS7_EEENT1_11result_typeERKT_PrKPcPKT0_PKN3c1010ScalarTypeEi.num_vgpr)
	.set _ZN2at6native32elementwise_kernel_manual_unrollILi128ELi4EZNS0_15gpu_kernel_implIZZZNS0_12_GLOBAL__N_119airy_ai_kernel_cudaERNS_18TensorIteratorBaseEENKUlvE_clEvENKUlvE0_clEvEUlfE_EEvS5_RKT_EUlibE0_EEviT1_.num_agpr, max(0, .L_ZN2at6native6invokeIZZZNS0_12_GLOBAL__N_119airy_ai_kernel_cudaERNS_18TensorIteratorBaseEENKUlvE_clEvENKUlvE0_clEvEUlfE_j15function_traitsIS7_EEENT1_11result_typeERKT_PrKPcPKT0_PKN3c1010ScalarTypeEi.num_agpr)
	.set _ZN2at6native32elementwise_kernel_manual_unrollILi128ELi4EZNS0_15gpu_kernel_implIZZZNS0_12_GLOBAL__N_119airy_ai_kernel_cudaERNS_18TensorIteratorBaseEENKUlvE_clEvENKUlvE0_clEvEUlfE_EEvS5_RKT_EUlibE0_EEviT1_.numbered_sgpr, max(72, .L_ZN2at6native6invokeIZZZNS0_12_GLOBAL__N_119airy_ai_kernel_cudaERNS_18TensorIteratorBaseEENKUlvE_clEvENKUlvE0_clEvEUlfE_j15function_traitsIS7_EEENT1_11result_typeERKT_PrKPcPKT0_PKN3c1010ScalarTypeEi.numbered_sgpr)
	.set _ZN2at6native32elementwise_kernel_manual_unrollILi128ELi4EZNS0_15gpu_kernel_implIZZZNS0_12_GLOBAL__N_119airy_ai_kernel_cudaERNS_18TensorIteratorBaseEENKUlvE_clEvENKUlvE0_clEvEUlfE_EEvS5_RKT_EUlibE0_EEviT1_.num_named_barrier, max(0, .L_ZN2at6native6invokeIZZZNS0_12_GLOBAL__N_119airy_ai_kernel_cudaERNS_18TensorIteratorBaseEENKUlvE_clEvENKUlvE0_clEvEUlfE_j15function_traitsIS7_EEENT1_11result_typeERKT_PrKPcPKT0_PKN3c1010ScalarTypeEi.num_named_barrier)
	.set _ZN2at6native32elementwise_kernel_manual_unrollILi128ELi4EZNS0_15gpu_kernel_implIZZZNS0_12_GLOBAL__N_119airy_ai_kernel_cudaERNS_18TensorIteratorBaseEENKUlvE_clEvENKUlvE0_clEvEUlfE_EEvS5_RKT_EUlibE0_EEviT1_.private_seg_size, 0+max(.L_ZN2at6native6invokeIZZZNS0_12_GLOBAL__N_119airy_ai_kernel_cudaERNS_18TensorIteratorBaseEENKUlvE_clEvENKUlvE0_clEvEUlfE_j15function_traitsIS7_EEENT1_11result_typeERKT_PrKPcPKT0_PKN3c1010ScalarTypeEi.private_seg_size)
	.set _ZN2at6native32elementwise_kernel_manual_unrollILi128ELi4EZNS0_15gpu_kernel_implIZZZNS0_12_GLOBAL__N_119airy_ai_kernel_cudaERNS_18TensorIteratorBaseEENKUlvE_clEvENKUlvE0_clEvEUlfE_EEvS5_RKT_EUlibE0_EEviT1_.uses_vcc, or(1, .L_ZN2at6native6invokeIZZZNS0_12_GLOBAL__N_119airy_ai_kernel_cudaERNS_18TensorIteratorBaseEENKUlvE_clEvENKUlvE0_clEvEUlfE_j15function_traitsIS7_EEENT1_11result_typeERKT_PrKPcPKT0_PKN3c1010ScalarTypeEi.uses_vcc)
	.set _ZN2at6native32elementwise_kernel_manual_unrollILi128ELi4EZNS0_15gpu_kernel_implIZZZNS0_12_GLOBAL__N_119airy_ai_kernel_cudaERNS_18TensorIteratorBaseEENKUlvE_clEvENKUlvE0_clEvEUlfE_EEvS5_RKT_EUlibE0_EEviT1_.uses_flat_scratch, or(0, .L_ZN2at6native6invokeIZZZNS0_12_GLOBAL__N_119airy_ai_kernel_cudaERNS_18TensorIteratorBaseEENKUlvE_clEvENKUlvE0_clEvEUlfE_j15function_traitsIS7_EEENT1_11result_typeERKT_PrKPcPKT0_PKN3c1010ScalarTypeEi.uses_flat_scratch)
	.set _ZN2at6native32elementwise_kernel_manual_unrollILi128ELi4EZNS0_15gpu_kernel_implIZZZNS0_12_GLOBAL__N_119airy_ai_kernel_cudaERNS_18TensorIteratorBaseEENKUlvE_clEvENKUlvE0_clEvEUlfE_EEvS5_RKT_EUlibE0_EEviT1_.has_dyn_sized_stack, or(0, .L_ZN2at6native6invokeIZZZNS0_12_GLOBAL__N_119airy_ai_kernel_cudaERNS_18TensorIteratorBaseEENKUlvE_clEvENKUlvE0_clEvEUlfE_j15function_traitsIS7_EEENT1_11result_typeERKT_PrKPcPKT0_PKN3c1010ScalarTypeEi.has_dyn_sized_stack)
	.set _ZN2at6native32elementwise_kernel_manual_unrollILi128ELi4EZNS0_15gpu_kernel_implIZZZNS0_12_GLOBAL__N_119airy_ai_kernel_cudaERNS_18TensorIteratorBaseEENKUlvE_clEvENKUlvE0_clEvEUlfE_EEvS5_RKT_EUlibE0_EEviT1_.has_recursion, or(0, .L_ZN2at6native6invokeIZZZNS0_12_GLOBAL__N_119airy_ai_kernel_cudaERNS_18TensorIteratorBaseEENKUlvE_clEvENKUlvE0_clEvEUlfE_j15function_traitsIS7_EEENT1_11result_typeERKT_PrKPcPKT0_PKN3c1010ScalarTypeEi.has_recursion)
	.set _ZN2at6native32elementwise_kernel_manual_unrollILi128ELi4EZNS0_15gpu_kernel_implIZZZNS0_12_GLOBAL__N_119airy_ai_kernel_cudaERNS_18TensorIteratorBaseEENKUlvE_clEvENKUlvE0_clEvEUlfE_EEvS5_RKT_EUlibE0_EEviT1_.has_indirect_call, or(0, .L_ZN2at6native6invokeIZZZNS0_12_GLOBAL__N_119airy_ai_kernel_cudaERNS_18TensorIteratorBaseEENKUlvE_clEvENKUlvE0_clEvEUlfE_j15function_traitsIS7_EEENT1_11result_typeERKT_PrKPcPKT0_PKN3c1010ScalarTypeEi.has_indirect_call)
	.section	.AMDGPU.csdata,"",@progbits
; Kernel info:
; codeLenInByte = 21868
; TotalNumSgprs: 74
; NumVgprs: 41
; ScratchSize: 0
; MemoryBound: 0
; FloatMode: 240
; IeeeMode: 1
; LDSByteSize: 0 bytes/workgroup (compile time only)
; SGPRBlocks: 0
; VGPRBlocks: 5
; NumSGPRsForWavesPerEU: 74
; NumVGPRsForWavesPerEU: 41
; Occupancy: 16
; WaveLimiterHint : 1
; COMPUTE_PGM_RSRC2:SCRATCH_EN: 0
; COMPUTE_PGM_RSRC2:USER_SGPR: 6
; COMPUTE_PGM_RSRC2:TRAP_HANDLER: 0
; COMPUTE_PGM_RSRC2:TGID_X_EN: 1
; COMPUTE_PGM_RSRC2:TGID_Y_EN: 0
; COMPUTE_PGM_RSRC2:TGID_Z_EN: 0
; COMPUTE_PGM_RSRC2:TIDIG_COMP_CNT: 0
	.text
	.p2alignl 6, 3214868480
	.fill 48, 4, 3214868480
	.section	.AMDGPU.gpr_maximums,"",@progbits
	.set amdgpu.max_num_vgpr, 86
	.set amdgpu.max_num_agpr, 0
	.set amdgpu.max_num_sgpr, 47
	.text
	.type	__hip_cuid_879443773bac8595,@object ; @__hip_cuid_879443773bac8595
	.section	.bss,"aw",@nobits
	.globl	__hip_cuid_879443773bac8595
__hip_cuid_879443773bac8595:
	.byte	0                               ; 0x0
	.size	__hip_cuid_879443773bac8595, 1

	.ident	"AMD clang version 22.0.0git (https://github.com/RadeonOpenCompute/llvm-project roc-7.2.4 26084 f58b06dce1f9c15707c5f808fd002e18c2accf7e)"
	.section	".note.GNU-stack","",@progbits
	.addrsig
	.addrsig_sym __hip_cuid_879443773bac8595
	.amdgpu_metadata
---
amdhsa.kernels:
  - .args:
      - .offset:         0
        .size:           4
        .value_kind:     by_value
      - .offset:         4
        .size:           1
        .value_kind:     by_value
      - .offset:         8
        .size:           16
        .value_kind:     by_value
    .group_segment_fixed_size: 0
    .kernarg_segment_align: 8
    .kernarg_segment_size: 24
    .language:       OpenCL C
    .language_version:
      - 2
      - 0
    .max_flat_workgroup_size: 256
    .name:           _ZN2at6native29vectorized_elementwise_kernelILi16EZZZNS0_12_GLOBAL__N_119airy_ai_kernel_cudaERNS_18TensorIteratorBaseEENKUlvE_clEvENKUlvE_clEvEUldE_St5arrayIPcLm2EEEEviT0_T1_
    .private_segment_fixed_size: 0
    .sgpr_count:     49
    .sgpr_spill_count: 0
    .symbol:         _ZN2at6native29vectorized_elementwise_kernelILi16EZZZNS0_12_GLOBAL__N_119airy_ai_kernel_cudaERNS_18TensorIteratorBaseEENKUlvE_clEvENKUlvE_clEvEUldE_St5arrayIPcLm2EEEEviT0_T1_.kd
    .uniform_work_group_size: 1
    .uses_dynamic_stack: false
    .vgpr_count:     86
    .vgpr_spill_count: 0
    .wavefront_size: 32
    .workgroup_processor_mode: 1
  - .args:
      - .offset:         0
        .size:           4
        .value_kind:     by_value
      - .offset:         4
        .size:           1
        .value_kind:     by_value
      - .offset:         8
        .size:           16
        .value_kind:     by_value
    .group_segment_fixed_size: 0
    .kernarg_segment_align: 8
    .kernarg_segment_size: 24
    .language:       OpenCL C
    .language_version:
      - 2
      - 0
    .max_flat_workgroup_size: 256
    .name:           _ZN2at6native29vectorized_elementwise_kernelILi8EZZZNS0_12_GLOBAL__N_119airy_ai_kernel_cudaERNS_18TensorIteratorBaseEENKUlvE_clEvENKUlvE_clEvEUldE_St5arrayIPcLm2EEEEviT0_T1_
    .private_segment_fixed_size: 0
    .sgpr_count:     49
    .sgpr_spill_count: 0
    .symbol:         _ZN2at6native29vectorized_elementwise_kernelILi8EZZZNS0_12_GLOBAL__N_119airy_ai_kernel_cudaERNS_18TensorIteratorBaseEENKUlvE_clEvENKUlvE_clEvEUldE_St5arrayIPcLm2EEEEviT0_T1_.kd
    .uniform_work_group_size: 1
    .uses_dynamic_stack: false
    .vgpr_count:     86
    .vgpr_spill_count: 0
    .wavefront_size: 32
    .workgroup_processor_mode: 1
  - .args:
      - .offset:         0
        .size:           4
        .value_kind:     by_value
      - .offset:         4
        .size:           1
        .value_kind:     by_value
      - .offset:         8
        .size:           16
        .value_kind:     by_value
    .group_segment_fixed_size: 0
    .kernarg_segment_align: 8
    .kernarg_segment_size: 24
    .language:       OpenCL C
    .language_version:
      - 2
      - 0
    .max_flat_workgroup_size: 256
    .name:           _ZN2at6native29vectorized_elementwise_kernelILi4EZZZNS0_12_GLOBAL__N_119airy_ai_kernel_cudaERNS_18TensorIteratorBaseEENKUlvE_clEvENKUlvE_clEvEUldE_St5arrayIPcLm2EEEEviT0_T1_
    .private_segment_fixed_size: 0
    .sgpr_count:     49
    .sgpr_spill_count: 0
    .symbol:         _ZN2at6native29vectorized_elementwise_kernelILi4EZZZNS0_12_GLOBAL__N_119airy_ai_kernel_cudaERNS_18TensorIteratorBaseEENKUlvE_clEvENKUlvE_clEvEUldE_St5arrayIPcLm2EEEEviT0_T1_.kd
    .uniform_work_group_size: 1
    .uses_dynamic_stack: false
    .vgpr_count:     86
    .vgpr_spill_count: 0
    .wavefront_size: 32
    .workgroup_processor_mode: 1
  - .args:
      - .offset:         0
        .size:           4
        .value_kind:     by_value
      - .offset:         4
        .size:           1
        .value_kind:     by_value
      - .offset:         8
        .size:           16
        .value_kind:     by_value
    .group_segment_fixed_size: 0
    .kernarg_segment_align: 8
    .kernarg_segment_size: 24
    .language:       OpenCL C
    .language_version:
      - 2
      - 0
    .max_flat_workgroup_size: 256
    .name:           _ZN2at6native29vectorized_elementwise_kernelILi2EZZZNS0_12_GLOBAL__N_119airy_ai_kernel_cudaERNS_18TensorIteratorBaseEENKUlvE_clEvENKUlvE_clEvEUldE_St5arrayIPcLm2EEEEviT0_T1_
    .private_segment_fixed_size: 0
    .sgpr_count:     49
    .sgpr_spill_count: 0
    .symbol:         _ZN2at6native29vectorized_elementwise_kernelILi2EZZZNS0_12_GLOBAL__N_119airy_ai_kernel_cudaERNS_18TensorIteratorBaseEENKUlvE_clEvENKUlvE_clEvEUldE_St5arrayIPcLm2EEEEviT0_T1_.kd
    .uniform_work_group_size: 1
    .uses_dynamic_stack: false
    .vgpr_count:     86
    .vgpr_spill_count: 0
    .wavefront_size: 32
    .workgroup_processor_mode: 1
  - .args:
      - .offset:         0
        .size:           4
        .value_kind:     by_value
      - .offset:         4
        .size:           1
        .value_kind:     by_value
      - .offset:         8
        .size:           16
        .value_kind:     by_value
      - .offset:         24
        .size:           1
        .value_kind:     by_value
      - .offset:         25
        .size:           1
        .value_kind:     by_value
      - .offset:         26
        .size:           1
        .value_kind:     by_value
      - .offset:         27
        .size:           1
        .value_kind:     by_value
    .group_segment_fixed_size: 0
    .kernarg_segment_align: 8
    .kernarg_segment_size: 28
    .language:       OpenCL C
    .language_version:
      - 2
      - 0
    .max_flat_workgroup_size: 256
    .name:           _ZN2at6native27unrolled_elementwise_kernelIZZZNS0_12_GLOBAL__N_119airy_ai_kernel_cudaERNS_18TensorIteratorBaseEENKUlvE_clEvENKUlvE_clEvEUldE_St5arrayIPcLm2EELi4E23TrivialOffsetCalculatorILi1EjESC_NS0_6memory15LoadWithoutCastENSD_16StoreWithoutCastEEEviT_T0_T2_T3_T4_T5_
    .private_segment_fixed_size: 0
    .sgpr_count:     49
    .sgpr_spill_count: 0
    .symbol:         _ZN2at6native27unrolled_elementwise_kernelIZZZNS0_12_GLOBAL__N_119airy_ai_kernel_cudaERNS_18TensorIteratorBaseEENKUlvE_clEvENKUlvE_clEvEUldE_St5arrayIPcLm2EELi4E23TrivialOffsetCalculatorILi1EjESC_NS0_6memory15LoadWithoutCastENSD_16StoreWithoutCastEEEviT_T0_T2_T3_T4_T5_.kd
    .uniform_work_group_size: 1
    .uses_dynamic_stack: false
    .vgpr_count:     86
    .vgpr_spill_count: 0
    .wavefront_size: 32
    .workgroup_processor_mode: 1
  - .args:
      - .offset:         0
        .size:           4
        .value_kind:     by_value
      - .offset:         8
        .size:           352
        .value_kind:     by_value
    .group_segment_fixed_size: 0
    .kernarg_segment_align: 8
    .kernarg_segment_size: 360
    .language:       OpenCL C
    .language_version:
      - 2
      - 0
    .max_flat_workgroup_size: 128
    .name:           _ZN2at6native32elementwise_kernel_manual_unrollILi128ELi4EZNS0_22gpu_kernel_impl_nocastIZZZNS0_12_GLOBAL__N_119airy_ai_kernel_cudaERNS_18TensorIteratorBaseEENKUlvE_clEvENKUlvE_clEvEUldE_EEvS5_RKT_EUlibE_EEviT1_
    .private_segment_fixed_size: 0
    .sgpr_count:     58
    .sgpr_spill_count: 0
    .symbol:         _ZN2at6native32elementwise_kernel_manual_unrollILi128ELi4EZNS0_22gpu_kernel_impl_nocastIZZZNS0_12_GLOBAL__N_119airy_ai_kernel_cudaERNS_18TensorIteratorBaseEENKUlvE_clEvENKUlvE_clEvEUldE_EEvS5_RKT_EUlibE_EEviT1_.kd
    .uniform_work_group_size: 1
    .uses_dynamic_stack: false
    .vgpr_count:     83
    .vgpr_spill_count: 0
    .wavefront_size: 32
    .workgroup_processor_mode: 1
  - .args:
      - .offset:         0
        .size:           4
        .value_kind:     by_value
      - .offset:         8
        .size:           32
        .value_kind:     by_value
    .group_segment_fixed_size: 0
    .kernarg_segment_align: 8
    .kernarg_segment_size: 40
    .language:       OpenCL C
    .language_version:
      - 2
      - 0
    .max_flat_workgroup_size: 128
    .name:           _ZN2at6native32elementwise_kernel_manual_unrollILi128ELi4EZNS0_15gpu_kernel_implIZZZNS0_12_GLOBAL__N_119airy_ai_kernel_cudaERNS_18TensorIteratorBaseEENKUlvE_clEvENKUlvE_clEvEUldE_EEvS5_RKT_EUlibE_EEviT1_
    .private_segment_fixed_size: 0
    .sgpr_count:     49
    .sgpr_spill_count: 0
    .symbol:         _ZN2at6native32elementwise_kernel_manual_unrollILi128ELi4EZNS0_15gpu_kernel_implIZZZNS0_12_GLOBAL__N_119airy_ai_kernel_cudaERNS_18TensorIteratorBaseEENKUlvE_clEvENKUlvE_clEvEUldE_EEvS5_RKT_EUlibE_EEviT1_.kd
    .uniform_work_group_size: 1
    .uses_dynamic_stack: false
    .vgpr_count:     84
    .vgpr_spill_count: 0
    .wavefront_size: 32
    .workgroup_processor_mode: 1
  - .args:
      - .offset:         0
        .size:           4
        .value_kind:     by_value
      - .offset:         8
        .size:           352
        .value_kind:     by_value
    .group_segment_fixed_size: 0
    .kernarg_segment_align: 8
    .kernarg_segment_size: 360
    .language:       OpenCL C
    .language_version:
      - 2
      - 0
    .max_flat_workgroup_size: 128
    .name:           _ZN2at6native32elementwise_kernel_manual_unrollILi128ELi4EZNS0_15gpu_kernel_implIZZZNS0_12_GLOBAL__N_119airy_ai_kernel_cudaERNS_18TensorIteratorBaseEENKUlvE_clEvENKUlvE_clEvEUldE_EEvS5_RKT_EUlibE0_EEviT1_
    .private_segment_fixed_size: 0
    .sgpr_count:     74
    .sgpr_spill_count: 0
    .symbol:         _ZN2at6native32elementwise_kernel_manual_unrollILi128ELi4EZNS0_15gpu_kernel_implIZZZNS0_12_GLOBAL__N_119airy_ai_kernel_cudaERNS_18TensorIteratorBaseEENKUlvE_clEvENKUlvE_clEvEUldE_EEvS5_RKT_EUlibE0_EEviT1_.kd
    .uniform_work_group_size: 1
    .uses_dynamic_stack: false
    .vgpr_count:     84
    .vgpr_spill_count: 0
    .wavefront_size: 32
    .workgroup_processor_mode: 1
  - .args:
      - .offset:         0
        .size:           4
        .value_kind:     by_value
      - .offset:         4
        .size:           1
        .value_kind:     by_value
      - .offset:         8
        .size:           16
        .value_kind:     by_value
    .group_segment_fixed_size: 0
    .kernarg_segment_align: 8
    .kernarg_segment_size: 24
    .language:       OpenCL C
    .language_version:
      - 2
      - 0
    .max_flat_workgroup_size: 256
    .name:           _ZN2at6native29vectorized_elementwise_kernelILi16EZZZNS0_12_GLOBAL__N_119airy_ai_kernel_cudaERNS_18TensorIteratorBaseEENKUlvE_clEvENKUlvE0_clEvEUlfE_St5arrayIPcLm2EEEEviT0_T1_
    .private_segment_fixed_size: 0
    .sgpr_count:     35
    .sgpr_spill_count: 0
    .symbol:         _ZN2at6native29vectorized_elementwise_kernelILi16EZZZNS0_12_GLOBAL__N_119airy_ai_kernel_cudaERNS_18TensorIteratorBaseEENKUlvE_clEvENKUlvE0_clEvEUlfE_St5arrayIPcLm2EEEEviT0_T1_.kd
    .uniform_work_group_size: 1
    .uses_dynamic_stack: false
    .vgpr_count:     38
    .vgpr_spill_count: 0
    .wavefront_size: 32
    .workgroup_processor_mode: 1
  - .args:
      - .offset:         0
        .size:           4
        .value_kind:     by_value
      - .offset:         4
        .size:           1
        .value_kind:     by_value
      - .offset:         8
        .size:           16
        .value_kind:     by_value
    .group_segment_fixed_size: 0
    .kernarg_segment_align: 8
    .kernarg_segment_size: 24
    .language:       OpenCL C
    .language_version:
      - 2
      - 0
    .max_flat_workgroup_size: 256
    .name:           _ZN2at6native29vectorized_elementwise_kernelILi8EZZZNS0_12_GLOBAL__N_119airy_ai_kernel_cudaERNS_18TensorIteratorBaseEENKUlvE_clEvENKUlvE0_clEvEUlfE_St5arrayIPcLm2EEEEviT0_T1_
    .private_segment_fixed_size: 0
    .sgpr_count:     35
    .sgpr_spill_count: 0
    .symbol:         _ZN2at6native29vectorized_elementwise_kernelILi8EZZZNS0_12_GLOBAL__N_119airy_ai_kernel_cudaERNS_18TensorIteratorBaseEENKUlvE_clEvENKUlvE0_clEvEUlfE_St5arrayIPcLm2EEEEviT0_T1_.kd
    .uniform_work_group_size: 1
    .uses_dynamic_stack: false
    .vgpr_count:     38
    .vgpr_spill_count: 0
    .wavefront_size: 32
    .workgroup_processor_mode: 1
  - .args:
      - .offset:         0
        .size:           4
        .value_kind:     by_value
      - .offset:         4
        .size:           1
        .value_kind:     by_value
      - .offset:         8
        .size:           16
        .value_kind:     by_value
    .group_segment_fixed_size: 0
    .kernarg_segment_align: 8
    .kernarg_segment_size: 24
    .language:       OpenCL C
    .language_version:
      - 2
      - 0
    .max_flat_workgroup_size: 256
    .name:           _ZN2at6native29vectorized_elementwise_kernelILi4EZZZNS0_12_GLOBAL__N_119airy_ai_kernel_cudaERNS_18TensorIteratorBaseEENKUlvE_clEvENKUlvE0_clEvEUlfE_St5arrayIPcLm2EEEEviT0_T1_
    .private_segment_fixed_size: 0
    .sgpr_count:     35
    .sgpr_spill_count: 0
    .symbol:         _ZN2at6native29vectorized_elementwise_kernelILi4EZZZNS0_12_GLOBAL__N_119airy_ai_kernel_cudaERNS_18TensorIteratorBaseEENKUlvE_clEvENKUlvE0_clEvEUlfE_St5arrayIPcLm2EEEEviT0_T1_.kd
    .uniform_work_group_size: 1
    .uses_dynamic_stack: false
    .vgpr_count:     38
    .vgpr_spill_count: 0
    .wavefront_size: 32
    .workgroup_processor_mode: 1
  - .args:
      - .offset:         0
        .size:           4
        .value_kind:     by_value
      - .offset:         4
        .size:           1
        .value_kind:     by_value
      - .offset:         8
        .size:           16
        .value_kind:     by_value
    .group_segment_fixed_size: 0
    .kernarg_segment_align: 8
    .kernarg_segment_size: 24
    .language:       OpenCL C
    .language_version:
      - 2
      - 0
    .max_flat_workgroup_size: 256
    .name:           _ZN2at6native29vectorized_elementwise_kernelILi2EZZZNS0_12_GLOBAL__N_119airy_ai_kernel_cudaERNS_18TensorIteratorBaseEENKUlvE_clEvENKUlvE0_clEvEUlfE_St5arrayIPcLm2EEEEviT0_T1_
    .private_segment_fixed_size: 0
    .sgpr_count:     35
    .sgpr_spill_count: 0
    .symbol:         _ZN2at6native29vectorized_elementwise_kernelILi2EZZZNS0_12_GLOBAL__N_119airy_ai_kernel_cudaERNS_18TensorIteratorBaseEENKUlvE_clEvENKUlvE0_clEvEUlfE_St5arrayIPcLm2EEEEviT0_T1_.kd
    .uniform_work_group_size: 1
    .uses_dynamic_stack: false
    .vgpr_count:     38
    .vgpr_spill_count: 0
    .wavefront_size: 32
    .workgroup_processor_mode: 1
  - .args:
      - .offset:         0
        .size:           4
        .value_kind:     by_value
      - .offset:         4
        .size:           1
        .value_kind:     by_value
      - .offset:         8
        .size:           16
        .value_kind:     by_value
      - .offset:         24
        .size:           1
        .value_kind:     by_value
      - .offset:         25
        .size:           1
        .value_kind:     by_value
      - .offset:         26
        .size:           1
        .value_kind:     by_value
      - .offset:         27
        .size:           1
        .value_kind:     by_value
    .group_segment_fixed_size: 0
    .kernarg_segment_align: 8
    .kernarg_segment_size: 28
    .language:       OpenCL C
    .language_version:
      - 2
      - 0
    .max_flat_workgroup_size: 256
    .name:           _ZN2at6native27unrolled_elementwise_kernelIZZZNS0_12_GLOBAL__N_119airy_ai_kernel_cudaERNS_18TensorIteratorBaseEENKUlvE_clEvENKUlvE0_clEvEUlfE_St5arrayIPcLm2EELi4E23TrivialOffsetCalculatorILi1EjESC_NS0_6memory15LoadWithoutCastENSD_16StoreWithoutCastEEEviT_T0_T2_T3_T4_T5_
    .private_segment_fixed_size: 0
    .sgpr_count:     35
    .sgpr_spill_count: 0
    .symbol:         _ZN2at6native27unrolled_elementwise_kernelIZZZNS0_12_GLOBAL__N_119airy_ai_kernel_cudaERNS_18TensorIteratorBaseEENKUlvE_clEvENKUlvE0_clEvEUlfE_St5arrayIPcLm2EELi4E23TrivialOffsetCalculatorILi1EjESC_NS0_6memory15LoadWithoutCastENSD_16StoreWithoutCastEEEviT_T0_T2_T3_T4_T5_.kd
    .uniform_work_group_size: 1
    .uses_dynamic_stack: false
    .vgpr_count:     38
    .vgpr_spill_count: 0
    .wavefront_size: 32
    .workgroup_processor_mode: 1
  - .args:
      - .offset:         0
        .size:           4
        .value_kind:     by_value
      - .offset:         8
        .size:           352
        .value_kind:     by_value
    .group_segment_fixed_size: 0
    .kernarg_segment_align: 8
    .kernarg_segment_size: 360
    .language:       OpenCL C
    .language_version:
      - 2
      - 0
    .max_flat_workgroup_size: 128
    .name:           _ZN2at6native32elementwise_kernel_manual_unrollILi128ELi4EZNS0_22gpu_kernel_impl_nocastIZZZNS0_12_GLOBAL__N_119airy_ai_kernel_cudaERNS_18TensorIteratorBaseEENKUlvE_clEvENKUlvE0_clEvEUlfE_EEvS5_RKT_EUlibE_EEviT1_
    .private_segment_fixed_size: 0
    .sgpr_count:     58
    .sgpr_spill_count: 0
    .symbol:         _ZN2at6native32elementwise_kernel_manual_unrollILi128ELi4EZNS0_22gpu_kernel_impl_nocastIZZZNS0_12_GLOBAL__N_119airy_ai_kernel_cudaERNS_18TensorIteratorBaseEENKUlvE_clEvENKUlvE0_clEvEUlfE_EEvS5_RKT_EUlibE_EEviT1_.kd
    .uniform_work_group_size: 1
    .uses_dynamic_stack: false
    .vgpr_count:     35
    .vgpr_spill_count: 0
    .wavefront_size: 32
    .workgroup_processor_mode: 1
  - .args:
      - .offset:         0
        .size:           4
        .value_kind:     by_value
      - .offset:         8
        .size:           32
        .value_kind:     by_value
    .group_segment_fixed_size: 0
    .kernarg_segment_align: 8
    .kernarg_segment_size: 40
    .language:       OpenCL C
    .language_version:
      - 2
      - 0
    .max_flat_workgroup_size: 128
    .name:           _ZN2at6native32elementwise_kernel_manual_unrollILi128ELi4EZNS0_15gpu_kernel_implIZZZNS0_12_GLOBAL__N_119airy_ai_kernel_cudaERNS_18TensorIteratorBaseEENKUlvE_clEvENKUlvE0_clEvEUlfE_EEvS5_RKT_EUlibE_EEviT1_
    .private_segment_fixed_size: 0
    .sgpr_count:     37
    .sgpr_spill_count: 0
    .symbol:         _ZN2at6native32elementwise_kernel_manual_unrollILi128ELi4EZNS0_15gpu_kernel_implIZZZNS0_12_GLOBAL__N_119airy_ai_kernel_cudaERNS_18TensorIteratorBaseEENKUlvE_clEvENKUlvE0_clEvEUlfE_EEvS5_RKT_EUlibE_EEviT1_.kd
    .uniform_work_group_size: 1
    .uses_dynamic_stack: false
    .vgpr_count:     34
    .vgpr_spill_count: 0
    .wavefront_size: 32
    .workgroup_processor_mode: 1
  - .args:
      - .offset:         0
        .size:           4
        .value_kind:     by_value
      - .offset:         8
        .size:           352
        .value_kind:     by_value
    .group_segment_fixed_size: 0
    .kernarg_segment_align: 8
    .kernarg_segment_size: 360
    .language:       OpenCL C
    .language_version:
      - 2
      - 0
    .max_flat_workgroup_size: 128
    .name:           _ZN2at6native32elementwise_kernel_manual_unrollILi128ELi4EZNS0_15gpu_kernel_implIZZZNS0_12_GLOBAL__N_119airy_ai_kernel_cudaERNS_18TensorIteratorBaseEENKUlvE_clEvENKUlvE0_clEvEUlfE_EEvS5_RKT_EUlibE0_EEviT1_
    .private_segment_fixed_size: 0
    .sgpr_count:     74
    .sgpr_spill_count: 0
    .symbol:         _ZN2at6native32elementwise_kernel_manual_unrollILi128ELi4EZNS0_15gpu_kernel_implIZZZNS0_12_GLOBAL__N_119airy_ai_kernel_cudaERNS_18TensorIteratorBaseEENKUlvE_clEvENKUlvE0_clEvEUlfE_EEvS5_RKT_EUlibE0_EEviT1_.kd
    .uniform_work_group_size: 1
    .uses_dynamic_stack: false
    .vgpr_count:     41
    .vgpr_spill_count: 0
    .wavefront_size: 32
    .workgroup_processor_mode: 1
amdhsa.target:   amdgcn-amd-amdhsa--gfx1030
amdhsa.version:
  - 1
  - 2
...

	.end_amdgpu_metadata
